;; amdgpu-corpus repo=ROCm/aiter kind=compiled arch=gfx1100 opt=O3
	.text
	.amdgcn_target "amdgcn-amd-amdhsa--gfx1100"
	.amdhsa_code_object_version 6
	.section	.text._ZN7ck_tileL11flush_cacheEv,"axG",@progbits,_ZN7ck_tileL11flush_cacheEv,comdat
	.globl	_ZN7ck_tileL11flush_cacheEv     ; -- Begin function _ZN7ck_tileL11flush_cacheEv
	.p2align	8
	.type	_ZN7ck_tileL11flush_cacheEv,@function
_ZN7ck_tileL11flush_cacheEv:            ; @_ZN7ck_tileL11flush_cacheEv
; %bb.0:
	;;#ASMSTART
	s_icache_inv 
	s_nop 0 
	s_nop 0 
	;; [unrolled: 1-line block ×16, first 2 shown]
	
	;;#ASMEND
	s_endpgm
	.section	.rodata,"a",@progbits
	.p2align	6, 0x0
	.amdhsa_kernel _ZN7ck_tileL11flush_cacheEv
		.amdhsa_group_segment_fixed_size 0
		.amdhsa_private_segment_fixed_size 0
		.amdhsa_kernarg_size 0
		.amdhsa_user_sgpr_count 15
		.amdhsa_user_sgpr_dispatch_ptr 0
		.amdhsa_user_sgpr_queue_ptr 0
		.amdhsa_user_sgpr_kernarg_segment_ptr 0
		.amdhsa_user_sgpr_dispatch_id 0
		.amdhsa_user_sgpr_private_segment_size 0
		.amdhsa_wavefront_size32 1
		.amdhsa_uses_dynamic_stack 0
		.amdhsa_enable_private_segment 0
		.amdhsa_system_sgpr_workgroup_id_x 1
		.amdhsa_system_sgpr_workgroup_id_y 0
		.amdhsa_system_sgpr_workgroup_id_z 0
		.amdhsa_system_sgpr_workgroup_info 0
		.amdhsa_system_vgpr_workitem_id 0
		.amdhsa_next_free_vgpr 1
		.amdhsa_next_free_sgpr 1
		.amdhsa_reserve_vcc 0
		.amdhsa_float_round_mode_32 0
		.amdhsa_float_round_mode_16_64 0
		.amdhsa_float_denorm_mode_32 3
		.amdhsa_float_denorm_mode_16_64 3
		.amdhsa_dx10_clamp 1
		.amdhsa_ieee_mode 1
		.amdhsa_fp16_overflow 0
		.amdhsa_workgroup_processor_mode 1
		.amdhsa_memory_ordered 1
		.amdhsa_forward_progress 0
		.amdhsa_shared_vgpr_count 0
		.amdhsa_exception_fp_ieee_invalid_op 0
		.amdhsa_exception_fp_denorm_src 0
		.amdhsa_exception_fp_ieee_div_zero 0
		.amdhsa_exception_fp_ieee_overflow 0
		.amdhsa_exception_fp_ieee_underflow 0
		.amdhsa_exception_fp_ieee_inexact 0
		.amdhsa_exception_int_div_zero 0
	.end_amdhsa_kernel
	.section	.text._ZN7ck_tileL11flush_cacheEv,"axG",@progbits,_ZN7ck_tileL11flush_cacheEv,comdat
.Lfunc_end0:
	.size	_ZN7ck_tileL11flush_cacheEv, .Lfunc_end0-_ZN7ck_tileL11flush_cacheEv
                                        ; -- End function
	.section	.AMDGPU.csdata,"",@progbits
; Kernel info:
; codeLenInByte = 344
; NumSgprs: 0
; NumVgprs: 0
; ScratchSize: 0
; MemoryBound: 0
; FloatMode: 240
; IeeeMode: 1
; LDSByteSize: 0 bytes/workgroup (compile time only)
; SGPRBlocks: 0
; VGPRBlocks: 0
; NumSGPRsForWavesPerEU: 1
; NumVGPRsForWavesPerEU: 1
; Occupancy: 16
; WaveLimiterHint : 0
; COMPUTE_PGM_RSRC2:SCRATCH_EN: 0
; COMPUTE_PGM_RSRC2:USER_SGPR: 15
; COMPUTE_PGM_RSRC2:TRAP_HANDLER: 0
; COMPUTE_PGM_RSRC2:TGID_X_EN: 1
; COMPUTE_PGM_RSRC2:TGID_Y_EN: 0
; COMPUTE_PGM_RSRC2:TGID_Z_EN: 0
; COMPUTE_PGM_RSRC2:TIDIG_COMP_CNT: 0
	.section	.text._ZN5aiter24topk_softplus_kernel_optIffLi64ELb1ELi1EEEvPKT_PKT0_PfPimiif,"axG",@progbits,_ZN5aiter24topk_softplus_kernel_optIffLi64ELb1ELi1EEEvPKT_PKT0_PfPimiif,comdat
	.protected	_ZN5aiter24topk_softplus_kernel_optIffLi64ELb1ELi1EEEvPKT_PKT0_PfPimiif ; -- Begin function _ZN5aiter24topk_softplus_kernel_optIffLi64ELb1ELi1EEEvPKT_PKT0_PfPimiif
	.globl	_ZN5aiter24topk_softplus_kernel_optIffLi64ELb1ELi1EEEvPKT_PKT0_PfPimiif
	.p2align	8
	.type	_ZN5aiter24topk_softplus_kernel_optIffLi64ELb1ELi1EEEvPKT_PKT0_PfPimiif,@function
_ZN5aiter24topk_softplus_kernel_optIffLi64ELb1ELi1EEEvPKT_PKT0_PfPimiif: ; @_ZN5aiter24topk_softplus_kernel_optIffLi64ELb1ELi1EEEvPKT_PKT0_PfPimiif
; %bb.0:
	s_load_b128 s[4:7], s[0:1], 0x0
	s_lshl_b32 s2, s15, 6
	v_lshlrev_b32_e32 v3, 2, v0
	s_ashr_i32 s3, s2, 31
	s_delay_alu instid0(SALU_CYCLE_1)
	s_lshl_b64 s[2:3], s[2:3], 2
	s_waitcnt lgkmcnt(0)
	s_add_u32 s4, s4, s2
	s_addc_u32 s5, s5, s3
	s_cmp_lg_u64 s[6:7], 0
	global_load_b32 v1, v3, s[4:5]
	s_cselect_b32 s2, -1, 0
	s_waitcnt vmcnt(0)
	v_mul_f32_e32 v2, 0xbfb8aa3b, v1
	s_delay_alu instid0(VALU_DEP_1) | instskip(SKIP_1) | instid1(VALU_DEP_1)
	v_cmp_gt_f32_e32 vcc_lo, 0xc2fc0000, v2
	v_cndmask_b32_e64 v2, 0, 0x42800000, vcc_lo
	v_fmac_f32_e32 v2, 0xbfb8aa3b, v1
	s_delay_alu instid0(VALU_DEP_1) | instskip(SKIP_4) | instid1(VALU_DEP_1)
	v_exp_f32_e32 v1, v2
	v_cndmask_b32_e64 v2, 1.0, 0x1f800000, vcc_lo
	s_and_b32 vcc_lo, exec_lo, s2
	s_waitcnt_depctr 0xfff
	v_fma_f32 v1, v1, v2, 1.0
	v_rcp_f32_e32 v10, v1
	v_add_co_u32 v1, s3, s4, v3
	s_delay_alu instid0(VALU_DEP_1)
	v_add_co_ci_u32_e64 v2, null, s5, 0, s3
	s_waitcnt_depctr 0xfff
	v_mov_b32_e32 v8, v10
	s_cbranch_vccz .LBB1_2
; %bb.1:
	global_load_b32 v4, v3, s[6:7]
	s_waitcnt vmcnt(0)
	v_add_f32_e32 v8, v10, v4
.LBB1_2:
	global_load_b32 v1, v[1:2], off offset:128
	s_waitcnt vmcnt(0)
	v_mul_f32_e32 v2, 0xbfb8aa3b, v1
	s_delay_alu instid0(VALU_DEP_1) | instskip(SKIP_3) | instid1(VALU_DEP_2)
	v_cmp_gt_f32_e32 vcc_lo, 0xc2fc0000, v2
	v_cndmask_b32_e64 v4, 0, 0x42800000, vcc_lo
	v_cndmask_b32_e64 v2, 1.0, 0x1f800000, vcc_lo
	s_and_not1_b32 vcc_lo, exec_lo, s2
	v_fmac_f32_e32 v4, 0xbfb8aa3b, v1
	s_delay_alu instid0(VALU_DEP_1) | instskip(SKIP_2) | instid1(VALU_DEP_1)
	v_exp_f32_e32 v1, v4
	s_waitcnt_depctr 0xfff
	v_fma_f32 v1, v1, v2, 1.0
	v_rcp_f32_e32 v11, v1
	s_waitcnt_depctr 0xfff
	v_mov_b32_e32 v9, v11
	s_cbranch_vccnz .LBB1_4
; %bb.3:
	global_load_b32 v1, v3, s[6:7] offset:128
	s_waitcnt vmcnt(0)
	v_add_f32_e32 v9, v11, v1
.LBB1_4:
	s_clause 0x1
	s_load_b32 s8, s[0:1], 0x28
	s_load_b128 s[4:7], s[0:1], 0x10
	v_dual_mov_b32 v4, 0 :: v_dual_mov_b32 v1, 0
	v_mov_b32_e32 v2, 0
	s_waitcnt lgkmcnt(0)
	s_cmp_gt_i32 s8, 0
	s_cbranch_scc0 .LBB1_7
; %bb.5:
	v_cmp_lt_f32_e32 vcc_lo, v8, v9
	v_add_nc_u32_e32 v1, 32, v0
	s_mov_b32 s9, 0x76543210
	s_mov_b32 s10, s8
	v_dual_mov_b32 v4, 0 :: v_dual_cndmask_b32 v7, v9, v8
	s_delay_alu instid0(VALU_DEP_2)
	v_dual_cndmask_b32 v8, v8, v9 :: v_dual_cndmask_b32 v5, v1, v0
	v_dual_cndmask_b32 v6, v0, v1 :: v_dual_cndmask_b32 v9, v11, v10
	v_dual_cndmask_b32 v10, v10, v11 :: v_dual_mov_b32 v11, 0
	v_dual_mov_b32 v12, v0 :: v_dual_mov_b32 v1, 0
	v_mov_b32_e32 v2, 0
.LBB1_6:                                ; =>This Inner Loop Header: Depth=1
	s_delay_alu instid0(VALU_DEP_3) | instskip(SKIP_2) | instid1(VALU_DEP_1)
	v_cmp_eq_u32_e32 vcc_lo, 1, v11
	v_cmp_gt_u32_e64 s2, 2, v11
	v_dual_cndmask_b32 v13, v8, v7 :: v_dual_cndmask_b32 v14, v6, v5
	v_cndmask_b32_e64 v13, 0xff800000, v13, s2
	;;#ASMSTART
	v_max_f32 v16, v13, v13 quad_perm:[1,0,3,2] row_mask:0xf bank_mask:0xf bound_ctrl:1
	;;#ASMEND
	;;#ASMSTART
	v_max_f32 v17, v16, v16 quad_perm:[2,3,0,1] row_mask:0xf bank_mask:0xf bound_ctrl:1
	;;#ASMEND
	;;#ASMSTART
	v_max_f32 v16, v17, v17 row_half_mirror row_mask:0xf bank_mask:0xf bound_ctrl:1
	;;#ASMEND
	;;#ASMSTART
	v_max_f32 v17, v16, v16 row_mirror row_mask:0xf bank_mask:0xf bound_ctrl:1
	;;#ASMEND
	v_permlanex16_b32 v16, v17, s9, 0xfedcba98 op_sel:[1,1]
	v_max_f32_e32 v17, v17, v17
	v_cndmask_b32_e64 v15, 0, v14, s2
	s_delay_alu instid0(VALU_DEP_3) | instskip(NEXT) | instid1(VALU_DEP_1)
	v_max_f32_e32 v16, v16, v16
	v_max_f32_e32 v16, v17, v16
	s_delay_alu instid0(VALU_DEP_1) | instskip(SKIP_1) | instid1(VALU_DEP_2)
	v_cmp_eq_f32_e64 s3, v13, v16
	v_cndmask_b32_e32 v13, v10, v9, vcc_lo
	s_ctz_i32_b32 s11, s3
	s_cmp_lg_u32 s3, 0
	s_cselect_b32 s3, s11, 0
	s_add_i32 s10, s10, -1
	v_readlane_b32 s3, v15, s3
	s_delay_alu instid0(VALU_DEP_1)
	v_cmp_eq_u32_e32 vcc_lo, s3, v14
	s_and_b32 vcc_lo, s2, vcc_lo
	s_and_b32 s2, s3, 31
	v_cndmask_b32_e32 v13, 0, v13, vcc_lo
	v_add_co_ci_u32_e32 v11, vcc_lo, 0, v11, vcc_lo
	s_cmp_eq_u32 s10, 0
	s_delay_alu instid0(VALU_DEP_2) | instskip(SKIP_2) | instid1(VALU_DEP_3)
	v_readlane_b32 s11, v13, s2
	v_cmp_eq_u32_e64 s2, 0, v12
	v_add_nc_u32_e32 v12, -1, v12
	v_add_f32_e32 v4, s11, v4
	s_delay_alu instid0(VALU_DEP_3)
	v_cndmask_b32_e64 v2, v2, s11, s2
	v_cndmask_b32_e64 v1, v1, s3, s2
	s_cbranch_scc0 .LBB1_6
.LBB1_7:
	s_mov_b32 s2, exec_lo
	v_cmpx_gt_i32_e64 s8, v0
	s_cbranch_execz .LBB1_9
; %bb.8:
	s_load_b32 s2, s[0:1], 0x30
	v_max_f32_e32 v0, v4, v4
	s_load_b64 s[0:1], s[0:1], 0x20
	s_ashr_i32 s3, s15, 31
	s_delay_alu instid0(VALU_DEP_1) | instskip(SKIP_1) | instid1(VALU_DEP_1)
	v_max_f32_e32 v0, 0x1e3ce508, v0
	s_waitcnt lgkmcnt(0)
	v_div_scale_f32 v4, null, v0, v0, s2
	v_div_scale_f32 v7, vcc_lo, s2, v0, s2
	s_mul_i32 s1, s15, s1
	s_delay_alu instid0(VALU_DEP_2)
	v_rcp_f32_e32 v5, v4
	s_mul_hi_u32 s8, s15, s0
	s_mul_i32 s3, s3, s0
	s_add_i32 s1, s8, s1
	s_mul_i32 s0, s15, s0
	s_add_i32 s1, s1, s3
	s_delay_alu instid0(SALU_CYCLE_1) | instskip(SKIP_2) | instid1(VALU_DEP_1)
	s_lshl_b64 s[0:1], s[0:1], 2
	s_waitcnt_depctr 0xfff
	v_fma_f32 v6, -v4, v5, 1.0
	v_fmac_f32_e32 v5, v6, v5
	s_delay_alu instid0(VALU_DEP_1) | instskip(NEXT) | instid1(VALU_DEP_1)
	v_mul_f32_e32 v6, v7, v5
	v_fma_f32 v8, -v4, v6, v7
	s_delay_alu instid0(VALU_DEP_1) | instskip(NEXT) | instid1(VALU_DEP_1)
	v_fmac_f32_e32 v6, v8, v5
	v_fma_f32 v4, -v4, v6, v7
	s_delay_alu instid0(VALU_DEP_1) | instskip(NEXT) | instid1(VALU_DEP_1)
	v_div_fmas_f32 v4, v4, v5, v6
	v_div_fixup_f32 v0, v4, v0, s2
	s_add_u32 s2, s4, s0
	s_addc_u32 s3, s5, s1
	s_add_u32 s0, s6, s0
	s_addc_u32 s1, s7, s1
	v_mul_f32_e32 v0, v2, v0
	s_clause 0x1
	global_store_b32 v3, v0, s[2:3]
	global_store_b32 v3, v1, s[0:1]
.LBB1_9:
	s_nop 0
	s_sendmsg sendmsg(MSG_DEALLOC_VGPRS)
	s_endpgm
	.section	.rodata,"a",@progbits
	.p2align	6, 0x0
	.amdhsa_kernel _ZN5aiter24topk_softplus_kernel_optIffLi64ELb1ELi1EEEvPKT_PKT0_PfPimiif
		.amdhsa_group_segment_fixed_size 0
		.amdhsa_private_segment_fixed_size 0
		.amdhsa_kernarg_size 52
		.amdhsa_user_sgpr_count 15
		.amdhsa_user_sgpr_dispatch_ptr 0
		.amdhsa_user_sgpr_queue_ptr 0
		.amdhsa_user_sgpr_kernarg_segment_ptr 1
		.amdhsa_user_sgpr_dispatch_id 0
		.amdhsa_user_sgpr_private_segment_size 0
		.amdhsa_wavefront_size32 1
		.amdhsa_uses_dynamic_stack 0
		.amdhsa_enable_private_segment 0
		.amdhsa_system_sgpr_workgroup_id_x 1
		.amdhsa_system_sgpr_workgroup_id_y 0
		.amdhsa_system_sgpr_workgroup_id_z 0
		.amdhsa_system_sgpr_workgroup_info 0
		.amdhsa_system_vgpr_workitem_id 0
		.amdhsa_next_free_vgpr 18
		.amdhsa_next_free_sgpr 16
		.amdhsa_reserve_vcc 1
		.amdhsa_float_round_mode_32 0
		.amdhsa_float_round_mode_16_64 0
		.amdhsa_float_denorm_mode_32 3
		.amdhsa_float_denorm_mode_16_64 3
		.amdhsa_dx10_clamp 1
		.amdhsa_ieee_mode 1
		.amdhsa_fp16_overflow 0
		.amdhsa_workgroup_processor_mode 1
		.amdhsa_memory_ordered 1
		.amdhsa_forward_progress 0
		.amdhsa_shared_vgpr_count 0
		.amdhsa_exception_fp_ieee_invalid_op 0
		.amdhsa_exception_fp_denorm_src 0
		.amdhsa_exception_fp_ieee_div_zero 0
		.amdhsa_exception_fp_ieee_overflow 0
		.amdhsa_exception_fp_ieee_underflow 0
		.amdhsa_exception_fp_ieee_inexact 0
		.amdhsa_exception_int_div_zero 0
	.end_amdhsa_kernel
	.section	.text._ZN5aiter24topk_softplus_kernel_optIffLi64ELb1ELi1EEEvPKT_PKT0_PfPimiif,"axG",@progbits,_ZN5aiter24topk_softplus_kernel_optIffLi64ELb1ELi1EEEvPKT_PKT0_PfPimiif,comdat
.Lfunc_end1:
	.size	_ZN5aiter24topk_softplus_kernel_optIffLi64ELb1ELi1EEEvPKT_PKT0_PfPimiif, .Lfunc_end1-_ZN5aiter24topk_softplus_kernel_optIffLi64ELb1ELi1EEEvPKT_PKT0_PfPimiif
                                        ; -- End function
	.section	.AMDGPU.csdata,"",@progbits
; Kernel info:
; codeLenInByte = 924
; NumSgprs: 18
; NumVgprs: 18
; ScratchSize: 0
; MemoryBound: 0
; FloatMode: 240
; IeeeMode: 1
; LDSByteSize: 0 bytes/workgroup (compile time only)
; SGPRBlocks: 2
; VGPRBlocks: 2
; NumSGPRsForWavesPerEU: 18
; NumVGPRsForWavesPerEU: 18
; Occupancy: 16
; WaveLimiterHint : 0
; COMPUTE_PGM_RSRC2:SCRATCH_EN: 0
; COMPUTE_PGM_RSRC2:USER_SGPR: 15
; COMPUTE_PGM_RSRC2:TRAP_HANDLER: 0
; COMPUTE_PGM_RSRC2:TGID_X_EN: 1
; COMPUTE_PGM_RSRC2:TGID_Y_EN: 0
; COMPUTE_PGM_RSRC2:TGID_Z_EN: 0
; COMPUTE_PGM_RSRC2:TIDIG_COMP_CNT: 0
	.section	.text._ZN5aiter24topk_softplus_kernel_optIffLi64ELb0ELi1EEEvPKT_PKT0_PfPimiif,"axG",@progbits,_ZN5aiter24topk_softplus_kernel_optIffLi64ELb0ELi1EEEvPKT_PKT0_PfPimiif,comdat
	.protected	_ZN5aiter24topk_softplus_kernel_optIffLi64ELb0ELi1EEEvPKT_PKT0_PfPimiif ; -- Begin function _ZN5aiter24topk_softplus_kernel_optIffLi64ELb0ELi1EEEvPKT_PKT0_PfPimiif
	.globl	_ZN5aiter24topk_softplus_kernel_optIffLi64ELb0ELi1EEEvPKT_PKT0_PfPimiif
	.p2align	8
	.type	_ZN5aiter24topk_softplus_kernel_optIffLi64ELb0ELi1EEEvPKT_PKT0_PfPimiif,@function
_ZN5aiter24topk_softplus_kernel_optIffLi64ELb0ELi1EEEvPKT_PKT0_PfPimiif: ; @_ZN5aiter24topk_softplus_kernel_optIffLi64ELb0ELi1EEEvPKT_PKT0_PfPimiif
; %bb.0:
	s_load_b128 s[4:7], s[0:1], 0x0
	s_lshl_b32 s2, s15, 6
	v_lshlrev_b32_e32 v3, 2, v0
	s_ashr_i32 s3, s2, 31
	s_delay_alu instid0(SALU_CYCLE_1)
	s_lshl_b64 s[2:3], s[2:3], 2
	s_waitcnt lgkmcnt(0)
	s_add_u32 s4, s4, s2
	s_addc_u32 s5, s5, s3
	s_cmp_lg_u64 s[6:7], 0
	global_load_b32 v1, v3, s[4:5]
	s_cselect_b32 s2, -1, 0
	s_waitcnt vmcnt(0)
	v_mul_f32_e32 v2, 0xbfb8aa3b, v1
	s_delay_alu instid0(VALU_DEP_1) | instskip(SKIP_1) | instid1(VALU_DEP_1)
	v_cmp_gt_f32_e32 vcc_lo, 0xc2fc0000, v2
	v_cndmask_b32_e64 v2, 0, 0x42800000, vcc_lo
	v_fmac_f32_e32 v2, 0xbfb8aa3b, v1
	s_delay_alu instid0(VALU_DEP_1) | instskip(SKIP_4) | instid1(VALU_DEP_1)
	v_exp_f32_e32 v1, v2
	v_cndmask_b32_e64 v2, 1.0, 0x1f800000, vcc_lo
	s_and_b32 vcc_lo, exec_lo, s2
	s_waitcnt_depctr 0xfff
	v_fma_f32 v1, v1, v2, 1.0
	v_rcp_f32_e32 v9, v1
	v_add_co_u32 v1, s3, s4, v3
	s_delay_alu instid0(VALU_DEP_1)
	v_add_co_ci_u32_e64 v2, null, s5, 0, s3
	s_waitcnt_depctr 0xfff
	v_mov_b32_e32 v7, v9
	s_cbranch_vccz .LBB2_2
; %bb.1:
	global_load_b32 v4, v3, s[6:7]
	s_waitcnt vmcnt(0)
	v_add_f32_e32 v7, v9, v4
.LBB2_2:
	global_load_b32 v1, v[1:2], off offset:128
	s_waitcnt vmcnt(0)
	v_mul_f32_e32 v2, 0xbfb8aa3b, v1
	s_delay_alu instid0(VALU_DEP_1) | instskip(SKIP_3) | instid1(VALU_DEP_2)
	v_cmp_gt_f32_e32 vcc_lo, 0xc2fc0000, v2
	v_cndmask_b32_e64 v4, 0, 0x42800000, vcc_lo
	v_cndmask_b32_e64 v2, 1.0, 0x1f800000, vcc_lo
	s_and_not1_b32 vcc_lo, exec_lo, s2
	v_fmac_f32_e32 v4, 0xbfb8aa3b, v1
	s_delay_alu instid0(VALU_DEP_1) | instskip(SKIP_2) | instid1(VALU_DEP_1)
	v_exp_f32_e32 v1, v4
	s_waitcnt_depctr 0xfff
	v_fma_f32 v1, v1, v2, 1.0
	v_rcp_f32_e32 v2, v1
	s_waitcnt_depctr 0xfff
	v_mov_b32_e32 v8, v2
	s_cbranch_vccnz .LBB2_4
; %bb.3:
	global_load_b32 v1, v3, s[6:7] offset:128
	s_waitcnt vmcnt(0)
	v_add_f32_e32 v8, v2, v1
.LBB2_4:
	s_clause 0x1
	s_load_b32 s8, s[0:1], 0x28
	s_load_b128 s[4:7], s[0:1], 0x10
	v_mov_b32_e32 v1, 0
	s_waitcnt lgkmcnt(0)
	s_cmp_gt_i32 s8, 0
	s_cbranch_scc0 .LBB2_10
; %bb.5:
	v_cmp_lt_f32_e32 vcc_lo, v7, v8
	v_add_nc_u32_e32 v1, 32, v0
	s_mov_b32 s9, 0x76543210
	s_mov_b32 s10, s8
	v_mov_b32_e32 v10, 0
	v_cndmask_b32_e32 v6, v8, v7, vcc_lo
	v_dual_cndmask_b32 v4, v1, v0 :: v_dual_cndmask_b32 v5, v0, v1
	v_dual_cndmask_b32 v7, v7, v8 :: v_dual_cndmask_b32 v8, v2, v9
	v_dual_cndmask_b32 v9, v9, v2 :: v_dual_mov_b32 v2, 0
	v_mov_b32_e32 v11, v0
	v_mov_b32_e32 v1, 0
.LBB2_6:                                ; =>This Inner Loop Header: Depth=1
	v_cmp_eq_u32_e32 vcc_lo, 1, v10
	v_cmp_gt_u32_e64 s2, 2, v10
	v_cndmask_b32_e32 v12, v7, v6, vcc_lo
	s_delay_alu instid0(VALU_DEP_1)
	v_cndmask_b32_e64 v12, 0xff800000, v12, s2
	;;#ASMSTART
	v_max_f32 v13, v12, v12 quad_perm:[1,0,3,2] row_mask:0xf bank_mask:0xf bound_ctrl:1
	;;#ASMEND
	;;#ASMSTART
	v_max_f32 v14, v13, v13 quad_perm:[2,3,0,1] row_mask:0xf bank_mask:0xf bound_ctrl:1
	;;#ASMEND
	;;#ASMSTART
	v_max_f32 v13, v14, v14 row_half_mirror row_mask:0xf bank_mask:0xf bound_ctrl:1
	;;#ASMEND
	;;#ASMSTART
	v_max_f32 v14, v13, v13 row_mirror row_mask:0xf bank_mask:0xf bound_ctrl:1
	;;#ASMEND
	v_permlanex16_b32 v13, v14, s9, 0xfedcba98 op_sel:[1,1]
	s_delay_alu instid0(VALU_DEP_1) | instskip(NEXT) | instid1(VALU_DEP_1)
	v_dual_max_f32 v14, v14, v14 :: v_dual_max_f32 v13, v13, v13
	v_dual_max_f32 v13, v14, v13 :: v_dual_cndmask_b32 v14, v5, v4
	s_delay_alu instid0(VALU_DEP_1) | instskip(NEXT) | instid1(VALU_DEP_2)
	v_cmp_eq_f32_e64 s3, v12, v13
	v_cndmask_b32_e64 v12, 0, v14, s2
	s_delay_alu instid0(VALU_DEP_2)
	s_ctz_i32_b32 s11, s3
	s_cmp_lg_u32 s3, 0
	s_cselect_b32 s3, s11, 0
	s_add_i32 s10, s10, -1
	v_readlane_b32 s3, v12, s3
	v_cndmask_b32_e32 v12, v9, v8, vcc_lo
	s_delay_alu instid0(VALU_DEP_2) | instskip(SKIP_2) | instid1(VALU_DEP_2)
	v_cmp_eq_u32_e32 vcc_lo, s3, v14
	s_and_b32 vcc_lo, s2, vcc_lo
	s_and_b32 s2, s3, 31
	v_cndmask_b32_e32 v12, 0, v12, vcc_lo
	v_add_co_ci_u32_e32 v10, vcc_lo, 0, v10, vcc_lo
	s_cmp_eq_u32 s10, 0
	s_delay_alu instid0(VALU_DEP_2) | instskip(SKIP_2) | instid1(VALU_DEP_2)
	v_readlane_b32 s11, v12, s2
	v_cmp_eq_u32_e64 s2, 0, v11
	v_add_nc_u32_e32 v11, -1, v11
	v_cndmask_b32_e64 v2, v2, s11, s2
	v_cndmask_b32_e64 v1, v1, s3, s2
	s_cbranch_scc0 .LBB2_6
; %bb.7:
	s_mov_b32 s2, exec_lo
	v_cmpx_gt_i32_e64 s8, v0
	s_cbranch_execz .LBB2_9
.LBB2_8:
	s_clause 0x1
	s_load_b64 s[2:3], s[0:1], 0x20
	s_load_b32 s8, s[0:1], 0x30
	s_ashr_i32 s0, s15, 31
	s_waitcnt lgkmcnt(0)
	s_mul_i32 s1, s15, s3
	s_mul_hi_u32 s3, s15, s2
	s_mul_i32 s0, s0, s2
	s_add_i32 s1, s3, s1
	v_mul_f32_e32 v0, s8, v2
	s_add_i32 s1, s1, s0
	s_mul_i32 s0, s15, s2
	s_delay_alu instid0(SALU_CYCLE_1) | instskip(NEXT) | instid1(SALU_CYCLE_1)
	s_lshl_b64 s[0:1], s[0:1], 2
	s_add_u32 s2, s4, s0
	s_addc_u32 s3, s5, s1
	s_add_u32 s0, s6, s0
	s_addc_u32 s1, s7, s1
	s_clause 0x1
	global_store_b32 v3, v0, s[2:3]
	global_store_b32 v3, v1, s[0:1]
.LBB2_9:
	s_nop 0
	s_sendmsg sendmsg(MSG_DEALLOC_VGPRS)
	s_endpgm
.LBB2_10:
	v_mov_b32_e32 v2, 0
	s_mov_b32 s2, exec_lo
	v_cmpx_gt_i32_e64 s8, v0
	s_cbranch_execnz .LBB2_8
	s_branch .LBB2_9
	.section	.rodata,"a",@progbits
	.p2align	6, 0x0
	.amdhsa_kernel _ZN5aiter24topk_softplus_kernel_optIffLi64ELb0ELi1EEEvPKT_PKT0_PfPimiif
		.amdhsa_group_segment_fixed_size 0
		.amdhsa_private_segment_fixed_size 0
		.amdhsa_kernarg_size 52
		.amdhsa_user_sgpr_count 15
		.amdhsa_user_sgpr_dispatch_ptr 0
		.amdhsa_user_sgpr_queue_ptr 0
		.amdhsa_user_sgpr_kernarg_segment_ptr 1
		.amdhsa_user_sgpr_dispatch_id 0
		.amdhsa_user_sgpr_private_segment_size 0
		.amdhsa_wavefront_size32 1
		.amdhsa_uses_dynamic_stack 0
		.amdhsa_enable_private_segment 0
		.amdhsa_system_sgpr_workgroup_id_x 1
		.amdhsa_system_sgpr_workgroup_id_y 0
		.amdhsa_system_sgpr_workgroup_id_z 0
		.amdhsa_system_sgpr_workgroup_info 0
		.amdhsa_system_vgpr_workitem_id 0
		.amdhsa_next_free_vgpr 15
		.amdhsa_next_free_sgpr 16
		.amdhsa_reserve_vcc 1
		.amdhsa_float_round_mode_32 0
		.amdhsa_float_round_mode_16_64 0
		.amdhsa_float_denorm_mode_32 3
		.amdhsa_float_denorm_mode_16_64 3
		.amdhsa_dx10_clamp 1
		.amdhsa_ieee_mode 1
		.amdhsa_fp16_overflow 0
		.amdhsa_workgroup_processor_mode 1
		.amdhsa_memory_ordered 1
		.amdhsa_forward_progress 0
		.amdhsa_shared_vgpr_count 0
		.amdhsa_exception_fp_ieee_invalid_op 0
		.amdhsa_exception_fp_denorm_src 0
		.amdhsa_exception_fp_ieee_div_zero 0
		.amdhsa_exception_fp_ieee_overflow 0
		.amdhsa_exception_fp_ieee_underflow 0
		.amdhsa_exception_fp_ieee_inexact 0
		.amdhsa_exception_int_div_zero 0
	.end_amdhsa_kernel
	.section	.text._ZN5aiter24topk_softplus_kernel_optIffLi64ELb0ELi1EEEvPKT_PKT0_PfPimiif,"axG",@progbits,_ZN5aiter24topk_softplus_kernel_optIffLi64ELb0ELi1EEEvPKT_PKT0_PfPimiif,comdat
.Lfunc_end2:
	.size	_ZN5aiter24topk_softplus_kernel_optIffLi64ELb0ELi1EEEvPKT_PKT0_PfPimiif, .Lfunc_end2-_ZN5aiter24topk_softplus_kernel_optIffLi64ELb0ELi1EEEvPKT_PKT0_PfPimiif
                                        ; -- End function
	.section	.AMDGPU.csdata,"",@progbits
; Kernel info:
; codeLenInByte = 824
; NumSgprs: 18
; NumVgprs: 15
; ScratchSize: 0
; MemoryBound: 0
; FloatMode: 240
; IeeeMode: 1
; LDSByteSize: 0 bytes/workgroup (compile time only)
; SGPRBlocks: 2
; VGPRBlocks: 1
; NumSGPRsForWavesPerEU: 18
; NumVGPRsForWavesPerEU: 15
; Occupancy: 16
; WaveLimiterHint : 0
; COMPUTE_PGM_RSRC2:SCRATCH_EN: 0
; COMPUTE_PGM_RSRC2:USER_SGPR: 15
; COMPUTE_PGM_RSRC2:TRAP_HANDLER: 0
; COMPUTE_PGM_RSRC2:TGID_X_EN: 1
; COMPUTE_PGM_RSRC2:TGID_Y_EN: 0
; COMPUTE_PGM_RSRC2:TGID_Z_EN: 0
; COMPUTE_PGM_RSRC2:TIDIG_COMP_CNT: 0
	.section	.text._ZN5aiter24topk_softplus_kernel_optIffLi128ELb1ELi1EEEvPKT_PKT0_PfPimiif,"axG",@progbits,_ZN5aiter24topk_softplus_kernel_optIffLi128ELb1ELi1EEEvPKT_PKT0_PfPimiif,comdat
	.protected	_ZN5aiter24topk_softplus_kernel_optIffLi128ELb1ELi1EEEvPKT_PKT0_PfPimiif ; -- Begin function _ZN5aiter24topk_softplus_kernel_optIffLi128ELb1ELi1EEEvPKT_PKT0_PfPimiif
	.globl	_ZN5aiter24topk_softplus_kernel_optIffLi128ELb1ELi1EEEvPKT_PKT0_PfPimiif
	.p2align	8
	.type	_ZN5aiter24topk_softplus_kernel_optIffLi128ELb1ELi1EEEvPKT_PKT0_PfPimiif,@function
_ZN5aiter24topk_softplus_kernel_optIffLi128ELb1ELi1EEEvPKT_PKT0_PfPimiif: ; @_ZN5aiter24topk_softplus_kernel_optIffLi128ELb1ELi1EEEvPKT_PKT0_PfPimiif
; %bb.0:
	s_load_b128 s[4:7], s[0:1], 0x0
	s_lshl_b32 s2, s15, 7
	v_lshlrev_b32_e32 v3, 2, v0
	s_ashr_i32 s3, s2, 31
	s_delay_alu instid0(SALU_CYCLE_1)
	s_lshl_b64 s[2:3], s[2:3], 2
	s_waitcnt lgkmcnt(0)
	s_add_u32 s4, s4, s2
	s_addc_u32 s5, s5, s3
	s_cmp_lg_u64 s[6:7], 0
	global_load_b32 v1, v3, s[4:5]
	s_cselect_b32 s2, -1, 0
	s_waitcnt vmcnt(0)
	v_mul_f32_e32 v2, 0xbfb8aa3b, v1
	s_delay_alu instid0(VALU_DEP_1) | instskip(SKIP_1) | instid1(VALU_DEP_1)
	v_cmp_gt_f32_e32 vcc_lo, 0xc2fc0000, v2
	v_cndmask_b32_e64 v2, 0, 0x42800000, vcc_lo
	v_fmac_f32_e32 v2, 0xbfb8aa3b, v1
	s_delay_alu instid0(VALU_DEP_1) | instskip(SKIP_4) | instid1(VALU_DEP_1)
	v_exp_f32_e32 v1, v2
	v_cndmask_b32_e64 v2, 1.0, 0x1f800000, vcc_lo
	s_and_b32 vcc_lo, exec_lo, s2
	s_waitcnt_depctr 0xfff
	v_fma_f32 v1, v1, v2, 1.0
	v_rcp_f32_e32 v6, v1
	v_add_co_u32 v1, s3, s4, v3
	s_delay_alu instid0(VALU_DEP_1)
	v_add_co_ci_u32_e64 v2, null, s5, 0, s3
	s_waitcnt_depctr 0xfff
	v_mov_b32_e32 v11, v6
	s_cbranch_vccz .LBB3_2
; %bb.1:
	global_load_b32 v4, v3, s[6:7]
	s_waitcnt vmcnt(0)
	v_add_f32_e32 v11, v6, v4
.LBB3_2:
	global_load_b32 v4, v[1:2], off offset:128
	s_waitcnt vmcnt(0)
	v_mul_f32_e32 v5, 0xbfb8aa3b, v4
	s_delay_alu instid0(VALU_DEP_1) | instskip(SKIP_3) | instid1(VALU_DEP_2)
	v_cmp_gt_f32_e32 vcc_lo, 0xc2fc0000, v5
	v_cndmask_b32_e64 v7, 0, 0x42800000, vcc_lo
	v_cndmask_b32_e64 v5, 1.0, 0x1f800000, vcc_lo
	s_and_not1_b32 vcc_lo, exec_lo, s2
	v_fmac_f32_e32 v7, 0xbfb8aa3b, v4
	s_delay_alu instid0(VALU_DEP_1) | instskip(SKIP_2) | instid1(VALU_DEP_1)
	v_exp_f32_e32 v4, v7
	s_waitcnt_depctr 0xfff
	v_fma_f32 v4, v4, v5, 1.0
	v_rcp_f32_e32 v9, v4
	v_cndmask_b32_e64 v4, 0, 1, s2
	s_waitcnt_depctr 0xfff
	v_mov_b32_e32 v13, v9
	s_cbranch_vccnz .LBB3_4
; %bb.3:
	global_load_b32 v5, v3, s[6:7] offset:128
	s_waitcnt vmcnt(0)
	v_add_f32_e32 v13, v9, v5
.LBB3_4:
	global_load_b32 v5, v[1:2], off offset:256
	s_waitcnt vmcnt(0)
	v_mul_f32_e32 v7, 0xbfb8aa3b, v5
	s_delay_alu instid0(VALU_DEP_1) | instskip(SKIP_3) | instid1(VALU_DEP_3)
	v_cmp_gt_f32_e32 vcc_lo, 0xc2fc0000, v7
	v_cndmask_b32_e64 v8, 0, 0x42800000, vcc_lo
	v_cndmask_b32_e64 v7, 1.0, 0x1f800000, vcc_lo
	v_cmp_ne_u32_e32 vcc_lo, 1, v4
	v_fmac_f32_e32 v8, 0xbfb8aa3b, v5
	s_and_b32 vcc_lo, exec_lo, vcc_lo
	s_delay_alu instid0(VALU_DEP_1) | instskip(SKIP_2) | instid1(VALU_DEP_1)
	v_exp_f32_e32 v5, v8
	s_waitcnt_depctr 0xfff
	v_fma_f32 v5, v5, v7, 1.0
	v_rcp_f32_e32 v5, v5
	s_waitcnt_depctr 0xfff
	v_mov_b32_e32 v7, v5
	s_cbranch_vccnz .LBB3_6
; %bb.5:
	global_load_b32 v7, v3, s[6:7] offset:256
	s_waitcnt vmcnt(0)
	v_add_f32_e32 v7, v5, v7
.LBB3_6:
	global_load_b32 v1, v[1:2], off offset:384
	s_waitcnt vmcnt(0)
	v_mul_f32_e32 v2, 0xbfb8aa3b, v1
	s_delay_alu instid0(VALU_DEP_1) | instskip(SKIP_3) | instid1(VALU_DEP_3)
	v_cmp_gt_f32_e32 vcc_lo, 0xc2fc0000, v2
	v_cndmask_b32_e64 v8, 0, 0x42800000, vcc_lo
	v_cndmask_b32_e64 v2, 1.0, 0x1f800000, vcc_lo
	v_cmp_ne_u32_e32 vcc_lo, 1, v4
	v_fmac_f32_e32 v8, 0xbfb8aa3b, v1
	s_and_b32 vcc_lo, exec_lo, vcc_lo
	s_delay_alu instid0(VALU_DEP_1) | instskip(SKIP_2) | instid1(VALU_DEP_1)
	v_exp_f32_e32 v1, v8
	s_waitcnt_depctr 0xfff
	v_fma_f32 v1, v1, v2, 1.0
	v_rcp_f32_e32 v1, v1
	s_waitcnt_depctr 0xfff
	v_mov_b32_e32 v2, v1
	s_cbranch_vccnz .LBB3_8
; %bb.7:
	global_load_b32 v2, v3, s[6:7] offset:384
	s_waitcnt vmcnt(0)
	v_add_f32_e32 v2, v1, v2
.LBB3_8:
	v_cmp_lt_f32_e32 vcc_lo, v11, v13
	v_add_nc_u32_e32 v12, 32, v0
	v_add_nc_u32_e32 v14, 64, v0
	v_dual_mov_b32 v15, v7 :: v_dual_add_nc_u32 v4, 0x60, v0
	v_cndmask_b32_e32 v8, v9, v6, vcc_lo
	v_dual_cndmask_b32 v6, v6, v9 :: v_dual_cndmask_b32 v9, v13, v11
	v_cndmask_b32_e32 v10, v12, v0, vcc_lo
	v_dual_cndmask_b32 v12, v0, v12 :: v_dual_cndmask_b32 v11, v11, v13
	s_mov_b32 s2, exec_lo
	v_cmpx_lt_f32_e32 v7, v2
	s_xor_b32 s2, exec_lo, s2
; %bb.9:
	v_dual_mov_b32 v13, v5 :: v_dual_mov_b32 v16, v7
	v_mov_b32_e32 v15, v14
	v_swap_b32 v5, v1
	v_swap_b32 v14, v4
	v_mov_b32_e32 v7, v2
	v_dual_mov_b32 v15, v2 :: v_dual_mov_b32 v2, v16
; %bb.10:
	s_or_b32 exec_lo, exec_lo, s2
	s_delay_alu instid0(VALU_DEP_2)
	v_cmp_lt_f32_e32 vcc_lo, v11, v7
	s_mov_b32 s2, exec_lo
	v_dual_cndmask_b32 v16, v5, v6 :: v_dual_cndmask_b32 v5, v6, v5
	v_dual_cndmask_b32 v13, v14, v12 :: v_dual_cndmask_b32 v6, v12, v14
	v_dual_cndmask_b32 v14, v15, v11 :: v_dual_mov_b32 v15, v9
	v_cndmask_b32_e32 v7, v11, v7, vcc_lo
	v_cmpx_lt_f32_e32 v9, v2
; %bb.11:
	v_mov_b32_e32 v17, v9
	v_dual_mov_b32 v11, v8 :: v_dual_mov_b32 v12, v10
	v_swap_b32 v8, v1
	v_swap_b32 v10, v4
	v_mov_b32_e32 v9, v2
	v_dual_mov_b32 v15, v2 :: v_dual_mov_b32 v2, v17
; %bb.12:
	s_or_b32 exec_lo, exec_lo, s2
	s_clause 0x1
	s_load_b32 s8, s[0:1], 0x28
	s_load_b128 s[4:7], s[0:1], 0x10
	v_mov_b32_e32 v11, 0
	s_waitcnt lgkmcnt(0)
	s_cmp_lt_i32 s8, 1
	s_cbranch_scc1 .LBB3_18
; %bb.13:
	v_cmp_lt_f32_e32 vcc_lo, v9, v14
	v_mov_b32_e32 v18, v0
	s_mov_b32 s9, 0x76543210
	s_mov_b32 s10, s8
	v_dual_mov_b32 v11, 0 :: v_dual_cndmask_b32 v12, v13, v10
	v_cndmask_b32_e32 v10, v10, v13, vcc_lo
	v_dual_cndmask_b32 v13, v14, v9 :: v_dual_cndmask_b32 v14, v15, v14
	v_cndmask_b32_e32 v15, v16, v8, vcc_lo
	v_dual_cndmask_b32 v16, v8, v16 :: v_dual_mov_b32 v17, 0
	v_dual_mov_b32 v8, 0 :: v_dual_mov_b32 v9, 0
.LBB3_14:                               ; =>This Inner Loop Header: Depth=1
	s_delay_alu instid0(VALU_DEP_2) | instskip(SKIP_1) | instid1(VALU_DEP_4)
	v_cmp_eq_u32_e32 vcc_lo, 1, v17
	v_cmp_eq_u32_e64 s2, 2, v17
	v_dual_cndmask_b32 v20, v6, v10 :: v_dual_cndmask_b32 v21, v5, v16
	s_delay_alu instid0(VALU_DEP_1) | instskip(SKIP_2) | instid1(VALU_DEP_4)
	v_cndmask_b32_e64 v20, v20, v12, s2
	v_cndmask_b32_e32 v19, v7, v14, vcc_lo
	v_cmp_eq_u32_e32 vcc_lo, 3, v17
	v_cndmask_b32_e64 v21, v21, v15, s2
	s_delay_alu instid0(VALU_DEP_4) | instskip(NEXT) | instid1(VALU_DEP_4)
	v_cndmask_b32_e32 v20, v20, v4, vcc_lo
	v_cndmask_b32_e64 v19, v19, v13, s2
	v_cmp_gt_u32_e64 s2, 4, v17
	s_delay_alu instid0(VALU_DEP_2) | instskip(NEXT) | instid1(VALU_DEP_2)
	v_cndmask_b32_e32 v19, v19, v2, vcc_lo
	v_cndmask_b32_e64 v22, 0, v20, s2
	s_delay_alu instid0(VALU_DEP_2)
	v_cndmask_b32_e64 v19, 0xff800000, v19, s2
	;;#ASMSTART
	v_max_f32 v23, v19, v19 quad_perm:[1,0,3,2] row_mask:0xf bank_mask:0xf bound_ctrl:1
	;;#ASMEND
	;;#ASMSTART
	v_max_f32 v24, v23, v23 quad_perm:[2,3,0,1] row_mask:0xf bank_mask:0xf bound_ctrl:1
	;;#ASMEND
	;;#ASMSTART
	v_max_f32 v23, v24, v24 row_half_mirror row_mask:0xf bank_mask:0xf bound_ctrl:1
	;;#ASMEND
	;;#ASMSTART
	v_max_f32 v24, v23, v23 row_mirror row_mask:0xf bank_mask:0xf bound_ctrl:1
	;;#ASMEND
	v_permlanex16_b32 v23, v24, s9, 0xfedcba98 op_sel:[1,1]
	s_delay_alu instid0(VALU_DEP_1) | instskip(NEXT) | instid1(VALU_DEP_1)
	v_dual_max_f32 v24, v24, v24 :: v_dual_max_f32 v23, v23, v23
	v_max_f32_e32 v23, v24, v23
	s_delay_alu instid0(VALU_DEP_1) | instskip(SKIP_1) | instid1(VALU_DEP_2)
	v_cmp_eq_f32_e64 s3, v19, v23
	v_cndmask_b32_e32 v19, v21, v1, vcc_lo
	s_ctz_i32_b32 s11, s3
	s_cmp_lg_u32 s3, 0
	s_cselect_b32 s3, s11, 0
	s_add_i32 s10, s10, -1
	v_readlane_b32 s3, v22, s3
	s_delay_alu instid0(VALU_DEP_1)
	v_cmp_eq_u32_e32 vcc_lo, s3, v20
	s_and_b32 vcc_lo, s2, vcc_lo
	s_and_b32 s2, s3, 31
	v_cndmask_b32_e32 v19, 0, v19, vcc_lo
	v_add_co_ci_u32_e32 v17, vcc_lo, 0, v17, vcc_lo
	s_cmp_eq_u32 s10, 0
	s_delay_alu instid0(VALU_DEP_2) | instskip(SKIP_1) | instid1(VALU_DEP_2)
	v_readlane_b32 s11, v19, s2
	v_cmp_eq_u32_e64 s2, 0, v18
	v_dual_add_f32 v11, s11, v11 :: v_dual_add_nc_u32 v18, -1, v18
	s_delay_alu instid0(VALU_DEP_2)
	v_cndmask_b32_e64 v9, v9, s11, s2
	v_cndmask_b32_e64 v8, v8, s3, s2
	s_cbranch_scc0 .LBB3_14
; %bb.15:
	s_mov_b32 s2, exec_lo
	v_cmpx_gt_i32_e64 s8, v0
	s_cbranch_execz .LBB3_17
.LBB3_16:
	s_load_b32 s2, s[0:1], 0x30
	v_max_f32_e32 v0, v11, v11
	s_load_b64 s[0:1], s[0:1], 0x20
	s_ashr_i32 s3, s15, 31
	s_delay_alu instid0(VALU_DEP_1) | instskip(SKIP_1) | instid1(VALU_DEP_1)
	v_max_f32_e32 v0, 0x1e3ce508, v0
	s_waitcnt lgkmcnt(0)
	v_div_scale_f32 v1, null, v0, v0, s2
	v_div_scale_f32 v5, vcc_lo, s2, v0, s2
	s_mul_i32 s1, s15, s1
	s_delay_alu instid0(VALU_DEP_2)
	v_rcp_f32_e32 v2, v1
	s_mul_hi_u32 s8, s15, s0
	s_mul_i32 s3, s3, s0
	s_add_i32 s1, s8, s1
	s_mul_i32 s0, s15, s0
	s_add_i32 s1, s1, s3
	s_delay_alu instid0(SALU_CYCLE_1) | instskip(SKIP_2) | instid1(VALU_DEP_1)
	s_lshl_b64 s[0:1], s[0:1], 2
	s_waitcnt_depctr 0xfff
	v_fma_f32 v4, -v1, v2, 1.0
	v_fmac_f32_e32 v2, v4, v2
	s_delay_alu instid0(VALU_DEP_1) | instskip(NEXT) | instid1(VALU_DEP_1)
	v_mul_f32_e32 v4, v5, v2
	v_fma_f32 v6, -v1, v4, v5
	s_delay_alu instid0(VALU_DEP_1) | instskip(NEXT) | instid1(VALU_DEP_1)
	v_fmac_f32_e32 v4, v6, v2
	v_fma_f32 v1, -v1, v4, v5
	s_delay_alu instid0(VALU_DEP_1) | instskip(NEXT) | instid1(VALU_DEP_1)
	v_div_fmas_f32 v1, v1, v2, v4
	v_div_fixup_f32 v0, v1, v0, s2
	s_add_u32 s2, s4, s0
	s_addc_u32 s3, s5, s1
	s_add_u32 s0, s6, s0
	s_addc_u32 s1, s7, s1
	v_mul_f32_e32 v0, v9, v0
	s_clause 0x1
	global_store_b32 v3, v0, s[2:3]
	global_store_b32 v3, v8, s[0:1]
.LBB3_17:
	s_nop 0
	s_sendmsg sendmsg(MSG_DEALLOC_VGPRS)
	s_endpgm
.LBB3_18:
	v_dual_mov_b32 v8, 0 :: v_dual_mov_b32 v9, 0
	s_mov_b32 s2, exec_lo
	v_cmpx_gt_i32_e64 s8, v0
	s_cbranch_execnz .LBB3_16
	s_branch .LBB3_17
	.section	.rodata,"a",@progbits
	.p2align	6, 0x0
	.amdhsa_kernel _ZN5aiter24topk_softplus_kernel_optIffLi128ELb1ELi1EEEvPKT_PKT0_PfPimiif
		.amdhsa_group_segment_fixed_size 0
		.amdhsa_private_segment_fixed_size 0
		.amdhsa_kernarg_size 52
		.amdhsa_user_sgpr_count 15
		.amdhsa_user_sgpr_dispatch_ptr 0
		.amdhsa_user_sgpr_queue_ptr 0
		.amdhsa_user_sgpr_kernarg_segment_ptr 1
		.amdhsa_user_sgpr_dispatch_id 0
		.amdhsa_user_sgpr_private_segment_size 0
		.amdhsa_wavefront_size32 1
		.amdhsa_uses_dynamic_stack 0
		.amdhsa_enable_private_segment 0
		.amdhsa_system_sgpr_workgroup_id_x 1
		.amdhsa_system_sgpr_workgroup_id_y 0
		.amdhsa_system_sgpr_workgroup_id_z 0
		.amdhsa_system_sgpr_workgroup_info 0
		.amdhsa_system_vgpr_workitem_id 0
		.amdhsa_next_free_vgpr 25
		.amdhsa_next_free_sgpr 16
		.amdhsa_reserve_vcc 1
		.amdhsa_float_round_mode_32 0
		.amdhsa_float_round_mode_16_64 0
		.amdhsa_float_denorm_mode_32 3
		.amdhsa_float_denorm_mode_16_64 3
		.amdhsa_dx10_clamp 1
		.amdhsa_ieee_mode 1
		.amdhsa_fp16_overflow 0
		.amdhsa_workgroup_processor_mode 1
		.amdhsa_memory_ordered 1
		.amdhsa_forward_progress 0
		.amdhsa_shared_vgpr_count 0
		.amdhsa_exception_fp_ieee_invalid_op 0
		.amdhsa_exception_fp_denorm_src 0
		.amdhsa_exception_fp_ieee_div_zero 0
		.amdhsa_exception_fp_ieee_overflow 0
		.amdhsa_exception_fp_ieee_underflow 0
		.amdhsa_exception_fp_ieee_inexact 0
		.amdhsa_exception_int_div_zero 0
	.end_amdhsa_kernel
	.section	.text._ZN5aiter24topk_softplus_kernel_optIffLi128ELb1ELi1EEEvPKT_PKT0_PfPimiif,"axG",@progbits,_ZN5aiter24topk_softplus_kernel_optIffLi128ELb1ELi1EEEvPKT_PKT0_PfPimiif,comdat
.Lfunc_end3:
	.size	_ZN5aiter24topk_softplus_kernel_optIffLi128ELb1ELi1EEEvPKT_PKT0_PfPimiif, .Lfunc_end3-_ZN5aiter24topk_softplus_kernel_optIffLi128ELb1ELi1EEEvPKT_PKT0_PfPimiif
                                        ; -- End function
	.section	.AMDGPU.csdata,"",@progbits
; Kernel info:
; codeLenInByte = 1432
; NumSgprs: 18
; NumVgprs: 25
; ScratchSize: 0
; MemoryBound: 0
; FloatMode: 240
; IeeeMode: 1
; LDSByteSize: 0 bytes/workgroup (compile time only)
; SGPRBlocks: 2
; VGPRBlocks: 3
; NumSGPRsForWavesPerEU: 18
; NumVGPRsForWavesPerEU: 25
; Occupancy: 16
; WaveLimiterHint : 0
; COMPUTE_PGM_RSRC2:SCRATCH_EN: 0
; COMPUTE_PGM_RSRC2:USER_SGPR: 15
; COMPUTE_PGM_RSRC2:TRAP_HANDLER: 0
; COMPUTE_PGM_RSRC2:TGID_X_EN: 1
; COMPUTE_PGM_RSRC2:TGID_Y_EN: 0
; COMPUTE_PGM_RSRC2:TGID_Z_EN: 0
; COMPUTE_PGM_RSRC2:TIDIG_COMP_CNT: 0
	.section	.text._ZN5aiter24topk_softplus_kernel_optIffLi128ELb0ELi1EEEvPKT_PKT0_PfPimiif,"axG",@progbits,_ZN5aiter24topk_softplus_kernel_optIffLi128ELb0ELi1EEEvPKT_PKT0_PfPimiif,comdat
	.protected	_ZN5aiter24topk_softplus_kernel_optIffLi128ELb0ELi1EEEvPKT_PKT0_PfPimiif ; -- Begin function _ZN5aiter24topk_softplus_kernel_optIffLi128ELb0ELi1EEEvPKT_PKT0_PfPimiif
	.globl	_ZN5aiter24topk_softplus_kernel_optIffLi128ELb0ELi1EEEvPKT_PKT0_PfPimiif
	.p2align	8
	.type	_ZN5aiter24topk_softplus_kernel_optIffLi128ELb0ELi1EEEvPKT_PKT0_PfPimiif,@function
_ZN5aiter24topk_softplus_kernel_optIffLi128ELb0ELi1EEEvPKT_PKT0_PfPimiif: ; @_ZN5aiter24topk_softplus_kernel_optIffLi128ELb0ELi1EEEvPKT_PKT0_PfPimiif
; %bb.0:
	s_load_b128 s[4:7], s[0:1], 0x0
	s_lshl_b32 s2, s15, 7
	v_lshlrev_b32_e32 v3, 2, v0
	s_ashr_i32 s3, s2, 31
	s_delay_alu instid0(SALU_CYCLE_1)
	s_lshl_b64 s[2:3], s[2:3], 2
	s_waitcnt lgkmcnt(0)
	s_add_u32 s4, s4, s2
	s_addc_u32 s5, s5, s3
	s_cmp_lg_u64 s[6:7], 0
	global_load_b32 v1, v3, s[4:5]
	s_cselect_b32 s2, -1, 0
	s_waitcnt vmcnt(0)
	v_mul_f32_e32 v2, 0xbfb8aa3b, v1
	s_delay_alu instid0(VALU_DEP_1) | instskip(SKIP_1) | instid1(VALU_DEP_1)
	v_cmp_gt_f32_e32 vcc_lo, 0xc2fc0000, v2
	v_cndmask_b32_e64 v2, 0, 0x42800000, vcc_lo
	v_fmac_f32_e32 v2, 0xbfb8aa3b, v1
	s_delay_alu instid0(VALU_DEP_1) | instskip(SKIP_4) | instid1(VALU_DEP_1)
	v_exp_f32_e32 v1, v2
	v_cndmask_b32_e64 v2, 1.0, 0x1f800000, vcc_lo
	s_and_b32 vcc_lo, exec_lo, s2
	s_waitcnt_depctr 0xfff
	v_fma_f32 v1, v1, v2, 1.0
	v_rcp_f32_e32 v6, v1
	v_add_co_u32 v1, s3, s4, v3
	s_delay_alu instid0(VALU_DEP_1)
	v_add_co_ci_u32_e64 v2, null, s5, 0, s3
	s_waitcnt_depctr 0xfff
	v_mov_b32_e32 v11, v6
	s_cbranch_vccz .LBB4_2
; %bb.1:
	global_load_b32 v4, v3, s[6:7]
	s_waitcnt vmcnt(0)
	v_add_f32_e32 v11, v6, v4
.LBB4_2:
	global_load_b32 v4, v[1:2], off offset:128
	s_waitcnt vmcnt(0)
	v_mul_f32_e32 v5, 0xbfb8aa3b, v4
	s_delay_alu instid0(VALU_DEP_1) | instskip(SKIP_3) | instid1(VALU_DEP_2)
	v_cmp_gt_f32_e32 vcc_lo, 0xc2fc0000, v5
	v_cndmask_b32_e64 v7, 0, 0x42800000, vcc_lo
	v_cndmask_b32_e64 v5, 1.0, 0x1f800000, vcc_lo
	s_and_not1_b32 vcc_lo, exec_lo, s2
	v_fmac_f32_e32 v7, 0xbfb8aa3b, v4
	s_delay_alu instid0(VALU_DEP_1) | instskip(SKIP_2) | instid1(VALU_DEP_1)
	v_exp_f32_e32 v4, v7
	s_waitcnt_depctr 0xfff
	v_fma_f32 v4, v4, v5, 1.0
	v_rcp_f32_e32 v9, v4
	v_cndmask_b32_e64 v4, 0, 1, s2
	s_waitcnt_depctr 0xfff
	v_mov_b32_e32 v12, v9
	s_cbranch_vccnz .LBB4_4
; %bb.3:
	global_load_b32 v5, v3, s[6:7] offset:128
	s_waitcnt vmcnt(0)
	v_add_f32_e32 v12, v9, v5
.LBB4_4:
	global_load_b32 v5, v[1:2], off offset:256
	s_waitcnt vmcnt(0)
	v_mul_f32_e32 v7, 0xbfb8aa3b, v5
	s_delay_alu instid0(VALU_DEP_1) | instskip(SKIP_3) | instid1(VALU_DEP_3)
	v_cmp_gt_f32_e32 vcc_lo, 0xc2fc0000, v7
	v_cndmask_b32_e64 v8, 0, 0x42800000, vcc_lo
	v_cndmask_b32_e64 v7, 1.0, 0x1f800000, vcc_lo
	v_cmp_ne_u32_e32 vcc_lo, 1, v4
	v_fmac_f32_e32 v8, 0xbfb8aa3b, v5
	s_and_b32 vcc_lo, exec_lo, vcc_lo
	s_delay_alu instid0(VALU_DEP_1) | instskip(SKIP_2) | instid1(VALU_DEP_1)
	v_exp_f32_e32 v5, v8
	s_waitcnt_depctr 0xfff
	v_fma_f32 v5, v5, v7, 1.0
	v_rcp_f32_e32 v5, v5
	s_waitcnt_depctr 0xfff
	v_mov_b32_e32 v7, v5
	s_cbranch_vccnz .LBB4_6
; %bb.5:
	global_load_b32 v7, v3, s[6:7] offset:256
	s_waitcnt vmcnt(0)
	v_add_f32_e32 v7, v5, v7
.LBB4_6:
	global_load_b32 v1, v[1:2], off offset:384
	s_waitcnt vmcnt(0)
	v_mul_f32_e32 v2, 0xbfb8aa3b, v1
	s_delay_alu instid0(VALU_DEP_1) | instskip(SKIP_3) | instid1(VALU_DEP_3)
	v_cmp_gt_f32_e32 vcc_lo, 0xc2fc0000, v2
	v_cndmask_b32_e64 v8, 0, 0x42800000, vcc_lo
	v_cndmask_b32_e64 v2, 1.0, 0x1f800000, vcc_lo
	v_cmp_ne_u32_e32 vcc_lo, 1, v4
	v_fmac_f32_e32 v8, 0xbfb8aa3b, v1
	s_and_b32 vcc_lo, exec_lo, vcc_lo
	s_delay_alu instid0(VALU_DEP_1) | instskip(SKIP_2) | instid1(VALU_DEP_1)
	v_exp_f32_e32 v1, v8
	s_waitcnt_depctr 0xfff
	v_fma_f32 v1, v1, v2, 1.0
	v_rcp_f32_e32 v1, v1
	s_waitcnt_depctr 0xfff
	v_mov_b32_e32 v2, v1
	s_cbranch_vccnz .LBB4_8
; %bb.7:
	global_load_b32 v2, v3, s[6:7] offset:384
	s_waitcnt vmcnt(0)
	v_add_f32_e32 v2, v1, v2
.LBB4_8:
	v_cmp_lt_f32_e32 vcc_lo, v11, v12
	v_add_nc_u32_e32 v13, 32, v0
	v_add_nc_u32_e32 v4, 0x60, v0
	v_mov_b32_e32 v16, v7
	s_mov_b32 s2, exec_lo
	v_cndmask_b32_e32 v8, v9, v6, vcc_lo
	v_add_nc_u32_e32 v14, 64, v0
	v_cndmask_b32_e32 v6, v6, v9, vcc_lo
	v_dual_cndmask_b32 v10, v13, v0 :: v_dual_cndmask_b32 v13, v0, v13
	v_cndmask_b32_e32 v9, v12, v11, vcc_lo
	v_cndmask_b32_e32 v11, v11, v12, vcc_lo
	v_cmpx_lt_f32_e32 v7, v2
	s_xor_b32 s2, exec_lo, s2
; %bb.9:
	v_dual_mov_b32 v17, v7 :: v_dual_mov_b32 v16, v2
	v_dual_mov_b32 v12, v5 :: v_dual_mov_b32 v15, v14
	v_swap_b32 v5, v1
	v_swap_b32 v14, v4
	s_delay_alu instid0(VALU_DEP_4)
	v_dual_mov_b32 v7, v2 :: v_dual_mov_b32 v2, v17
; %bb.10:
	s_or_b32 exec_lo, exec_lo, s2
	s_delay_alu instid0(VALU_DEP_1) | instskip(SKIP_1) | instid1(VALU_DEP_3)
	v_cmp_lt_f32_e32 vcc_lo, v11, v7
	s_mov_b32 s2, exec_lo
	v_dual_cndmask_b32 v15, v5, v6 :: v_dual_cndmask_b32 v12, v14, v13
	v_dual_cndmask_b32 v5, v6, v5 :: v_dual_cndmask_b32 v6, v13, v14
	v_dual_cndmask_b32 v13, v16, v11 :: v_dual_mov_b32 v14, v9
	v_cndmask_b32_e32 v7, v11, v7, vcc_lo
	v_cmpx_lt_f32_e32 v9, v2
; %bb.11:
	v_dual_mov_b32 v16, v9 :: v_dual_mov_b32 v9, v2
	v_dual_mov_b32 v11, v8 :: v_dual_mov_b32 v14, v10
	v_swap_b32 v8, v1
	v_swap_b32 v10, v4
	v_mov_b32_e32 v14, v2
	v_mov_b32_e32 v2, v16
; %bb.12:
	s_or_b32 exec_lo, exec_lo, s2
	s_clause 0x1
	s_load_b32 s8, s[0:1], 0x28
	s_load_b128 s[4:7], s[0:1], 0x10
	s_waitcnt lgkmcnt(0)
	s_cmp_lt_i32 s8, 1
	s_cbranch_scc1 .LBB4_18
; %bb.13:
	v_cmp_lt_f32_e32 vcc_lo, v9, v13
	v_dual_mov_b32 v16, 0 :: v_dual_mov_b32 v17, v0
	s_mov_b32 s9, 0x76543210
	s_mov_b32 s10, s8
	v_dual_cndmask_b32 v11, v12, v10 :: v_dual_cndmask_b32 v10, v10, v12
	v_cndmask_b32_e32 v12, v13, v9, vcc_lo
	v_dual_cndmask_b32 v13, v14, v13 :: v_dual_cndmask_b32 v14, v15, v8
	v_cndmask_b32_e32 v15, v8, v15, vcc_lo
	v_dual_mov_b32 v9, 0 :: v_dual_mov_b32 v8, 0
.LBB4_14:                               ; =>This Inner Loop Header: Depth=1
	v_cmp_eq_u32_e32 vcc_lo, 1, v16
	v_cmp_eq_u32_e64 s2, 2, v16
	v_cmp_gt_u32_e64 s3, 4, v16
	v_dual_cndmask_b32 v18, v7, v13 :: v_dual_cndmask_b32 v19, v6, v10
	v_cndmask_b32_e32 v20, v5, v15, vcc_lo
	v_cmp_eq_u32_e32 vcc_lo, 3, v16
	s_delay_alu instid0(VALU_DEP_3) | instskip(NEXT) | instid1(VALU_DEP_4)
	v_cndmask_b32_e64 v18, v18, v12, s2
	v_cndmask_b32_e64 v19, v19, v11, s2
	s_delay_alu instid0(VALU_DEP_1) | instskip(NEXT) | instid1(VALU_DEP_1)
	v_dual_cndmask_b32 v18, v18, v2 :: v_dual_cndmask_b32 v19, v19, v4
	v_cndmask_b32_e64 v18, 0xff800000, v18, s3
	;;#ASMSTART
	v_max_f32 v21, v18, v18 quad_perm:[1,0,3,2] row_mask:0xf bank_mask:0xf bound_ctrl:1
	;;#ASMEND
	;;#ASMSTART
	v_max_f32 v22, v21, v21 quad_perm:[2,3,0,1] row_mask:0xf bank_mask:0xf bound_ctrl:1
	;;#ASMEND
	;;#ASMSTART
	v_max_f32 v21, v22, v22 row_half_mirror row_mask:0xf bank_mask:0xf bound_ctrl:1
	;;#ASMEND
	;;#ASMSTART
	v_max_f32 v22, v21, v21 row_mirror row_mask:0xf bank_mask:0xf bound_ctrl:1
	;;#ASMEND
	v_permlanex16_b32 v21, v22, s9, 0xfedcba98 op_sel:[1,1]
	s_delay_alu instid0(VALU_DEP_1) | instskip(NEXT) | instid1(VALU_DEP_1)
	v_dual_max_f32 v22, v22, v22 :: v_dual_max_f32 v21, v21, v21
	v_max_f32_e32 v21, v22, v21
	v_cndmask_b32_e64 v20, v20, v14, s2
	s_delay_alu instid0(VALU_DEP_2) | instskip(SKIP_1) | instid1(VALU_DEP_2)
	v_cmp_eq_f32_e64 s2, v18, v21
	v_cndmask_b32_e64 v18, 0, v19, s3
	s_ctz_i32_b32 s11, s2
	s_cmp_lg_u32 s2, 0
	s_cselect_b32 s2, s11, 0
	s_add_i32 s10, s10, -1
	v_readlane_b32 s11, v18, s2
	v_cndmask_b32_e32 v18, v20, v1, vcc_lo
	s_delay_alu instid0(VALU_DEP_2)
	v_cmp_eq_u32_e32 vcc_lo, s11, v19
	s_and_b32 s2, s11, 31
	s_and_b32 vcc_lo, s3, vcc_lo
	s_cmp_eq_u32 s10, 0
	v_cndmask_b32_e32 v18, 0, v18, vcc_lo
	v_add_co_ci_u32_e32 v16, vcc_lo, 0, v16, vcc_lo
	s_delay_alu instid0(VALU_DEP_2) | instskip(SKIP_2) | instid1(VALU_DEP_2)
	v_readlane_b32 s3, v18, s2
	v_cmp_eq_u32_e64 s2, 0, v17
	v_add_nc_u32_e32 v17, -1, v17
	v_cndmask_b32_e64 v9, v9, s3, s2
	v_cndmask_b32_e64 v8, v8, s11, s2
	s_cbranch_scc0 .LBB4_14
; %bb.15:
	s_mov_b32 s2, exec_lo
	v_cmpx_gt_i32_e64 s8, v0
	s_cbranch_execz .LBB4_17
.LBB4_16:
	s_clause 0x1
	s_load_b64 s[2:3], s[0:1], 0x20
	s_load_b32 s8, s[0:1], 0x30
	s_ashr_i32 s0, s15, 31
	s_waitcnt lgkmcnt(0)
	s_mul_i32 s1, s15, s3
	s_mul_hi_u32 s3, s15, s2
	s_mul_i32 s0, s0, s2
	s_add_i32 s1, s3, s1
	v_mul_f32_e32 v0, s8, v9
	s_add_i32 s1, s1, s0
	s_mul_i32 s0, s15, s2
	s_delay_alu instid0(SALU_CYCLE_1) | instskip(NEXT) | instid1(SALU_CYCLE_1)
	s_lshl_b64 s[0:1], s[0:1], 2
	s_add_u32 s2, s4, s0
	s_addc_u32 s3, s5, s1
	s_add_u32 s0, s6, s0
	s_addc_u32 s1, s7, s1
	s_clause 0x1
	global_store_b32 v3, v0, s[2:3]
	global_store_b32 v3, v8, s[0:1]
.LBB4_17:
	s_nop 0
	s_sendmsg sendmsg(MSG_DEALLOC_VGPRS)
	s_endpgm
.LBB4_18:
	v_dual_mov_b32 v8, 0 :: v_dual_mov_b32 v9, 0
	s_mov_b32 s2, exec_lo
	v_cmpx_gt_i32_e64 s8, v0
	s_cbranch_execnz .LBB4_16
	s_branch .LBB4_17
	.section	.rodata,"a",@progbits
	.p2align	6, 0x0
	.amdhsa_kernel _ZN5aiter24topk_softplus_kernel_optIffLi128ELb0ELi1EEEvPKT_PKT0_PfPimiif
		.amdhsa_group_segment_fixed_size 0
		.amdhsa_private_segment_fixed_size 0
		.amdhsa_kernarg_size 52
		.amdhsa_user_sgpr_count 15
		.amdhsa_user_sgpr_dispatch_ptr 0
		.amdhsa_user_sgpr_queue_ptr 0
		.amdhsa_user_sgpr_kernarg_segment_ptr 1
		.amdhsa_user_sgpr_dispatch_id 0
		.amdhsa_user_sgpr_private_segment_size 0
		.amdhsa_wavefront_size32 1
		.amdhsa_uses_dynamic_stack 0
		.amdhsa_enable_private_segment 0
		.amdhsa_system_sgpr_workgroup_id_x 1
		.amdhsa_system_sgpr_workgroup_id_y 0
		.amdhsa_system_sgpr_workgroup_id_z 0
		.amdhsa_system_sgpr_workgroup_info 0
		.amdhsa_system_vgpr_workitem_id 0
		.amdhsa_next_free_vgpr 23
		.amdhsa_next_free_sgpr 16
		.amdhsa_reserve_vcc 1
		.amdhsa_float_round_mode_32 0
		.amdhsa_float_round_mode_16_64 0
		.amdhsa_float_denorm_mode_32 3
		.amdhsa_float_denorm_mode_16_64 3
		.amdhsa_dx10_clamp 1
		.amdhsa_ieee_mode 1
		.amdhsa_fp16_overflow 0
		.amdhsa_workgroup_processor_mode 1
		.amdhsa_memory_ordered 1
		.amdhsa_forward_progress 0
		.amdhsa_shared_vgpr_count 0
		.amdhsa_exception_fp_ieee_invalid_op 0
		.amdhsa_exception_fp_denorm_src 0
		.amdhsa_exception_fp_ieee_div_zero 0
		.amdhsa_exception_fp_ieee_overflow 0
		.amdhsa_exception_fp_ieee_underflow 0
		.amdhsa_exception_fp_ieee_inexact 0
		.amdhsa_exception_int_div_zero 0
	.end_amdhsa_kernel
	.section	.text._ZN5aiter24topk_softplus_kernel_optIffLi128ELb0ELi1EEEvPKT_PKT0_PfPimiif,"axG",@progbits,_ZN5aiter24topk_softplus_kernel_optIffLi128ELb0ELi1EEEvPKT_PKT0_PfPimiif,comdat
.Lfunc_end4:
	.size	_ZN5aiter24topk_softplus_kernel_optIffLi128ELb0ELi1EEEvPKT_PKT0_PfPimiif, .Lfunc_end4-_ZN5aiter24topk_softplus_kernel_optIffLi128ELb0ELi1EEEvPKT_PKT0_PfPimiif
                                        ; -- End function
	.section	.AMDGPU.csdata,"",@progbits
; Kernel info:
; codeLenInByte = 1304
; NumSgprs: 18
; NumVgprs: 23
; ScratchSize: 0
; MemoryBound: 0
; FloatMode: 240
; IeeeMode: 1
; LDSByteSize: 0 bytes/workgroup (compile time only)
; SGPRBlocks: 2
; VGPRBlocks: 2
; NumSGPRsForWavesPerEU: 18
; NumVGPRsForWavesPerEU: 23
; Occupancy: 16
; WaveLimiterHint : 0
; COMPUTE_PGM_RSRC2:SCRATCH_EN: 0
; COMPUTE_PGM_RSRC2:USER_SGPR: 15
; COMPUTE_PGM_RSRC2:TRAP_HANDLER: 0
; COMPUTE_PGM_RSRC2:TGID_X_EN: 1
; COMPUTE_PGM_RSRC2:TGID_Y_EN: 0
; COMPUTE_PGM_RSRC2:TGID_Z_EN: 0
; COMPUTE_PGM_RSRC2:TIDIG_COMP_CNT: 0
	.section	.text._ZN5aiter24topk_softplus_kernel_optIffLi256ELb1ELi1EEEvPKT_PKT0_PfPimiif,"axG",@progbits,_ZN5aiter24topk_softplus_kernel_optIffLi256ELb1ELi1EEEvPKT_PKT0_PfPimiif,comdat
	.protected	_ZN5aiter24topk_softplus_kernel_optIffLi256ELb1ELi1EEEvPKT_PKT0_PfPimiif ; -- Begin function _ZN5aiter24topk_softplus_kernel_optIffLi256ELb1ELi1EEEvPKT_PKT0_PfPimiif
	.globl	_ZN5aiter24topk_softplus_kernel_optIffLi256ELb1ELi1EEEvPKT_PKT0_PfPimiif
	.p2align	8
	.type	_ZN5aiter24topk_softplus_kernel_optIffLi256ELb1ELi1EEEvPKT_PKT0_PfPimiif,@function
_ZN5aiter24topk_softplus_kernel_optIffLi256ELb1ELi1EEEvPKT_PKT0_PfPimiif: ; @_ZN5aiter24topk_softplus_kernel_optIffLi256ELb1ELi1EEEvPKT_PKT0_PfPimiif
; %bb.0:
	s_load_b128 s[4:7], s[0:1], 0x0
	s_lshl_b32 s2, s15, 8
	v_lshlrev_b32_e32 v103, 2, v0
	s_ashr_i32 s3, s2, 31
	s_delay_alu instid0(SALU_CYCLE_1)
	s_lshl_b64 s[2:3], s[2:3], 2
	s_waitcnt lgkmcnt(0)
	s_add_u32 s4, s4, s2
	s_addc_u32 s5, s5, s3
	s_cmp_lg_u64 s[6:7], 0
	global_load_b32 v1, v103, s[4:5]
	s_cselect_b32 s2, -1, 0
	s_waitcnt vmcnt(0)
	v_mul_f32_e32 v2, 0xbfb8aa3b, v1
	s_delay_alu instid0(VALU_DEP_1) | instskip(SKIP_1) | instid1(VALU_DEP_1)
	v_cmp_gt_f32_e32 vcc_lo, 0xc2fc0000, v2
	v_cndmask_b32_e64 v2, 0, 0x42800000, vcc_lo
	v_fmac_f32_e32 v2, 0xbfb8aa3b, v1
	s_delay_alu instid0(VALU_DEP_1) | instskip(SKIP_4) | instid1(VALU_DEP_1)
	v_exp_f32_e32 v1, v2
	v_cndmask_b32_e64 v2, 1.0, 0x1f800000, vcc_lo
	s_and_b32 vcc_lo, exec_lo, s2
	s_waitcnt_depctr 0xfff
	v_fma_f32 v1, v1, v2, 1.0
	v_rcp_f32_e32 v48, v1
	v_add_co_u32 v1, s3, s4, v103
	s_delay_alu instid0(VALU_DEP_1)
	v_add_co_ci_u32_e64 v2, null, s5, 0, s3
	s_waitcnt_depctr 0xfff
	v_mov_b32_e32 v32, v48
	s_cbranch_vccz .LBB5_2
; %bb.1:
	global_load_b32 v3, v103, s[6:7]
	s_waitcnt vmcnt(0)
	v_add_f32_e32 v32, v48, v3
.LBB5_2:
	global_load_b32 v3, v[1:2], off offset:128
	s_waitcnt vmcnt(0)
	v_mul_f32_e32 v4, 0xbfb8aa3b, v3
	s_delay_alu instid0(VALU_DEP_1) | instskip(SKIP_3) | instid1(VALU_DEP_2)
	v_cmp_gt_f32_e32 vcc_lo, 0xc2fc0000, v4
	v_cndmask_b32_e64 v5, 0, 0x42800000, vcc_lo
	v_cndmask_b32_e64 v4, 1.0, 0x1f800000, vcc_lo
	s_and_not1_b32 vcc_lo, exec_lo, s2
	v_fmac_f32_e32 v5, 0xbfb8aa3b, v3
	s_delay_alu instid0(VALU_DEP_1) | instskip(SKIP_2) | instid1(VALU_DEP_1)
	v_exp_f32_e32 v3, v5
	s_waitcnt_depctr 0xfff
	v_fma_f32 v3, v3, v4, 1.0
	v_rcp_f32_e32 v17, v3
	v_cndmask_b32_e64 v3, 0, 1, s2
	s_waitcnt_depctr 0xfff
	v_mov_b32_e32 v33, v17
	s_cbranch_vccnz .LBB5_4
; %bb.3:
	global_load_b32 v4, v103, s[6:7] offset:128
	s_waitcnt vmcnt(0)
	v_add_f32_e32 v33, v17, v4
.LBB5_4:
	global_load_b32 v4, v[1:2], off offset:256
	s_waitcnt vmcnt(0)
	v_mul_f32_e32 v5, 0xbfb8aa3b, v4
	s_delay_alu instid0(VALU_DEP_1) | instskip(SKIP_3) | instid1(VALU_DEP_3)
	v_cmp_gt_f32_e32 vcc_lo, 0xc2fc0000, v5
	v_cndmask_b32_e64 v6, 0, 0x42800000, vcc_lo
	v_cndmask_b32_e64 v5, 1.0, 0x1f800000, vcc_lo
	v_cmp_ne_u32_e32 vcc_lo, 1, v3
	v_fmac_f32_e32 v6, 0xbfb8aa3b, v4
	s_and_b32 vcc_lo, exec_lo, vcc_lo
	s_delay_alu instid0(VALU_DEP_1) | instskip(SKIP_2) | instid1(VALU_DEP_1)
	v_exp_f32_e32 v4, v6
	s_waitcnt_depctr 0xfff
	v_fma_f32 v4, v4, v5, 1.0
	v_rcp_f32_e32 v18, v4
	s_waitcnt_depctr 0xfff
	v_mov_b32_e32 v34, v18
	s_cbranch_vccnz .LBB5_6
; %bb.5:
	global_load_b32 v4, v103, s[6:7] offset:256
	s_waitcnt vmcnt(0)
	v_add_f32_e32 v34, v18, v4
.LBB5_6:
	global_load_b32 v4, v[1:2], off offset:384
	s_waitcnt vmcnt(0)
	v_mul_f32_e32 v5, 0xbfb8aa3b, v4
	s_delay_alu instid0(VALU_DEP_1) | instskip(SKIP_3) | instid1(VALU_DEP_3)
	v_cmp_gt_f32_e32 vcc_lo, 0xc2fc0000, v5
	v_cndmask_b32_e64 v6, 0, 0x42800000, vcc_lo
	v_cndmask_b32_e64 v5, 1.0, 0x1f800000, vcc_lo
	v_cmp_ne_u32_e32 vcc_lo, 1, v3
	v_fmac_f32_e32 v6, 0xbfb8aa3b, v4
	s_and_b32 vcc_lo, exec_lo, vcc_lo
	s_delay_alu instid0(VALU_DEP_1) | instskip(SKIP_2) | instid1(VALU_DEP_1)
	v_exp_f32_e32 v4, v6
	s_waitcnt_depctr 0xfff
	v_fma_f32 v4, v4, v5, 1.0
	v_rcp_f32_e32 v19, v4
	;; [unrolled: 23-line block ×5, first 2 shown]
	s_waitcnt_depctr 0xfff
	v_mov_b32_e32 v38, v22
	s_cbranch_vccnz .LBB5_14
; %bb.13:
	global_load_b32 v4, v103, s[6:7] offset:768
	s_waitcnt vmcnt(0)
	v_add_f32_e32 v38, v22, v4
.LBB5_14:
	global_load_b32 v1, v[1:2], off offset:896
	s_waitcnt vmcnt(0)
	v_mul_f32_e32 v2, 0xbfb8aa3b, v1
	s_delay_alu instid0(VALU_DEP_1) | instskip(SKIP_3) | instid1(VALU_DEP_3)
	v_cmp_gt_f32_e32 vcc_lo, 0xc2fc0000, v2
	v_cndmask_b32_e64 v4, 0, 0x42800000, vcc_lo
	v_cndmask_b32_e64 v2, 1.0, 0x1f800000, vcc_lo
	v_cmp_ne_u32_e32 vcc_lo, 1, v3
	v_fmac_f32_e32 v4, 0xbfb8aa3b, v1
	s_delay_alu instid0(VALU_DEP_1) | instskip(SKIP_2) | instid1(VALU_DEP_1)
	v_exp_f32_e32 v1, v4
	s_waitcnt_depctr 0xfff
	v_fma_f32 v1, v1, v2, 1.0
	v_rcp_f32_e32 v23, v1
	s_cbranch_vccnz .LBB5_16
; %bb.15:
	global_load_b32 v1, v103, s[6:7] offset:896
	s_waitcnt vmcnt(0)
	v_add_f32_e32 v39, v23, v1
	s_branch .LBB5_17
.LBB5_16:
	s_waitcnt_depctr 0xfff
	v_mov_b32_e32 v39, v23
.LBB5_17:
	v_add_nc_u32_e32 v7, 0xe0, v0
	v_dual_mov_b32 v8, v32 :: v_dual_add_nc_u32 v1, 32, v0
	v_dual_mov_b32 v9, v33 :: v_dual_add_nc_u32 v2, 64, v0
	;; [unrolled: 1-line block ×6, first 2 shown]
	v_dual_mov_b32 v14, v38 :: v_dual_mov_b32 v31, v7
	s_delay_alu instid0(VALU_DEP_2)
	v_dual_mov_b32 v47, v7 :: v_dual_mov_b32 v46, v6
	v_dual_mov_b32 v78, v7 :: v_dual_mov_b32 v77, v6
	;; [unrolled: 1-line block ×9, first 2 shown]
	v_mov_b32_e32 v40, v0
	v_dual_mov_b32 v76, v5 :: v_dual_mov_b32 v75, v4
	v_dual_mov_b32 v74, v3 :: v_dual_mov_b32 v73, v2
	v_dual_mov_b32 v72, v1 :: v_dual_mov_b32 v71, v0
	v_dual_mov_b32 v68, v5 :: v_dual_mov_b32 v67, v4
	v_dual_mov_b32 v66, v3 :: v_dual_mov_b32 v65, v2
	v_dual_mov_b32 v64, v1 :: v_dual_mov_b32 v63, v0
	v_dual_mov_b32 v15, v39 :: v_dual_mov_b32 v16, v48
	s_mov_b32 s2, exec_lo
	v_cmpx_lt_f32_e32 v32, v33
	s_xor_b32 s2, exec_lo, s2
	s_cbranch_execz .LBB5_19
; %bb.18:
	v_dual_mov_b32 v30, v6 :: v_dual_mov_b32 v31, v7
	v_dual_mov_b32 v24, v1 :: v_dual_mov_b32 v25, v0
	;; [unrolled: 1-line block ×4, first 2 shown]
	s_delay_alu instid0(VALU_DEP_4)
	v_dual_mov_b32 v47, v31 :: v_dual_mov_b32 v46, v30
	v_dual_mov_b32 v78, v31 :: v_dual_mov_b32 v77, v30
	;; [unrolled: 1-line block ×17, first 2 shown]
	v_mov_b32_e32 v17, v48
	v_mov_b32_e32 v1, v0
.LBB5_19:
	s_or_b32 exec_lo, exec_lo, s2
	v_dual_mov_b32 v62, v23 :: v_dual_mov_b32 v61, v22
	v_dual_mov_b32 v86, v23 :: v_dual_mov_b32 v85, v22
	v_dual_mov_b32 v94, v23 :: v_dual_mov_b32 v93, v22
	v_dual_mov_b32 v102, v23 :: v_dual_mov_b32 v101, v22
	v_dual_mov_b32 v60, v21 :: v_dual_mov_b32 v59, v20
	v_dual_mov_b32 v58, v19 :: v_dual_mov_b32 v57, v18
	v_dual_mov_b32 v56, v17 :: v_dual_mov_b32 v55, v16
	v_dual_mov_b32 v84, v21 :: v_dual_mov_b32 v83, v20
	v_dual_mov_b32 v82, v19 :: v_dual_mov_b32 v81, v18
	v_dual_mov_b32 v80, v17 :: v_dual_mov_b32 v79, v16
	v_dual_mov_b32 v92, v21 :: v_dual_mov_b32 v91, v20
	v_dual_mov_b32 v90, v19 :: v_dual_mov_b32 v89, v18
	v_dual_mov_b32 v88, v17 :: v_dual_mov_b32 v87, v16
	v_dual_mov_b32 v100, v21 :: v_dual_mov_b32 v99, v20
	v_dual_mov_b32 v98, v19 :: v_dual_mov_b32 v97, v18
	v_dual_mov_b32 v96, v17 :: v_dual_mov_b32 v95, v16
	v_mov_b32_e32 v32, v10
	s_mov_b32 s2, exec_lo
	v_cmpx_lt_f32_e32 v33, v10
	s_cbranch_execz .LBB5_21
; %bb.20:
	v_dual_mov_b32 v70, v31 :: v_dual_mov_b32 v69, v30
	v_dual_mov_b32 v64, v25 :: v_dual_mov_b32 v63, v24
	;; [unrolled: 1-line block ×13, first 2 shown]
	v_mov_b32_e32 v74, v3
	v_dual_mov_b32 v87, v95 :: v_dual_mov_b32 v88, v96
	v_dual_mov_b32 v76, v68 :: v_dual_mov_b32 v75, v67
	;; [unrolled: 1-line block ×5, first 2 shown]
	v_mov_b32_e32 v90, v19
	v_dual_mov_b32 v40, v71 :: v_dual_mov_b32 v45, v76
	v_mov_b32_e32 v41, v72
	v_dual_mov_b32 v43, v74 :: v_dual_mov_b32 v46, v77
	;; [unrolled: 2-line block ×3, first 2 shown]
	v_dual_mov_b32 v42, v73 :: v_dual_mov_b32 v47, v78
	v_dual_mov_b32 v44, v4 :: v_dual_mov_b32 v81, v89
	;; [unrolled: 1-line block ×5, first 2 shown]
	v_mov_b32_e32 v84, v92
	v_mov_b32_e32 v86, v94
	v_dual_mov_b32 v24, v40 :: v_dual_mov_b32 v29, v45
	v_dual_mov_b32 v30, v46 :: v_dual_mov_b32 v25, v41
	;; [unrolled: 1-line block ×6, first 2 shown]
	v_mov_b32_e32 v61, v22
	v_mov_b32_e32 v62, v86
	v_dual_mov_b32 v28, v44 :: v_dual_mov_b32 v29, v5
	v_dual_mov_b32 v31, v7 :: v_dual_mov_b32 v32, v33
	;; [unrolled: 1-line block ×3, first 2 shown]
	v_mov_b32_e32 v57, v81
	v_mov_b32_e32 v60, v21
	;; [unrolled: 1-line block ×5, first 2 shown]
.LBB5_21:
	s_or_b32 exec_lo, exec_lo, s2
	v_mov_b32_e32 v1, v11
	s_mov_b32 s2, exec_lo
	v_cmpx_lt_f32_e32 v32, v11
	s_cbranch_execz .LBB5_23
; %bb.22:
	v_mov_b32_e32 v97, v19
	v_mov_b32_e32 v65, v3
	v_dual_mov_b32 v87, v95 :: v_dual_mov_b32 v88, v96
	v_mov_b32_e32 v78, v70
	v_dual_mov_b32 v92, v100 :: v_dual_mov_b32 v71, v63
	v_dual_mov_b32 v90, v98 :: v_dual_mov_b32 v91, v99
	;; [unrolled: 1-line block ×8, first 2 shown]
	v_mov_b32_e32 v80, v88
	s_delay_alu instid0(VALU_DEP_3)
	v_dual_mov_b32 v40, v71 :: v_dual_mov_b32 v41, v72
	v_dual_mov_b32 v83, v91 :: v_dual_mov_b32 v84, v92
	v_dual_mov_b32 v44, v75 :: v_dual_mov_b32 v45, v76
	v_dual_mov_b32 v46, v77 :: v_dual_mov_b32 v47, v78
	v_dual_mov_b32 v85, v93 :: v_dual_mov_b32 v86, v94
	v_dual_mov_b32 v83, v20 :: v_dual_mov_b32 v10, v11
	v_dual_mov_b32 v42, v73 :: v_dual_mov_b32 v43, v74
	v_dual_mov_b32 v81, v89 :: v_dual_mov_b32 v82, v90
	v_dual_mov_b32 v44, v4 :: v_dual_mov_b32 v55, v79
	v_dual_mov_b32 v24, v40 :: v_dual_mov_b32 v25, v41
	v_dual_mov_b32 v29, v45 :: v_dual_mov_b32 v30, v46
	v_dual_mov_b32 v31, v47 :: v_dual_mov_b32 v56, v80
	v_dual_mov_b32 v59, v83 :: v_dual_mov_b32 v60, v84
	v_dual_mov_b32 v61, v85 :: v_dual_mov_b32 v62, v86
	v_dual_mov_b32 v11, v32 :: v_dual_mov_b32 v26, v42
	v_dual_mov_b32 v27, v43 :: v_dual_mov_b32 v28, v44
	v_dual_mov_b32 v57, v81 :: v_dual_mov_b32 v58, v82
	v_dual_mov_b32 v29, v5 :: v_dual_mov_b32 v30, v6
	v_dual_mov_b32 v31, v7 :: v_dual_mov_b32 v60, v21
	v_dual_mov_b32 v61, v22 :: v_dual_mov_b32 v62, v23
	v_mov_b32_e32 v1, v32
	v_mov_b32_e32 v19, v18
	;; [unrolled: 1-line block ×3, first 2 shown]
.LBB5_23:
	s_or_b32 exec_lo, exec_lo, s2
	v_mov_b32_e32 v2, v12
	s_mov_b32 s2, exec_lo
	v_cmpx_lt_f32_e32 v1, v12
	s_cbranch_execz .LBB5_25
; %bb.24:
	v_mov_b32_e32 v98, v20
	v_dual_mov_b32 v66, v4 :: v_dual_mov_b32 v79, v95
	v_dual_mov_b32 v40, v63 :: v_dual_mov_b32 v41, v64
	;; [unrolled: 1-line block ×3, first 2 shown]
	s_delay_alu instid0(VALU_DEP_3)
	v_dual_mov_b32 v43, v66 :: v_dual_mov_b32 v80, v96
	v_mov_b32_e32 v81, v97
	v_dual_mov_b32 v46, v69 :: v_dual_mov_b32 v83, v99
	v_dual_mov_b32 v42, v65 :: v_dual_mov_b32 v45, v68
	;; [unrolled: 1-line block ×5, first 2 shown]
	v_mov_b32_e32 v44, v3
	v_dual_mov_b32 v55, v79 :: v_dual_mov_b32 v56, v80
	v_dual_mov_b32 v57, v81 :: v_dual_mov_b32 v24, v40
	;; [unrolled: 1-line block ×10, first 2 shown]
	v_mov_b32_e32 v73, v65
	v_dual_mov_b32 v12, v1 :: v_dual_mov_b32 v27, v43
	v_dual_mov_b32 v60, v21 :: v_dual_mov_b32 v61, v22
	;; [unrolled: 1-line block ×8, first 2 shown]
	v_mov_b32_e32 v74, v66
	v_mov_b32_e32 v72, v64
	;; [unrolled: 1-line block ×5, first 2 shown]
.LBB5_25:
	s_or_b32 exec_lo, exec_lo, s2
	v_mov_b32_e32 v1, v13
	s_mov_b32 s2, exec_lo
	v_cmpx_lt_f32_e32 v2, v13
	s_cbranch_execz .LBB5_27
; %bb.26:
	v_mov_b32_e32 v75, v5
	v_dual_mov_b32 v91, v21 :: v_dual_mov_b32 v24, v71
	v_mov_b32_e32 v30, v77
	v_mov_b32_e32 v30, v6
	;; [unrolled: 1-line block ×4, first 2 shown]
	v_dual_mov_b32 v55, v87 :: v_dual_mov_b32 v60, v92
	v_dual_mov_b32 v79, v87 :: v_dual_mov_b32 v82, v90
	;; [unrolled: 1-line block ×17, first 2 shown]
	v_mov_b32_e32 v21, v20
	v_mov_b32_e32 v5, v4
	;; [unrolled: 1-line block ×4, first 2 shown]
.LBB5_27:
	s_or_b32 exec_lo, exec_lo, s2
	v_mov_b32_e32 v2, v14
	s_mov_b32 s2, exec_lo
	v_cmpx_lt_f32_e32 v1, v14
	s_cbranch_execz .LBB5_29
; %bb.28:
	v_dual_mov_b32 v45, v6 :: v_dual_mov_b32 v46, v5
	v_dual_mov_b32 v84, v22 :: v_dual_mov_b32 v85, v21
	v_dual_mov_b32 v86, v23 :: v_dual_mov_b32 v13, v14
	v_dual_mov_b32 v47, v7 :: v_dual_mov_b32 v14, v1
	v_dual_mov_b32 v55, v79 :: v_dual_mov_b32 v56, v80
	v_dual_mov_b32 v24, v40 :: v_dual_mov_b32 v25, v41
	v_dual_mov_b32 v57, v81 :: v_dual_mov_b32 v58, v82
	v_dual_mov_b32 v59, v83 :: v_dual_mov_b32 v60, v84
	v_dual_mov_b32 v61, v85 :: v_dual_mov_b32 v62, v86
	v_dual_mov_b32 v26, v42 :: v_dual_mov_b32 v27, v43
	v_dual_mov_b32 v28, v44 :: v_dual_mov_b32 v29, v45
	v_dual_mov_b32 v30, v46 :: v_dual_mov_b32 v31, v47
	v_mov_b32_e32 v2, v1
.LBB5_29:
	s_or_b32 exec_lo, exec_lo, s2
	s_delay_alu instid0(VALU_DEP_1)
	v_cmp_lt_f32_e32 vcc_lo, v2, v15
	v_dual_mov_b32 v40, v56 :: v_dual_mov_b32 v43, v59
	v_cmp_lt_f32_e64 s2, v8, v9
	v_dual_mov_b32 v41, v57 :: v_dual_mov_b32 v42, v58
	v_dual_cndmask_b32 v23, v15, v2 :: v_dual_cndmask_b32 v14, v14, v15
	v_dual_cndmask_b32 v46, v62, v61 :: v_dual_mov_b32 v39, v55
	s_delay_alu instid0(VALU_DEP_2) | instskip(SKIP_3) | instid1(VALU_DEP_4)
	v_dual_mov_b32 v44, v60 :: v_dual_mov_b32 v15, v23
	v_cndmask_b32_e32 v45, v61, v62, vcc_lo
	v_dual_cndmask_b32 v54, v31, v30 :: v_dual_cndmask_b32 v53, v30, v31
	v_dual_mov_b32 v47, v24 :: v_dual_mov_b32 v50, v27
	v_mov_b32_e32 v22, v15
	v_dual_mov_b32 v21, v14 :: v_dual_mov_b32 v20, v13
	v_dual_mov_b32 v19, v12 :: v_dual_mov_b32 v18, v11
	;; [unrolled: 1-line block ×5, first 2 shown]
	v_mov_b32_e32 v51, v28
	s_and_saveexec_b32 s3, s2
	s_delay_alu instid0(SALU_CYCLE_1)
	s_xor_b32 s2, exec_lo, s3
	s_cbranch_execz .LBB5_31
; %bb.30:
	v_dual_mov_b32 v16, v9 :: v_dual_mov_b32 v17, v8
	v_dual_mov_b32 v18, v10 :: v_dual_mov_b32 v19, v11
	;; [unrolled: 1-line block ×4, first 2 shown]
	s_delay_alu instid0(VALU_DEP_4)
	v_dual_mov_b32 v15, v16 :: v_dual_mov_b32 v40, v55
	v_dual_mov_b32 v16, v17 :: v_dual_mov_b32 v39, v56
	;; [unrolled: 1-line block ×10, first 2 shown]
.LBB5_31:
	s_or_b32 exec_lo, exec_lo, s2
	v_dual_mov_b32 v31, v39 :: v_dual_mov_b32 v32, v40
	v_dual_mov_b32 v78, v46 :: v_dual_mov_b32 v77, v45
	;; [unrolled: 1-line block ×22, first 2 shown]
	v_mov_b32_e32 v10, v17
	s_mov_b32 s2, exec_lo
	v_dual_mov_b32 v76, v44 :: v_dual_mov_b32 v75, v43
	v_dual_mov_b32 v68, v52 :: v_dual_mov_b32 v67, v51
	v_cmpx_lt_f32_e32 v9, v17
	s_cbranch_execz .LBB5_33
; %bb.32:
	v_dual_mov_b32 v1, v47 :: v_dual_mov_b32 v2, v48
	v_dual_mov_b32 v7, v53 :: v_dual_mov_b32 v8, v54
	v_mov_b32_e32 v2, v49
	v_dual_mov_b32 v3, v49 :: v_dual_mov_b32 v4, v50
	v_dual_mov_b32 v5, v51 :: v_dual_mov_b32 v6, v52
	;; [unrolled: 1-line block ×7, first 2 shown]
	v_mov_b32_e32 v57, v40
	v_dual_mov_b32 v70, v8 :: v_dual_mov_b32 v69, v7
	v_dual_mov_b32 v64, v2 :: v_dual_mov_b32 v63, v1
	;; [unrolled: 1-line block ×6, first 2 shown]
	v_mov_b32_e32 v66, v50
	v_dual_mov_b32 v16, v17 :: v_dual_mov_b32 v75, v59
	v_dual_mov_b32 v17, v9 :: v_dual_mov_b32 v76, v60
	;; [unrolled: 1-line block ×17, first 2 shown]
.LBB5_33:
	s_or_b32 exec_lo, exec_lo, s2
	v_mov_b32_e32 v9, v18
	s_mov_b32 s2, exec_lo
	s_delay_alu instid0(VALU_DEP_2)
	v_cmpx_lt_f32_e32 v10, v18
	s_cbranch_execz .LBB5_35
; %bb.34:
	v_mov_b32_e32 v3, v50
	v_dual_mov_b32 v57, v42 :: v_dual_mov_b32 v70, v8
	v_mov_b32_e32 v66, v4
	v_dual_mov_b32 v78, v62 :: v_dual_mov_b32 v77, v61
	v_mov_b32_e32 v66, v49
	v_mov_b32_e32 v63, v1
	;; [unrolled: 1-line block ×3, first 2 shown]
	v_dual_mov_b32 v69, v7 :: v_dual_mov_b32 v68, v6
	v_dual_mov_b32 v67, v5 :: v_dual_mov_b32 v64, v2
	;; [unrolled: 1-line block ×4, first 2 shown]
	v_mov_b32_e32 v65, v3
	v_dual_mov_b32 v73, v57 :: v_dual_mov_b32 v72, v56
	v_mov_b32_e32 v74, v41
	v_dual_mov_b32 v18, v10 :: v_dual_mov_b32 v23, v63
	v_dual_mov_b32 v24, v64 :: v_dual_mov_b32 v31, v71
	s_delay_alu instid0(VALU_DEP_4)
	v_dual_mov_b32 v32, v72 :: v_dual_mov_b32 v27, v67
	v_dual_mov_b32 v28, v68 :: v_dual_mov_b32 v29, v69
	;; [unrolled: 1-line block ×10, first 2 shown]
	v_mov_b32_e32 v38, v46
	v_dual_mov_b32 v9, v10 :: v_dual_mov_b32 v42, v41
	v_mov_b32_e32 v50, v49
.LBB5_35:
	s_or_b32 exec_lo, exec_lo, s2
	v_mov_b32_e32 v4, v19
	s_mov_b32 s2, exec_lo
	v_cmpx_lt_f32_e32 v9, v19
	s_cbranch_execz .LBB5_37
; %bb.36:
	v_mov_b32_e32 v4, v51
	v_dual_mov_b32 v18, v19 :: v_dual_mov_b32 v19, v9
	v_mov_b32_e32 v58, v43
	v_dual_mov_b32 v30, v8 :: v_dual_mov_b32 v29, v7
	v_dual_mov_b32 v28, v6 :: v_dual_mov_b32 v25, v3
	v_dual_mov_b32 v23, v1 :: v_dual_mov_b32 v28, v52
	v_mov_b32_e32 v31, v55
	v_dual_mov_b32 v27, v5 :: v_dual_mov_b32 v32, v56
	v_dual_mov_b32 v35, v59 :: v_dual_mov_b32 v34, v58
	;; [unrolled: 4-line block ×3, first 2 shown]
	v_dual_mov_b32 v70, v8 :: v_dual_mov_b32 v65, v3
	v_dual_mov_b32 v26, v4 :: v_dual_mov_b32 v27, v50
	;; [unrolled: 1-line block ×11, first 2 shown]
	v_mov_b32_e32 v64, v2
	v_dual_mov_b32 v4, v9 :: v_dual_mov_b32 v51, v50
.LBB5_37:
	s_or_b32 exec_lo, exec_lo, s2
	v_mov_b32_e32 v1, v20
	s_mov_b32 s2, exec_lo
	s_delay_alu instid0(VALU_DEP_2)
	v_cmpx_lt_f32_e32 v4, v20
	s_cbranch_execz .LBB5_39
; %bb.38:
	v_dual_mov_b32 v67, v52 :: v_dual_mov_b32 v68, v51
	v_dual_mov_b32 v69, v53 :: v_dual_mov_b32 v76, v43
	;; [unrolled: 1-line block ×4, first 2 shown]
	v_mov_b32_e32 v19, v20
	v_dual_mov_b32 v20, v4 :: v_dual_mov_b32 v31, v71
	v_dual_mov_b32 v23, v63 :: v_dual_mov_b32 v24, v64
	;; [unrolled: 1-line block ×9, first 2 shown]
.LBB5_39:
	s_or_b32 exec_lo, exec_lo, s2
	s_delay_alu instid0(VALU_DEP_1)
	v_cmp_lt_f32_e32 vcc_lo, v1, v21
	v_mov_b32_e32 v4, v18
	v_mov_b32_e32 v8, v22
	s_mov_b32 s2, exec_lo
	v_dual_mov_b32 v2, v16 :: v_dual_cndmask_b32 v9, v37, v36
	v_cndmask_b32_e32 v36, v36, v37, vcc_lo
	v_cndmask_b32_e32 v10, v29, v28, vcc_lo
	v_dual_cndmask_b32 v28, v28, v29 :: v_dual_mov_b32 v3, v17
	v_cndmask_b32_e32 v7, v21, v1, vcc_lo
	v_dual_cndmask_b32 v6, v20, v21 :: v_dual_mov_b32 v5, v19
	v_mov_b32_e32 v1, v15
	v_cmpx_lt_f32_e32 v15, v16
	s_cbranch_execz .LBB5_41
; %bb.40:
	s_delay_alu instid0(VALU_DEP_2)
	v_dual_mov_b32 v39, v2 :: v_dual_mov_b32 v40, v1
	v_dual_mov_b32 v41, v3 :: v_dual_mov_b32 v42, v4
	;; [unrolled: 1-line block ×4, first 2 shown]
	v_mov_b32_e32 v11, v31
	v_mov_b32_e32 v12, v23
	v_dual_mov_b32 v1, v39 :: v_dual_mov_b32 v4, v42
	v_swap_b32 v31, v32
	v_swap_b32 v23, v24
	v_dual_mov_b32 v2, v40 :: v_dual_mov_b32 v3, v41
	v_dual_mov_b32 v5, v43 :: v_dual_mov_b32 v6, v44
	v_dual_mov_b32 v7, v45 :: v_dual_mov_b32 v8, v46
	v_mov_b32_e32 v16, v15
.LBB5_41:
	s_or_b32 exec_lo, exec_lo, s2
	v_mov_b32_e32 v29, v10
	v_dual_mov_b32 v37, v9 :: v_dual_mov_b32 v54, v30
	v_mov_b32_e32 v46, v38
	v_dual_mov_b32 v44, v36 :: v_dual_mov_b32 v39, v31
	v_dual_mov_b32 v70, v38 :: v_dual_mov_b32 v49, v25
	s_delay_alu instid0(VALU_DEP_4)
	v_dual_mov_b32 v62, v30 :: v_dual_mov_b32 v45, v37
	v_dual_mov_b32 v43, v35 :: v_dual_mov_b32 v42, v34
	;; [unrolled: 1-line block ×12, first 2 shown]
	v_mov_b32_e32 v57, v25
	v_mov_b32_e32 v55, v23
	;; [unrolled: 1-line block ×3, first 2 shown]
	s_mov_b32 s2, exec_lo
	v_cmpx_lt_f32_e32 v16, v3
	s_cbranch_execz .LBB5_43
; %bb.42:
	v_dual_mov_b32 v62, v30 :: v_dual_mov_b32 v61, v29
	v_dual_mov_b32 v58, v26 :: v_dual_mov_b32 v57, v25
	;; [unrolled: 1-line block ×7, first 2 shown]
	s_delay_alu instid0(VALU_DEP_4)
	v_dual_mov_b32 v47, v55 :: v_dual_mov_b32 v48, v56
	v_dual_mov_b32 v68, v36 :: v_dual_mov_b32 v67, v35
	;; [unrolled: 1-line block ×16, first 2 shown]
	v_mov_b32_e32 v44, v36
	v_dual_mov_b32 v46, v38 :: v_dual_mov_b32 v11, v16
	v_mov_b32_e32 v33, v32
	v_mov_b32_e32 v25, v24
.LBB5_43:
	s_or_b32 exec_lo, exec_lo, s2
	v_mov_b32_e32 v12, v4
	s_mov_b32 s2, exec_lo
	v_cmpx_lt_f32_e32 v11, v4
	s_cbranch_execz .LBB5_45
; %bb.44:
	v_mov_b32_e32 v57, v26
	v_dual_mov_b32 v3, v4 :: v_dual_mov_b32 v4, v11
	v_mov_b32_e32 v65, v34
	v_dual_mov_b32 v47, v55 :: v_dual_mov_b32 v52, v60
	v_dual_mov_b32 v48, v56 :: v_dual_mov_b32 v39, v63
	;; [unrolled: 1-line block ×3, first 2 shown]
	v_mov_b32_e32 v54, v62
	v_dual_mov_b32 v50, v58 :: v_dual_mov_b32 v51, v59
	v_mov_b32_e32 v50, v25
	v_dual_mov_b32 v53, v61 :: v_dual_mov_b32 v52, v28
	v_dual_mov_b32 v41, v65 :: v_dual_mov_b32 v44, v68
	;; [unrolled: 1-line block ×8, first 2 shown]
	v_mov_b32_e32 v12, v11
	v_mov_b32_e32 v34, v33
	;; [unrolled: 1-line block ×3, first 2 shown]
.LBB5_45:
	s_or_b32 exec_lo, exec_lo, s2
	v_mov_b32_e32 v11, v5
	s_mov_b32 s2, exec_lo
	v_cmpx_lt_f32_e32 v12, v5
	s_cbranch_execz .LBB5_47
; %bb.46:
	v_dual_mov_b32 v68, v36 :: v_dual_mov_b32 v69, v9
	v_dual_mov_b32 v58, v27 :: v_dual_mov_b32 v59, v26
	;; [unrolled: 1-line block ×4, first 2 shown]
	v_mov_b32_e32 v70, v38
	v_dual_mov_b32 v4, v5 :: v_dual_mov_b32 v5, v12
	v_dual_mov_b32 v62, v30 :: v_dual_mov_b32 v39, v63
	;; [unrolled: 1-line block ×10, first 2 shown]
.LBB5_47:
	s_or_b32 exec_lo, exec_lo, s2
	s_delay_alu instid0(VALU_DEP_1)
	v_cmp_lt_f32_e32 vcc_lo, v11, v6
	v_dual_mov_b32 v19, v1 :: v_dual_mov_b32 v26, v8
	v_mov_b32_e32 v21, v3
	v_mov_b32_e32 v25, v7
	v_dual_cndmask_b32 v27, v44, v43 :: v_dual_mov_b32 v20, v2
	v_dual_cndmask_b32 v43, v43, v44 :: v_dual_cndmask_b32 v28, v52, v51
	v_dual_cndmask_b32 v51, v51, v52 :: v_dual_cndmask_b32 v24, v6, v11
	v_dual_cndmask_b32 v23, v5, v6 :: v_dual_mov_b32 v22, v4
	s_mov_b32 s2, exec_lo
	v_cmpx_lt_f32_e32 v1, v2
	s_cbranch_execz .LBB5_49
; %bb.48:
	v_dual_mov_b32 v8, v25 :: v_dual_mov_b32 v9, v26
	v_dual_mov_b32 v2, v20 :: v_dual_mov_b32 v3, v19
	v_dual_mov_b32 v4, v21 :: v_dual_mov_b32 v5, v22
	v_dual_mov_b32 v6, v23 :: v_dual_mov_b32 v7, v24
	v_mov_b32_e32 v10, v39
	v_dual_mov_b32 v11, v47 :: v_dual_mov_b32 v26, v9
	v_swap_b32 v39, v40
	v_swap_b32 v47, v48
	v_dual_mov_b32 v25, v8 :: v_dual_mov_b32 v24, v7
	v_dual_mov_b32 v23, v6 :: v_dual_mov_b32 v22, v5
	v_dual_mov_b32 v21, v4 :: v_dual_mov_b32 v20, v3
	v_dual_mov_b32 v19, v2 :: v_dual_mov_b32 v2, v1
.LBB5_49:
	s_or_b32 exec_lo, exec_lo, s2
	v_mov_b32_e32 v52, v28
	v_mov_b32_e32 v44, v27
	;; [unrolled: 1-line block ×4, first 2 shown]
	v_dual_mov_b32 v11, v39 :: v_dual_mov_b32 v4, v48
	v_dual_mov_b32 v12, v40 :: v_dual_mov_b32 v13, v41
	v_dual_mov_b32 v14, v42 :: v_dual_mov_b32 v15, v43
	v_dual_mov_b32 v16, v44 :: v_dual_mov_b32 v17, v45
	v_dual_mov_b32 v18, v46 :: v_dual_mov_b32 v7, v51
	v_dual_mov_b32 v6, v50 :: v_dual_mov_b32 v9, v53
	v_dual_mov_b32 v8, v52 :: v_dual_mov_b32 v1, v21
	v_mov_b32_e32 v10, v54
	s_mov_b32 s2, exec_lo
	v_cmpx_lt_f32_e32 v2, v21
	s_cbranch_execz .LBB5_51
; %bb.50:
	v_dual_mov_b32 v3, v47 :: v_dual_mov_b32 v4, v48
	v_dual_mov_b32 v9, v53 :: v_dual_mov_b32 v10, v54
	;; [unrolled: 1-line block ×17, first 2 shown]
	v_mov_b32_e32 v49, v48
.LBB5_51:
	s_or_b32 exec_lo, exec_lo, s2
	v_mov_b32_e32 v29, v22
	s_mov_b32 s2, exec_lo
	v_cmpx_lt_f32_e32 v1, v22
; %bb.52:
	v_dual_mov_b32 v21, v22 :: v_dual_mov_b32 v22, v1
	v_dual_mov_b32 v5, v50 :: v_dual_mov_b32 v6, v49
	;; [unrolled: 1-line block ×7, first 2 shown]
	v_mov_b32_e32 v29, v1
; %bb.53:
	s_or_b32 exec_lo, exec_lo, s2
	s_delay_alu instid0(VALU_DEP_1)
	v_cmp_lt_f32_e32 vcc_lo, v29, v23
	v_dual_mov_b32 v28, v20 :: v_dual_mov_b32 v33, v25
	v_mov_b32_e32 v32, v24
	v_dual_mov_b32 v34, v26 :: v_dual_cndmask_b32 v1, v15, v14
	v_cndmask_b32_e32 v14, v14, v15, vcc_lo
	v_cndmask_b32_e32 v2, v7, v6, vcc_lo
	v_dual_cndmask_b32 v6, v6, v7 :: v_dual_cndmask_b32 v31, v23, v29
	v_dual_cndmask_b32 v30, v22, v23 :: v_dual_mov_b32 v27, v19
	v_mov_b32_e32 v29, v21
	s_mov_b32 s2, exec_lo
	v_cmpx_lt_f32_e32 v19, v20
	s_cbranch_execz .LBB5_55
; %bb.54:
	v_dual_mov_b32 v20, v28 :: v_dual_mov_b32 v21, v27
	v_dual_mov_b32 v26, v33 :: v_dual_mov_b32 v27, v34
	;; [unrolled: 1-line block ×4, first 2 shown]
	s_delay_alu instid0(VALU_DEP_3)
	v_mov_b32_e32 v34, v27
	v_mov_b32_e32 v7, v11
	v_dual_mov_b32 v15, v3 :: v_dual_mov_b32 v28, v21
	v_swap_b32 v11, v12
	v_swap_b32 v3, v4
	v_dual_mov_b32 v33, v26 :: v_dual_mov_b32 v30, v23
	v_dual_mov_b32 v32, v25 :: v_dual_mov_b32 v31, v24
	v_mov_b32_e32 v29, v22
	v_dual_mov_b32 v27, v20 :: v_dual_mov_b32 v20, v19
.LBB5_55:
	s_or_b32 exec_lo, exec_lo, s2
	v_mov_b32_e32 v7, v2
	v_mov_b32_e32 v15, v1
	;; [unrolled: 1-line block ×3, first 2 shown]
	s_mov_b32 s2, exec_lo
	v_cmpx_lt_f32_e32 v20, v29
	s_cbranch_execz .LBB5_57
; %bb.56:
	v_dual_mov_b32 v42, v10 :: v_dual_mov_b32 v41, v9
	v_dual_mov_b32 v40, v8 :: v_dual_mov_b32 v39, v7
	;; [unrolled: 1-line block ×16, first 2 shown]
	v_mov_b32_e32 v18, v9
	s_delay_alu instid0(VALU_DEP_3) | instskip(NEXT) | instid1(VALU_DEP_4)
	v_dual_mov_b32 v16, v7 :: v_dual_mov_b32 v15, v6
	v_dual_mov_b32 v17, v8 :: v_dual_mov_b32 v14, v5
	;; [unrolled: 1-line block ×3, first 2 shown]
	v_mov_b32_e32 v11, v2
	v_dual_mov_b32 v3, v35 :: v_dual_mov_b32 v4, v36
	v_dual_mov_b32 v5, v37 :: v_dual_mov_b32 v6, v38
	v_dual_mov_b32 v7, v39 :: v_dual_mov_b32 v8, v40
	v_dual_mov_b32 v9, v41 :: v_dual_mov_b32 v10, v42
	v_mov_b32_e32 v19, v20
.LBB5_57:
	s_or_b32 exec_lo, exec_lo, s2
	s_delay_alu instid0(VALU_DEP_1)
	v_cmp_lt_f32_e32 vcc_lo, v19, v30
	v_dual_mov_b32 v20, v7 :: v_dual_mov_b32 v21, v8
	v_dual_mov_b32 v22, v9 :: v_dual_mov_b32 v23, v10
	v_dual_cndmask_b32 v1, v14, v13 :: v_dual_cndmask_b32 v36, v5, v6
	v_dual_cndmask_b32 v35, v13, v14 :: v_dual_cndmask_b32 v2, v6, v5
	;; [unrolled: 1-line block ×3, first 2 shown]
	v_dual_mov_b32 v6, v15 :: v_dual_mov_b32 v13, v16
	v_dual_mov_b32 v14, v17 :: v_dual_mov_b32 v19, v18
	;; [unrolled: 1-line block ×4, first 2 shown]
	v_mov_b32_e32 v29, v34
	s_mov_b32 s2, exec_lo
	v_cmpx_lt_f32_e32 v27, v28
	s_cbranch_execz .LBB5_59
; %bb.58:
	v_dual_mov_b32 v24, v28 :: v_dual_mov_b32 v37, v27
	v_dual_mov_b32 v6, v11 :: v_dual_mov_b32 v13, v16
	;; [unrolled: 1-line block ×3, first 2 shown]
	v_swap_b32 v11, v12
	v_swap_b32 v3, v4
	v_dual_mov_b32 v28, v27 :: v_dual_mov_b32 v21, v8
	v_dual_mov_b32 v6, v15 :: v_dual_mov_b32 v23, v10
	;; [unrolled: 1-line block ×5, first 2 shown]
	v_mov_b32_e32 v24, v31
	v_mov_b32_e32 v26, v33
.LBB5_59:
	s_or_b32 exec_lo, exec_lo, s2
	s_clause 0x1
	s_load_b32 s8, s[0:1], 0x28
	s_load_b128 s[4:7], s[0:1], 0x10
	v_mov_b32_e32 v8, 0
	s_waitcnt lgkmcnt(0)
	s_cmp_lt_i32 s8, 1
	s_cbranch_scc1 .LBB5_65
; %bb.60:
	v_cmp_lt_f32_e32 vcc_lo, v28, v30
	v_dual_mov_b32 v8, 0 :: v_dual_mov_b32 v9, 0
	s_mov_b32 s9, 0x76543210
	s_mov_b32 s10, s8
	v_dual_cndmask_b32 v7, v36, v4 :: v_dual_cndmask_b32 v18, v37, v30
	v_cndmask_b32_e32 v4, v4, v36, vcc_lo
	v_cndmask_b32_e32 v10, v30, v28, vcc_lo
	v_dual_cndmask_b32 v15, v35, v12 :: v_dual_cndmask_b32 v28, v12, v35
	s_delay_alu instid0(VALU_DEP_4) | instskip(NEXT) | instid1(VALU_DEP_1)
	v_cmp_lt_f32_e64 s2, v27, v18
	v_cndmask_b32_e64 v12, v4, v3, s2
	v_cndmask_b32_e64 v16, v3, v4, s2
	v_cndmask_b32_e64 v17, v18, v27, s2
	v_cndmask_b32_e64 v18, v27, v18, s2
	v_cndmask_b32_e64 v27, v28, v11, s2
	v_cndmask_b32_e64 v11, v11, v28, s2
	v_dual_mov_b32 v28, v0 :: v_dual_mov_b32 v3, 0
	v_mov_b32_e32 v4, 0
.LBB5_61:                               ; =>This Inner Loop Header: Depth=1
	v_cmp_eq_u32_e32 vcc_lo, 1, v9
	v_cmp_eq_u32_e64 s2, 2, v9
	v_dual_cndmask_b32 v30, v18, v17 :: v_dual_cndmask_b32 v31, v16, v12
	v_cndmask_b32_e32 v32, v11, v27, vcc_lo
	v_cmp_eq_u32_e32 vcc_lo, 3, v9
	s_delay_alu instid0(VALU_DEP_3) | instskip(NEXT) | instid1(VALU_DEP_4)
	v_cndmask_b32_e64 v30, v30, v10, s2
	v_cndmask_b32_e64 v31, v31, v7, s2
	s_delay_alu instid0(VALU_DEP_4) | instskip(SKIP_1) | instid1(VALU_DEP_3)
	v_cndmask_b32_e64 v32, v32, v15, s2
	v_cmp_eq_u32_e64 s2, 4, v9
	v_dual_cndmask_b32 v30, v30, v5 :: v_dual_cndmask_b32 v31, v31, v2
	s_delay_alu instid0(VALU_DEP_3) | instskip(SKIP_1) | instid1(VALU_DEP_3)
	v_cndmask_b32_e32 v32, v32, v1, vcc_lo
	v_cmp_eq_u32_e32 vcc_lo, 5, v9
	v_cndmask_b32_e64 v30, v30, v24, s2
	s_delay_alu instid0(VALU_DEP_4) | instskip(NEXT) | instid1(VALU_DEP_4)
	v_cndmask_b32_e64 v31, v31, v20, s2
	v_cndmask_b32_e64 v32, v32, v6, s2
	v_cmp_eq_u32_e64 s2, 6, v9
	s_delay_alu instid0(VALU_DEP_4) | instskip(NEXT) | instid1(VALU_DEP_4)
	v_cndmask_b32_e32 v30, v30, v25, vcc_lo
	v_cndmask_b32_e32 v31, v31, v21, vcc_lo
	s_delay_alu instid0(VALU_DEP_4) | instskip(SKIP_1) | instid1(VALU_DEP_4)
	v_cndmask_b32_e32 v32, v32, v13, vcc_lo
	v_cmp_eq_u32_e32 vcc_lo, 7, v9
	v_cndmask_b32_e64 v30, v30, v26, s2
	s_delay_alu instid0(VALU_DEP_4) | instskip(NEXT) | instid1(VALU_DEP_4)
	v_cndmask_b32_e64 v31, v31, v22, s2
	v_cndmask_b32_e64 v32, v32, v14, s2
	v_cmp_gt_u32_e64 s2, 8, v9
	s_delay_alu instid0(VALU_DEP_3) | instskip(NEXT) | instid1(VALU_DEP_1)
	v_dual_cndmask_b32 v30, v30, v29 :: v_dual_cndmask_b32 v31, v31, v23
	v_cndmask_b32_e64 v30, 0xff800000, v30, s2
	;;#ASMSTART
	v_max_f32 v34, v30, v30 quad_perm:[1,0,3,2] row_mask:0xf bank_mask:0xf bound_ctrl:1
	;;#ASMEND
	;;#ASMSTART
	v_max_f32 v35, v34, v34 quad_perm:[2,3,0,1] row_mask:0xf bank_mask:0xf bound_ctrl:1
	;;#ASMEND
	;;#ASMSTART
	v_max_f32 v34, v35, v35 row_half_mirror row_mask:0xf bank_mask:0xf bound_ctrl:1
	;;#ASMEND
	;;#ASMSTART
	v_max_f32 v35, v34, v34 row_mirror row_mask:0xf bank_mask:0xf bound_ctrl:1
	;;#ASMEND
	v_permlanex16_b32 v34, v35, s9, 0xfedcba98 op_sel:[1,1]
	v_max_f32_e32 v35, v35, v35
	v_cndmask_b32_e64 v33, 0, v31, s2
	s_delay_alu instid0(VALU_DEP_3) | instskip(NEXT) | instid1(VALU_DEP_1)
	v_max_f32_e32 v34, v34, v34
	v_max_f32_e32 v34, v35, v34
	s_delay_alu instid0(VALU_DEP_1) | instskip(SKIP_1) | instid1(VALU_DEP_2)
	v_cmp_eq_f32_e64 s3, v30, v34
	v_cndmask_b32_e32 v30, v32, v19, vcc_lo
	s_ctz_i32_b32 s11, s3
	s_cmp_lg_u32 s3, 0
	s_cselect_b32 s3, s11, 0
	s_add_i32 s10, s10, -1
	v_readlane_b32 s3, v33, s3
	s_delay_alu instid0(VALU_DEP_1)
	v_cmp_eq_u32_e32 vcc_lo, s3, v31
	s_and_b32 vcc_lo, s2, vcc_lo
	s_and_b32 s2, s3, 31
	v_cndmask_b32_e32 v30, 0, v30, vcc_lo
	v_add_co_ci_u32_e32 v9, vcc_lo, 0, v9, vcc_lo
	s_cmp_eq_u32 s10, 0
	s_delay_alu instid0(VALU_DEP_2) | instskip(SKIP_2) | instid1(VALU_DEP_3)
	v_readlane_b32 s11, v30, s2
	v_cmp_eq_u32_e64 s2, 0, v28
	v_add_nc_u32_e32 v28, -1, v28
	v_add_f32_e32 v8, s11, v8
	s_delay_alu instid0(VALU_DEP_3)
	v_cndmask_b32_e64 v4, v4, s11, s2
	v_cndmask_b32_e64 v3, v3, s3, s2
	s_cbranch_scc0 .LBB5_61
; %bb.62:
	s_mov_b32 s2, exec_lo
	v_cmpx_gt_i32_e64 s8, v0
	s_cbranch_execz .LBB5_64
.LBB5_63:
	s_load_b32 s2, s[0:1], 0x30
	v_max_f32_e32 v0, v8, v8
	s_load_b64 s[0:1], s[0:1], 0x20
	s_ashr_i32 s3, s15, 31
	s_delay_alu instid0(VALU_DEP_1) | instskip(SKIP_1) | instid1(VALU_DEP_1)
	v_max_f32_e32 v0, 0x1e3ce508, v0
	s_waitcnt lgkmcnt(0)
	v_div_scale_f32 v1, null, v0, v0, s2
	v_div_scale_f32 v6, vcc_lo, s2, v0, s2
	s_mul_i32 s1, s15, s1
	s_delay_alu instid0(VALU_DEP_2)
	v_rcp_f32_e32 v2, v1
	s_mul_hi_u32 s8, s15, s0
	s_mul_i32 s3, s3, s0
	s_add_i32 s1, s8, s1
	s_mul_i32 s0, s15, s0
	s_add_i32 s1, s1, s3
	s_delay_alu instid0(SALU_CYCLE_1) | instskip(SKIP_2) | instid1(VALU_DEP_1)
	s_lshl_b64 s[0:1], s[0:1], 2
	s_waitcnt_depctr 0xfff
	v_fma_f32 v5, -v1, v2, 1.0
	v_fmac_f32_e32 v2, v5, v2
	s_delay_alu instid0(VALU_DEP_1) | instskip(NEXT) | instid1(VALU_DEP_1)
	v_mul_f32_e32 v5, v6, v2
	v_fma_f32 v7, -v1, v5, v6
	s_delay_alu instid0(VALU_DEP_1) | instskip(NEXT) | instid1(VALU_DEP_1)
	v_fmac_f32_e32 v5, v7, v2
	v_fma_f32 v1, -v1, v5, v6
	s_delay_alu instid0(VALU_DEP_1) | instskip(NEXT) | instid1(VALU_DEP_1)
	v_div_fmas_f32 v1, v1, v2, v5
	v_div_fixup_f32 v0, v1, v0, s2
	s_add_u32 s2, s4, s0
	s_addc_u32 s3, s5, s1
	s_add_u32 s0, s6, s0
	s_addc_u32 s1, s7, s1
	v_mul_f32_e32 v0, v4, v0
	s_clause 0x1
	global_store_b32 v103, v0, s[2:3]
	global_store_b32 v103, v3, s[0:1]
.LBB5_64:
	s_nop 0
	s_sendmsg sendmsg(MSG_DEALLOC_VGPRS)
	s_endpgm
.LBB5_65:
	v_dual_mov_b32 v3, 0 :: v_dual_mov_b32 v4, 0
	s_mov_b32 s2, exec_lo
	v_cmpx_gt_i32_e64 s8, v0
	s_cbranch_execnz .LBB5_63
	s_branch .LBB5_64
	.section	.rodata,"a",@progbits
	.p2align	6, 0x0
	.amdhsa_kernel _ZN5aiter24topk_softplus_kernel_optIffLi256ELb1ELi1EEEvPKT_PKT0_PfPimiif
		.amdhsa_group_segment_fixed_size 0
		.amdhsa_private_segment_fixed_size 0
		.amdhsa_kernarg_size 52
		.amdhsa_user_sgpr_count 15
		.amdhsa_user_sgpr_dispatch_ptr 0
		.amdhsa_user_sgpr_queue_ptr 0
		.amdhsa_user_sgpr_kernarg_segment_ptr 1
		.amdhsa_user_sgpr_dispatch_id 0
		.amdhsa_user_sgpr_private_segment_size 0
		.amdhsa_wavefront_size32 1
		.amdhsa_uses_dynamic_stack 0
		.amdhsa_enable_private_segment 0
		.amdhsa_system_sgpr_workgroup_id_x 1
		.amdhsa_system_sgpr_workgroup_id_y 0
		.amdhsa_system_sgpr_workgroup_id_z 0
		.amdhsa_system_sgpr_workgroup_info 0
		.amdhsa_system_vgpr_workitem_id 0
		.amdhsa_next_free_vgpr 104
		.amdhsa_next_free_sgpr 16
		.amdhsa_reserve_vcc 1
		.amdhsa_float_round_mode_32 0
		.amdhsa_float_round_mode_16_64 0
		.amdhsa_float_denorm_mode_32 3
		.amdhsa_float_denorm_mode_16_64 3
		.amdhsa_dx10_clamp 1
		.amdhsa_ieee_mode 1
		.amdhsa_fp16_overflow 0
		.amdhsa_workgroup_processor_mode 1
		.amdhsa_memory_ordered 1
		.amdhsa_forward_progress 0
		.amdhsa_shared_vgpr_count 0
		.amdhsa_exception_fp_ieee_invalid_op 0
		.amdhsa_exception_fp_denorm_src 0
		.amdhsa_exception_fp_ieee_div_zero 0
		.amdhsa_exception_fp_ieee_overflow 0
		.amdhsa_exception_fp_ieee_underflow 0
		.amdhsa_exception_fp_ieee_inexact 0
		.amdhsa_exception_int_div_zero 0
	.end_amdhsa_kernel
	.section	.text._ZN5aiter24topk_softplus_kernel_optIffLi256ELb1ELi1EEEvPKT_PKT0_PfPimiif,"axG",@progbits,_ZN5aiter24topk_softplus_kernel_optIffLi256ELb1ELi1EEEvPKT_PKT0_PfPimiif,comdat
.Lfunc_end5:
	.size	_ZN5aiter24topk_softplus_kernel_optIffLi256ELb1ELi1EEEvPKT_PKT0_PfPimiif, .Lfunc_end5-_ZN5aiter24topk_softplus_kernel_optIffLi256ELb1ELi1EEEvPKT_PKT0_PfPimiif
                                        ; -- End function
	.section	.AMDGPU.csdata,"",@progbits
; Kernel info:
; codeLenInByte = 6852
; NumSgprs: 18
; NumVgprs: 104
; ScratchSize: 0
; MemoryBound: 0
; FloatMode: 240
; IeeeMode: 1
; LDSByteSize: 0 bytes/workgroup (compile time only)
; SGPRBlocks: 2
; VGPRBlocks: 12
; NumSGPRsForWavesPerEU: 18
; NumVGPRsForWavesPerEU: 104
; Occupancy: 12
; WaveLimiterHint : 0
; COMPUTE_PGM_RSRC2:SCRATCH_EN: 0
; COMPUTE_PGM_RSRC2:USER_SGPR: 15
; COMPUTE_PGM_RSRC2:TRAP_HANDLER: 0
; COMPUTE_PGM_RSRC2:TGID_X_EN: 1
; COMPUTE_PGM_RSRC2:TGID_Y_EN: 0
; COMPUTE_PGM_RSRC2:TGID_Z_EN: 0
; COMPUTE_PGM_RSRC2:TIDIG_COMP_CNT: 0
	.section	.text._ZN5aiter24topk_softplus_kernel_optIffLi256ELb0ELi1EEEvPKT_PKT0_PfPimiif,"axG",@progbits,_ZN5aiter24topk_softplus_kernel_optIffLi256ELb0ELi1EEEvPKT_PKT0_PfPimiif,comdat
	.protected	_ZN5aiter24topk_softplus_kernel_optIffLi256ELb0ELi1EEEvPKT_PKT0_PfPimiif ; -- Begin function _ZN5aiter24topk_softplus_kernel_optIffLi256ELb0ELi1EEEvPKT_PKT0_PfPimiif
	.globl	_ZN5aiter24topk_softplus_kernel_optIffLi256ELb0ELi1EEEvPKT_PKT0_PfPimiif
	.p2align	8
	.type	_ZN5aiter24topk_softplus_kernel_optIffLi256ELb0ELi1EEEvPKT_PKT0_PfPimiif,@function
_ZN5aiter24topk_softplus_kernel_optIffLi256ELb0ELi1EEEvPKT_PKT0_PfPimiif: ; @_ZN5aiter24topk_softplus_kernel_optIffLi256ELb0ELi1EEEvPKT_PKT0_PfPimiif
; %bb.0:
	s_load_b128 s[4:7], s[0:1], 0x0
	s_lshl_b32 s2, s15, 8
	v_lshlrev_b32_e32 v103, 2, v0
	s_ashr_i32 s3, s2, 31
	s_delay_alu instid0(SALU_CYCLE_1)
	s_lshl_b64 s[2:3], s[2:3], 2
	s_waitcnt lgkmcnt(0)
	s_add_u32 s4, s4, s2
	s_addc_u32 s5, s5, s3
	s_cmp_lg_u64 s[6:7], 0
	global_load_b32 v1, v103, s[4:5]
	s_cselect_b32 s2, -1, 0
	s_waitcnt vmcnt(0)
	v_mul_f32_e32 v2, 0xbfb8aa3b, v1
	s_delay_alu instid0(VALU_DEP_1) | instskip(SKIP_1) | instid1(VALU_DEP_1)
	v_cmp_gt_f32_e32 vcc_lo, 0xc2fc0000, v2
	v_cndmask_b32_e64 v2, 0, 0x42800000, vcc_lo
	v_fmac_f32_e32 v2, 0xbfb8aa3b, v1
	s_delay_alu instid0(VALU_DEP_1) | instskip(SKIP_4) | instid1(VALU_DEP_1)
	v_exp_f32_e32 v1, v2
	v_cndmask_b32_e64 v2, 1.0, 0x1f800000, vcc_lo
	s_and_b32 vcc_lo, exec_lo, s2
	s_waitcnt_depctr 0xfff
	v_fma_f32 v1, v1, v2, 1.0
	v_rcp_f32_e32 v48, v1
	v_add_co_u32 v1, s3, s4, v103
	s_delay_alu instid0(VALU_DEP_1)
	v_add_co_ci_u32_e64 v2, null, s5, 0, s3
	s_waitcnt_depctr 0xfff
	v_mov_b32_e32 v32, v48
	s_cbranch_vccz .LBB6_2
; %bb.1:
	global_load_b32 v3, v103, s[6:7]
	s_waitcnt vmcnt(0)
	v_add_f32_e32 v32, v48, v3
.LBB6_2:
	global_load_b32 v3, v[1:2], off offset:128
	s_waitcnt vmcnt(0)
	v_mul_f32_e32 v4, 0xbfb8aa3b, v3
	s_delay_alu instid0(VALU_DEP_1) | instskip(SKIP_3) | instid1(VALU_DEP_2)
	v_cmp_gt_f32_e32 vcc_lo, 0xc2fc0000, v4
	v_cndmask_b32_e64 v5, 0, 0x42800000, vcc_lo
	v_cndmask_b32_e64 v4, 1.0, 0x1f800000, vcc_lo
	s_and_not1_b32 vcc_lo, exec_lo, s2
	v_fmac_f32_e32 v5, 0xbfb8aa3b, v3
	s_delay_alu instid0(VALU_DEP_1) | instskip(SKIP_2) | instid1(VALU_DEP_1)
	v_exp_f32_e32 v3, v5
	s_waitcnt_depctr 0xfff
	v_fma_f32 v3, v3, v4, 1.0
	v_rcp_f32_e32 v17, v3
	v_cndmask_b32_e64 v3, 0, 1, s2
	s_waitcnt_depctr 0xfff
	v_mov_b32_e32 v33, v17
	s_cbranch_vccnz .LBB6_4
; %bb.3:
	global_load_b32 v4, v103, s[6:7] offset:128
	s_waitcnt vmcnt(0)
	v_add_f32_e32 v33, v17, v4
.LBB6_4:
	global_load_b32 v4, v[1:2], off offset:256
	s_waitcnt vmcnt(0)
	v_mul_f32_e32 v5, 0xbfb8aa3b, v4
	s_delay_alu instid0(VALU_DEP_1) | instskip(SKIP_3) | instid1(VALU_DEP_3)
	v_cmp_gt_f32_e32 vcc_lo, 0xc2fc0000, v5
	v_cndmask_b32_e64 v6, 0, 0x42800000, vcc_lo
	v_cndmask_b32_e64 v5, 1.0, 0x1f800000, vcc_lo
	v_cmp_ne_u32_e32 vcc_lo, 1, v3
	v_fmac_f32_e32 v6, 0xbfb8aa3b, v4
	s_and_b32 vcc_lo, exec_lo, vcc_lo
	s_delay_alu instid0(VALU_DEP_1) | instskip(SKIP_2) | instid1(VALU_DEP_1)
	v_exp_f32_e32 v4, v6
	s_waitcnt_depctr 0xfff
	v_fma_f32 v4, v4, v5, 1.0
	v_rcp_f32_e32 v18, v4
	s_waitcnt_depctr 0xfff
	v_mov_b32_e32 v34, v18
	s_cbranch_vccnz .LBB6_6
; %bb.5:
	global_load_b32 v4, v103, s[6:7] offset:256
	s_waitcnt vmcnt(0)
	v_add_f32_e32 v34, v18, v4
.LBB6_6:
	global_load_b32 v4, v[1:2], off offset:384
	s_waitcnt vmcnt(0)
	v_mul_f32_e32 v5, 0xbfb8aa3b, v4
	s_delay_alu instid0(VALU_DEP_1) | instskip(SKIP_3) | instid1(VALU_DEP_3)
	v_cmp_gt_f32_e32 vcc_lo, 0xc2fc0000, v5
	v_cndmask_b32_e64 v6, 0, 0x42800000, vcc_lo
	v_cndmask_b32_e64 v5, 1.0, 0x1f800000, vcc_lo
	v_cmp_ne_u32_e32 vcc_lo, 1, v3
	v_fmac_f32_e32 v6, 0xbfb8aa3b, v4
	s_and_b32 vcc_lo, exec_lo, vcc_lo
	s_delay_alu instid0(VALU_DEP_1) | instskip(SKIP_2) | instid1(VALU_DEP_1)
	v_exp_f32_e32 v4, v6
	s_waitcnt_depctr 0xfff
	v_fma_f32 v4, v4, v5, 1.0
	v_rcp_f32_e32 v19, v4
	;; [unrolled: 23-line block ×5, first 2 shown]
	s_waitcnt_depctr 0xfff
	v_mov_b32_e32 v38, v22
	s_cbranch_vccnz .LBB6_14
; %bb.13:
	global_load_b32 v4, v103, s[6:7] offset:768
	s_waitcnt vmcnt(0)
	v_add_f32_e32 v38, v22, v4
.LBB6_14:
	global_load_b32 v1, v[1:2], off offset:896
	s_waitcnt vmcnt(0)
	v_mul_f32_e32 v2, 0xbfb8aa3b, v1
	s_delay_alu instid0(VALU_DEP_1) | instskip(SKIP_3) | instid1(VALU_DEP_3)
	v_cmp_gt_f32_e32 vcc_lo, 0xc2fc0000, v2
	v_cndmask_b32_e64 v4, 0, 0x42800000, vcc_lo
	v_cndmask_b32_e64 v2, 1.0, 0x1f800000, vcc_lo
	v_cmp_ne_u32_e32 vcc_lo, 1, v3
	v_fmac_f32_e32 v4, 0xbfb8aa3b, v1
	s_delay_alu instid0(VALU_DEP_1) | instskip(SKIP_2) | instid1(VALU_DEP_1)
	v_exp_f32_e32 v1, v4
	s_waitcnt_depctr 0xfff
	v_fma_f32 v1, v1, v2, 1.0
	v_rcp_f32_e32 v23, v1
	s_cbranch_vccnz .LBB6_16
; %bb.15:
	global_load_b32 v1, v103, s[6:7] offset:896
	s_waitcnt vmcnt(0)
	v_add_f32_e32 v39, v23, v1
	s_branch .LBB6_17
.LBB6_16:
	s_waitcnt_depctr 0xfff
	v_mov_b32_e32 v39, v23
.LBB6_17:
	v_add_nc_u32_e32 v7, 0xe0, v0
	v_dual_mov_b32 v8, v32 :: v_dual_add_nc_u32 v1, 32, v0
	v_dual_mov_b32 v9, v33 :: v_dual_add_nc_u32 v2, 64, v0
	;; [unrolled: 1-line block ×6, first 2 shown]
	v_dual_mov_b32 v14, v38 :: v_dual_mov_b32 v31, v7
	s_delay_alu instid0(VALU_DEP_2)
	v_dual_mov_b32 v47, v7 :: v_dual_mov_b32 v46, v6
	v_dual_mov_b32 v78, v7 :: v_dual_mov_b32 v77, v6
	;; [unrolled: 1-line block ×9, first 2 shown]
	v_mov_b32_e32 v40, v0
	v_dual_mov_b32 v76, v5 :: v_dual_mov_b32 v75, v4
	v_dual_mov_b32 v74, v3 :: v_dual_mov_b32 v73, v2
	;; [unrolled: 1-line block ×7, first 2 shown]
	s_mov_b32 s2, exec_lo
	v_cmpx_lt_f32_e32 v32, v33
	s_xor_b32 s2, exec_lo, s2
	s_cbranch_execz .LBB6_19
; %bb.18:
	v_dual_mov_b32 v30, v6 :: v_dual_mov_b32 v31, v7
	v_dual_mov_b32 v24, v1 :: v_dual_mov_b32 v25, v0
	;; [unrolled: 1-line block ×4, first 2 shown]
	s_delay_alu instid0(VALU_DEP_4)
	v_dual_mov_b32 v47, v31 :: v_dual_mov_b32 v46, v30
	v_dual_mov_b32 v78, v31 :: v_dual_mov_b32 v77, v30
	v_dual_mov_b32 v70, v31 :: v_dual_mov_b32 v69, v30
	v_dual_mov_b32 v8, v33 :: v_dual_mov_b32 v9, v32
	v_dual_mov_b32 v10, v34 :: v_dual_mov_b32 v11, v35
	v_dual_mov_b32 v12, v36 :: v_dual_mov_b32 v13, v37
	v_dual_mov_b32 v14, v38 :: v_dual_mov_b32 v15, v39
	v_dual_mov_b32 v45, v29 :: v_dual_mov_b32 v44, v28
	v_dual_mov_b32 v43, v27 :: v_dual_mov_b32 v42, v26
	v_dual_mov_b32 v41, v25 :: v_dual_mov_b32 v40, v24
	v_dual_mov_b32 v76, v29 :: v_dual_mov_b32 v75, v28
	v_dual_mov_b32 v74, v27 :: v_dual_mov_b32 v73, v26
	v_dual_mov_b32 v72, v25 :: v_dual_mov_b32 v71, v24
	v_dual_mov_b32 v68, v29 :: v_dual_mov_b32 v67, v28
	v_dual_mov_b32 v66, v27 :: v_dual_mov_b32 v65, v26
	v_dual_mov_b32 v64, v25 :: v_dual_mov_b32 v63, v24
	v_dual_mov_b32 v33, v32 :: v_dual_mov_b32 v16, v17
	v_mov_b32_e32 v17, v48
	v_mov_b32_e32 v1, v0
.LBB6_19:
	s_or_b32 exec_lo, exec_lo, s2
	v_dual_mov_b32 v62, v23 :: v_dual_mov_b32 v61, v22
	v_dual_mov_b32 v86, v23 :: v_dual_mov_b32 v85, v22
	;; [unrolled: 1-line block ×16, first 2 shown]
	v_mov_b32_e32 v32, v10
	s_mov_b32 s2, exec_lo
	v_cmpx_lt_f32_e32 v33, v10
	s_cbranch_execz .LBB6_21
; %bb.20:
	v_dual_mov_b32 v70, v31 :: v_dual_mov_b32 v69, v30
	v_dual_mov_b32 v64, v25 :: v_dual_mov_b32 v63, v24
	;; [unrolled: 1-line block ×13, first 2 shown]
	v_mov_b32_e32 v74, v3
	v_dual_mov_b32 v87, v95 :: v_dual_mov_b32 v88, v96
	v_dual_mov_b32 v76, v68 :: v_dual_mov_b32 v75, v67
	;; [unrolled: 1-line block ×5, first 2 shown]
	v_mov_b32_e32 v90, v19
	v_dual_mov_b32 v40, v71 :: v_dual_mov_b32 v45, v76
	v_mov_b32_e32 v41, v72
	v_dual_mov_b32 v43, v74 :: v_dual_mov_b32 v46, v77
	v_mov_b32_e32 v79, v87
	v_dual_mov_b32 v44, v75 :: v_dual_mov_b32 v9, v10
	v_dual_mov_b32 v42, v73 :: v_dual_mov_b32 v47, v78
	v_dual_mov_b32 v44, v4 :: v_dual_mov_b32 v81, v89
	;; [unrolled: 1-line block ×5, first 2 shown]
	v_mov_b32_e32 v84, v92
	v_mov_b32_e32 v86, v94
	v_dual_mov_b32 v24, v40 :: v_dual_mov_b32 v29, v45
	v_dual_mov_b32 v30, v46 :: v_dual_mov_b32 v25, v41
	;; [unrolled: 1-line block ×6, first 2 shown]
	v_mov_b32_e32 v61, v22
	v_mov_b32_e32 v62, v86
	v_dual_mov_b32 v28, v44 :: v_dual_mov_b32 v29, v5
	v_dual_mov_b32 v31, v7 :: v_dual_mov_b32 v32, v33
	;; [unrolled: 1-line block ×3, first 2 shown]
	v_mov_b32_e32 v57, v81
	v_mov_b32_e32 v60, v21
	;; [unrolled: 1-line block ×5, first 2 shown]
.LBB6_21:
	s_or_b32 exec_lo, exec_lo, s2
	v_mov_b32_e32 v1, v11
	s_mov_b32 s2, exec_lo
	v_cmpx_lt_f32_e32 v32, v11
	s_cbranch_execz .LBB6_23
; %bb.22:
	v_mov_b32_e32 v97, v19
	v_mov_b32_e32 v65, v3
	v_dual_mov_b32 v87, v95 :: v_dual_mov_b32 v88, v96
	v_mov_b32_e32 v78, v70
	v_dual_mov_b32 v92, v100 :: v_dual_mov_b32 v71, v63
	v_dual_mov_b32 v90, v98 :: v_dual_mov_b32 v91, v99
	;; [unrolled: 1-line block ×8, first 2 shown]
	v_mov_b32_e32 v80, v88
	s_delay_alu instid0(VALU_DEP_3)
	v_dual_mov_b32 v40, v71 :: v_dual_mov_b32 v41, v72
	v_dual_mov_b32 v83, v91 :: v_dual_mov_b32 v84, v92
	;; [unrolled: 1-line block ×20, first 2 shown]
	v_mov_b32_e32 v1, v32
	v_mov_b32_e32 v19, v18
	;; [unrolled: 1-line block ×3, first 2 shown]
.LBB6_23:
	s_or_b32 exec_lo, exec_lo, s2
	v_mov_b32_e32 v2, v12
	s_mov_b32 s2, exec_lo
	v_cmpx_lt_f32_e32 v1, v12
	s_cbranch_execz .LBB6_25
; %bb.24:
	v_mov_b32_e32 v98, v20
	v_dual_mov_b32 v66, v4 :: v_dual_mov_b32 v79, v95
	v_dual_mov_b32 v40, v63 :: v_dual_mov_b32 v41, v64
	;; [unrolled: 1-line block ×3, first 2 shown]
	s_delay_alu instid0(VALU_DEP_3)
	v_dual_mov_b32 v43, v66 :: v_dual_mov_b32 v80, v96
	v_mov_b32_e32 v81, v97
	v_dual_mov_b32 v46, v69 :: v_dual_mov_b32 v83, v99
	v_dual_mov_b32 v42, v65 :: v_dual_mov_b32 v45, v68
	;; [unrolled: 1-line block ×5, first 2 shown]
	v_mov_b32_e32 v44, v3
	v_dual_mov_b32 v55, v79 :: v_dual_mov_b32 v56, v80
	v_dual_mov_b32 v57, v81 :: v_dual_mov_b32 v24, v40
	;; [unrolled: 1-line block ×10, first 2 shown]
	v_mov_b32_e32 v73, v65
	v_dual_mov_b32 v12, v1 :: v_dual_mov_b32 v27, v43
	v_dual_mov_b32 v60, v21 :: v_dual_mov_b32 v61, v22
	;; [unrolled: 1-line block ×8, first 2 shown]
	v_mov_b32_e32 v74, v66
	v_mov_b32_e32 v72, v64
	;; [unrolled: 1-line block ×5, first 2 shown]
.LBB6_25:
	s_or_b32 exec_lo, exec_lo, s2
	v_mov_b32_e32 v1, v13
	s_mov_b32 s2, exec_lo
	v_cmpx_lt_f32_e32 v2, v13
	s_cbranch_execz .LBB6_27
; %bb.26:
	v_mov_b32_e32 v75, v5
	v_dual_mov_b32 v91, v21 :: v_dual_mov_b32 v24, v71
	v_mov_b32_e32 v30, v77
	v_mov_b32_e32 v30, v6
	;; [unrolled: 1-line block ×4, first 2 shown]
	v_dual_mov_b32 v55, v87 :: v_dual_mov_b32 v60, v92
	v_dual_mov_b32 v79, v87 :: v_dual_mov_b32 v82, v90
	;; [unrolled: 1-line block ×17, first 2 shown]
	v_mov_b32_e32 v21, v20
	v_mov_b32_e32 v5, v4
	;; [unrolled: 1-line block ×4, first 2 shown]
.LBB6_27:
	s_or_b32 exec_lo, exec_lo, s2
	v_mov_b32_e32 v2, v14
	s_mov_b32 s2, exec_lo
	v_cmpx_lt_f32_e32 v1, v14
	s_cbranch_execz .LBB6_29
; %bb.28:
	v_dual_mov_b32 v45, v6 :: v_dual_mov_b32 v46, v5
	v_dual_mov_b32 v84, v22 :: v_dual_mov_b32 v85, v21
	;; [unrolled: 1-line block ×12, first 2 shown]
	v_mov_b32_e32 v2, v1
.LBB6_29:
	s_or_b32 exec_lo, exec_lo, s2
	s_delay_alu instid0(VALU_DEP_1)
	v_cmp_lt_f32_e32 vcc_lo, v2, v15
	v_dual_mov_b32 v40, v56 :: v_dual_mov_b32 v43, v59
	v_cmp_lt_f32_e64 s2, v8, v9
	v_dual_mov_b32 v41, v57 :: v_dual_mov_b32 v42, v58
	v_dual_cndmask_b32 v23, v15, v2 :: v_dual_cndmask_b32 v14, v14, v15
	v_dual_cndmask_b32 v46, v62, v61 :: v_dual_mov_b32 v39, v55
	s_delay_alu instid0(VALU_DEP_2) | instskip(SKIP_3) | instid1(VALU_DEP_4)
	v_dual_mov_b32 v44, v60 :: v_dual_mov_b32 v15, v23
	v_cndmask_b32_e32 v45, v61, v62, vcc_lo
	v_dual_cndmask_b32 v54, v31, v30 :: v_dual_cndmask_b32 v53, v30, v31
	v_dual_mov_b32 v47, v24 :: v_dual_mov_b32 v50, v27
	v_mov_b32_e32 v22, v15
	v_dual_mov_b32 v21, v14 :: v_dual_mov_b32 v20, v13
	v_dual_mov_b32 v19, v12 :: v_dual_mov_b32 v18, v11
	;; [unrolled: 1-line block ×5, first 2 shown]
	v_mov_b32_e32 v51, v28
	s_and_saveexec_b32 s3, s2
	s_delay_alu instid0(SALU_CYCLE_1)
	s_xor_b32 s2, exec_lo, s3
	s_cbranch_execz .LBB6_31
; %bb.30:
	v_dual_mov_b32 v16, v9 :: v_dual_mov_b32 v17, v8
	v_dual_mov_b32 v18, v10 :: v_dual_mov_b32 v19, v11
	v_dual_mov_b32 v20, v12 :: v_dual_mov_b32 v21, v13
	v_dual_mov_b32 v22, v14 :: v_dual_mov_b32 v9, v8
	s_delay_alu instid0(VALU_DEP_4)
	v_dual_mov_b32 v15, v16 :: v_dual_mov_b32 v40, v55
	v_dual_mov_b32 v16, v17 :: v_dual_mov_b32 v39, v56
	;; [unrolled: 1-line block ×10, first 2 shown]
.LBB6_31:
	s_or_b32 exec_lo, exec_lo, s2
	v_dual_mov_b32 v31, v39 :: v_dual_mov_b32 v32, v40
	v_dual_mov_b32 v78, v46 :: v_dual_mov_b32 v77, v45
	;; [unrolled: 1-line block ×22, first 2 shown]
	v_mov_b32_e32 v10, v17
	s_mov_b32 s2, exec_lo
	v_dual_mov_b32 v76, v44 :: v_dual_mov_b32 v75, v43
	v_dual_mov_b32 v68, v52 :: v_dual_mov_b32 v67, v51
	v_cmpx_lt_f32_e32 v9, v17
	s_cbranch_execz .LBB6_33
; %bb.32:
	v_dual_mov_b32 v1, v47 :: v_dual_mov_b32 v2, v48
	v_dual_mov_b32 v7, v53 :: v_dual_mov_b32 v8, v54
	v_mov_b32_e32 v2, v49
	v_dual_mov_b32 v3, v49 :: v_dual_mov_b32 v4, v50
	v_dual_mov_b32 v5, v51 :: v_dual_mov_b32 v6, v52
	;; [unrolled: 1-line block ×7, first 2 shown]
	v_mov_b32_e32 v57, v40
	v_dual_mov_b32 v70, v8 :: v_dual_mov_b32 v69, v7
	v_dual_mov_b32 v64, v2 :: v_dual_mov_b32 v63, v1
	;; [unrolled: 1-line block ×6, first 2 shown]
	v_mov_b32_e32 v66, v50
	v_dual_mov_b32 v16, v17 :: v_dual_mov_b32 v75, v59
	v_dual_mov_b32 v17, v9 :: v_dual_mov_b32 v76, v60
	;; [unrolled: 1-line block ×17, first 2 shown]
.LBB6_33:
	s_or_b32 exec_lo, exec_lo, s2
	v_mov_b32_e32 v9, v18
	s_mov_b32 s2, exec_lo
	s_delay_alu instid0(VALU_DEP_2)
	v_cmpx_lt_f32_e32 v10, v18
	s_cbranch_execz .LBB6_35
; %bb.34:
	v_mov_b32_e32 v3, v50
	v_dual_mov_b32 v57, v42 :: v_dual_mov_b32 v70, v8
	v_mov_b32_e32 v66, v4
	v_dual_mov_b32 v78, v62 :: v_dual_mov_b32 v77, v61
	v_mov_b32_e32 v66, v49
	v_mov_b32_e32 v63, v1
	;; [unrolled: 1-line block ×3, first 2 shown]
	v_dual_mov_b32 v69, v7 :: v_dual_mov_b32 v68, v6
	v_dual_mov_b32 v67, v5 :: v_dual_mov_b32 v64, v2
	;; [unrolled: 1-line block ×4, first 2 shown]
	v_mov_b32_e32 v65, v3
	v_dual_mov_b32 v73, v57 :: v_dual_mov_b32 v72, v56
	v_mov_b32_e32 v74, v41
	v_dual_mov_b32 v18, v10 :: v_dual_mov_b32 v23, v63
	v_dual_mov_b32 v24, v64 :: v_dual_mov_b32 v31, v71
	s_delay_alu instid0(VALU_DEP_4)
	v_dual_mov_b32 v32, v72 :: v_dual_mov_b32 v27, v67
	v_dual_mov_b32 v28, v68 :: v_dual_mov_b32 v29, v69
	;; [unrolled: 1-line block ×10, first 2 shown]
	v_mov_b32_e32 v38, v46
	v_dual_mov_b32 v9, v10 :: v_dual_mov_b32 v42, v41
	v_mov_b32_e32 v50, v49
.LBB6_35:
	s_or_b32 exec_lo, exec_lo, s2
	v_mov_b32_e32 v4, v19
	s_mov_b32 s2, exec_lo
	v_cmpx_lt_f32_e32 v9, v19
	s_cbranch_execz .LBB6_37
; %bb.36:
	v_mov_b32_e32 v4, v51
	v_dual_mov_b32 v18, v19 :: v_dual_mov_b32 v19, v9
	v_mov_b32_e32 v58, v43
	v_dual_mov_b32 v30, v8 :: v_dual_mov_b32 v29, v7
	v_dual_mov_b32 v28, v6 :: v_dual_mov_b32 v25, v3
	v_dual_mov_b32 v23, v1 :: v_dual_mov_b32 v28, v52
	v_mov_b32_e32 v31, v55
	v_dual_mov_b32 v27, v5 :: v_dual_mov_b32 v32, v56
	v_dual_mov_b32 v35, v59 :: v_dual_mov_b32 v34, v58
	v_dual_mov_b32 v37, v61 :: v_dual_mov_b32 v36, v60
	v_mov_b32_e32 v35, v42
	v_dual_mov_b32 v38, v62 :: v_dual_mov_b32 v37, v45
	v_dual_mov_b32 v78, v62 :: v_dual_mov_b32 v73, v57
	v_dual_mov_b32 v70, v8 :: v_dual_mov_b32 v65, v3
	v_dual_mov_b32 v26, v4 :: v_dual_mov_b32 v27, v50
	;; [unrolled: 1-line block ×11, first 2 shown]
	v_mov_b32_e32 v64, v2
	v_dual_mov_b32 v4, v9 :: v_dual_mov_b32 v51, v50
.LBB6_37:
	s_or_b32 exec_lo, exec_lo, s2
	v_mov_b32_e32 v1, v20
	s_mov_b32 s2, exec_lo
	s_delay_alu instid0(VALU_DEP_2)
	v_cmpx_lt_f32_e32 v4, v20
	s_cbranch_execz .LBB6_39
; %bb.38:
	v_dual_mov_b32 v67, v52 :: v_dual_mov_b32 v68, v51
	v_dual_mov_b32 v69, v53 :: v_dual_mov_b32 v76, v43
	;; [unrolled: 1-line block ×4, first 2 shown]
	v_mov_b32_e32 v19, v20
	v_dual_mov_b32 v20, v4 :: v_dual_mov_b32 v31, v71
	v_dual_mov_b32 v23, v63 :: v_dual_mov_b32 v24, v64
	;; [unrolled: 1-line block ×9, first 2 shown]
.LBB6_39:
	s_or_b32 exec_lo, exec_lo, s2
	s_delay_alu instid0(VALU_DEP_1)
	v_cmp_lt_f32_e32 vcc_lo, v1, v21
	v_mov_b32_e32 v4, v18
	v_mov_b32_e32 v8, v22
	s_mov_b32 s2, exec_lo
	v_dual_mov_b32 v2, v16 :: v_dual_cndmask_b32 v9, v37, v36
	v_cndmask_b32_e32 v36, v36, v37, vcc_lo
	v_cndmask_b32_e32 v10, v29, v28, vcc_lo
	v_dual_cndmask_b32 v28, v28, v29 :: v_dual_mov_b32 v3, v17
	v_cndmask_b32_e32 v7, v21, v1, vcc_lo
	v_dual_cndmask_b32 v6, v20, v21 :: v_dual_mov_b32 v5, v19
	v_mov_b32_e32 v1, v15
	v_cmpx_lt_f32_e32 v15, v16
	s_cbranch_execz .LBB6_41
; %bb.40:
	s_delay_alu instid0(VALU_DEP_2)
	v_dual_mov_b32 v39, v2 :: v_dual_mov_b32 v40, v1
	v_dual_mov_b32 v41, v3 :: v_dual_mov_b32 v42, v4
	;; [unrolled: 1-line block ×4, first 2 shown]
	v_mov_b32_e32 v11, v31
	v_mov_b32_e32 v12, v23
	v_dual_mov_b32 v1, v39 :: v_dual_mov_b32 v4, v42
	v_swap_b32 v31, v32
	v_swap_b32 v23, v24
	v_dual_mov_b32 v2, v40 :: v_dual_mov_b32 v3, v41
	v_dual_mov_b32 v5, v43 :: v_dual_mov_b32 v6, v44
	;; [unrolled: 1-line block ×3, first 2 shown]
	v_mov_b32_e32 v16, v15
.LBB6_41:
	s_or_b32 exec_lo, exec_lo, s2
	v_mov_b32_e32 v29, v10
	v_dual_mov_b32 v37, v9 :: v_dual_mov_b32 v54, v30
	v_mov_b32_e32 v46, v38
	v_dual_mov_b32 v44, v36 :: v_dual_mov_b32 v39, v31
	v_dual_mov_b32 v70, v38 :: v_dual_mov_b32 v49, v25
	s_delay_alu instid0(VALU_DEP_4)
	v_dual_mov_b32 v62, v30 :: v_dual_mov_b32 v45, v37
	v_dual_mov_b32 v43, v35 :: v_dual_mov_b32 v42, v34
	;; [unrolled: 1-line block ×12, first 2 shown]
	v_mov_b32_e32 v57, v25
	v_mov_b32_e32 v55, v23
	;; [unrolled: 1-line block ×3, first 2 shown]
	s_mov_b32 s2, exec_lo
	v_cmpx_lt_f32_e32 v16, v3
	s_cbranch_execz .LBB6_43
; %bb.42:
	v_dual_mov_b32 v62, v30 :: v_dual_mov_b32 v61, v29
	v_dual_mov_b32 v58, v26 :: v_dual_mov_b32 v57, v25
	;; [unrolled: 1-line block ×7, first 2 shown]
	s_delay_alu instid0(VALU_DEP_4)
	v_dual_mov_b32 v47, v55 :: v_dual_mov_b32 v48, v56
	v_dual_mov_b32 v68, v36 :: v_dual_mov_b32 v67, v35
	;; [unrolled: 1-line block ×16, first 2 shown]
	v_mov_b32_e32 v44, v36
	v_dual_mov_b32 v46, v38 :: v_dual_mov_b32 v11, v16
	v_mov_b32_e32 v33, v32
	v_mov_b32_e32 v25, v24
.LBB6_43:
	s_or_b32 exec_lo, exec_lo, s2
	v_mov_b32_e32 v12, v4
	s_mov_b32 s2, exec_lo
	v_cmpx_lt_f32_e32 v11, v4
	s_cbranch_execz .LBB6_45
; %bb.44:
	v_mov_b32_e32 v57, v26
	v_dual_mov_b32 v3, v4 :: v_dual_mov_b32 v4, v11
	v_mov_b32_e32 v65, v34
	v_dual_mov_b32 v47, v55 :: v_dual_mov_b32 v52, v60
	v_dual_mov_b32 v48, v56 :: v_dual_mov_b32 v39, v63
	;; [unrolled: 1-line block ×3, first 2 shown]
	v_mov_b32_e32 v54, v62
	v_dual_mov_b32 v50, v58 :: v_dual_mov_b32 v51, v59
	v_mov_b32_e32 v50, v25
	v_dual_mov_b32 v53, v61 :: v_dual_mov_b32 v52, v28
	v_dual_mov_b32 v41, v65 :: v_dual_mov_b32 v44, v68
	;; [unrolled: 1-line block ×8, first 2 shown]
	v_mov_b32_e32 v12, v11
	v_mov_b32_e32 v34, v33
	;; [unrolled: 1-line block ×3, first 2 shown]
.LBB6_45:
	s_or_b32 exec_lo, exec_lo, s2
	v_mov_b32_e32 v11, v5
	s_mov_b32 s2, exec_lo
	v_cmpx_lt_f32_e32 v12, v5
	s_cbranch_execz .LBB6_47
; %bb.46:
	v_dual_mov_b32 v68, v36 :: v_dual_mov_b32 v69, v9
	v_dual_mov_b32 v58, v27 :: v_dual_mov_b32 v59, v26
	;; [unrolled: 1-line block ×4, first 2 shown]
	v_mov_b32_e32 v70, v38
	v_dual_mov_b32 v4, v5 :: v_dual_mov_b32 v5, v12
	v_dual_mov_b32 v62, v30 :: v_dual_mov_b32 v39, v63
	;; [unrolled: 1-line block ×10, first 2 shown]
.LBB6_47:
	s_or_b32 exec_lo, exec_lo, s2
	s_delay_alu instid0(VALU_DEP_1)
	v_cmp_lt_f32_e32 vcc_lo, v11, v6
	v_dual_mov_b32 v19, v1 :: v_dual_mov_b32 v26, v8
	v_mov_b32_e32 v21, v3
	v_mov_b32_e32 v25, v7
	v_dual_cndmask_b32 v27, v44, v43 :: v_dual_mov_b32 v20, v2
	v_dual_cndmask_b32 v43, v43, v44 :: v_dual_cndmask_b32 v28, v52, v51
	v_dual_cndmask_b32 v51, v51, v52 :: v_dual_cndmask_b32 v24, v6, v11
	v_dual_cndmask_b32 v23, v5, v6 :: v_dual_mov_b32 v22, v4
	s_mov_b32 s2, exec_lo
	v_cmpx_lt_f32_e32 v1, v2
	s_cbranch_execz .LBB6_49
; %bb.48:
	v_dual_mov_b32 v8, v25 :: v_dual_mov_b32 v9, v26
	v_dual_mov_b32 v2, v20 :: v_dual_mov_b32 v3, v19
	;; [unrolled: 1-line block ×4, first 2 shown]
	v_mov_b32_e32 v10, v39
	v_dual_mov_b32 v11, v47 :: v_dual_mov_b32 v26, v9
	v_swap_b32 v39, v40
	v_swap_b32 v47, v48
	v_dual_mov_b32 v25, v8 :: v_dual_mov_b32 v24, v7
	v_dual_mov_b32 v23, v6 :: v_dual_mov_b32 v22, v5
	;; [unrolled: 1-line block ×4, first 2 shown]
.LBB6_49:
	s_or_b32 exec_lo, exec_lo, s2
	v_mov_b32_e32 v52, v28
	v_mov_b32_e32 v44, v27
	;; [unrolled: 1-line block ×4, first 2 shown]
	v_dual_mov_b32 v11, v39 :: v_dual_mov_b32 v4, v48
	v_dual_mov_b32 v12, v40 :: v_dual_mov_b32 v13, v41
	;; [unrolled: 1-line block ×7, first 2 shown]
	v_mov_b32_e32 v10, v54
	s_mov_b32 s2, exec_lo
	v_cmpx_lt_f32_e32 v2, v21
	s_cbranch_execz .LBB6_51
; %bb.50:
	v_dual_mov_b32 v3, v47 :: v_dual_mov_b32 v4, v48
	v_dual_mov_b32 v9, v53 :: v_dual_mov_b32 v10, v54
	;; [unrolled: 1-line block ×17, first 2 shown]
	v_mov_b32_e32 v49, v48
.LBB6_51:
	s_or_b32 exec_lo, exec_lo, s2
	v_mov_b32_e32 v29, v22
	s_mov_b32 s2, exec_lo
	v_cmpx_lt_f32_e32 v1, v22
; %bb.52:
	v_dual_mov_b32 v21, v22 :: v_dual_mov_b32 v22, v1
	v_dual_mov_b32 v5, v50 :: v_dual_mov_b32 v6, v49
	;; [unrolled: 1-line block ×7, first 2 shown]
	v_mov_b32_e32 v29, v1
; %bb.53:
	s_or_b32 exec_lo, exec_lo, s2
	s_delay_alu instid0(VALU_DEP_1)
	v_cmp_lt_f32_e32 vcc_lo, v29, v23
	v_dual_mov_b32 v28, v20 :: v_dual_mov_b32 v33, v25
	v_mov_b32_e32 v32, v24
	v_dual_mov_b32 v34, v26 :: v_dual_cndmask_b32 v1, v15, v14
	v_cndmask_b32_e32 v14, v14, v15, vcc_lo
	v_cndmask_b32_e32 v2, v7, v6, vcc_lo
	v_dual_cndmask_b32 v6, v6, v7 :: v_dual_cndmask_b32 v31, v23, v29
	v_dual_cndmask_b32 v30, v22, v23 :: v_dual_mov_b32 v27, v19
	v_mov_b32_e32 v29, v21
	s_mov_b32 s2, exec_lo
	v_cmpx_lt_f32_e32 v19, v20
	s_cbranch_execz .LBB6_55
; %bb.54:
	v_dual_mov_b32 v20, v28 :: v_dual_mov_b32 v21, v27
	v_dual_mov_b32 v26, v33 :: v_dual_mov_b32 v27, v34
	;; [unrolled: 1-line block ×4, first 2 shown]
	s_delay_alu instid0(VALU_DEP_3)
	v_mov_b32_e32 v34, v27
	v_mov_b32_e32 v7, v11
	v_dual_mov_b32 v15, v3 :: v_dual_mov_b32 v28, v21
	v_swap_b32 v11, v12
	v_swap_b32 v3, v4
	v_dual_mov_b32 v33, v26 :: v_dual_mov_b32 v30, v23
	v_dual_mov_b32 v32, v25 :: v_dual_mov_b32 v31, v24
	v_mov_b32_e32 v29, v22
	v_dual_mov_b32 v27, v20 :: v_dual_mov_b32 v20, v19
.LBB6_55:
	s_or_b32 exec_lo, exec_lo, s2
	v_mov_b32_e32 v7, v2
	v_mov_b32_e32 v15, v1
	;; [unrolled: 1-line block ×3, first 2 shown]
	s_mov_b32 s2, exec_lo
	v_cmpx_lt_f32_e32 v20, v29
	s_cbranch_execz .LBB6_57
; %bb.56:
	v_dual_mov_b32 v42, v10 :: v_dual_mov_b32 v41, v9
	v_dual_mov_b32 v40, v8 :: v_dual_mov_b32 v39, v7
	;; [unrolled: 1-line block ×16, first 2 shown]
	v_mov_b32_e32 v18, v9
	s_delay_alu instid0(VALU_DEP_3) | instskip(NEXT) | instid1(VALU_DEP_4)
	v_dual_mov_b32 v16, v7 :: v_dual_mov_b32 v15, v6
	v_dual_mov_b32 v17, v8 :: v_dual_mov_b32 v14, v5
	;; [unrolled: 1-line block ×3, first 2 shown]
	v_mov_b32_e32 v11, v2
	v_dual_mov_b32 v3, v35 :: v_dual_mov_b32 v4, v36
	v_dual_mov_b32 v5, v37 :: v_dual_mov_b32 v6, v38
	;; [unrolled: 1-line block ×4, first 2 shown]
	v_mov_b32_e32 v19, v20
.LBB6_57:
	s_or_b32 exec_lo, exec_lo, s2
	s_delay_alu instid0(VALU_DEP_1)
	v_cmp_lt_f32_e32 vcc_lo, v19, v30
	v_dual_mov_b32 v20, v7 :: v_dual_mov_b32 v21, v8
	v_dual_mov_b32 v22, v9 :: v_dual_mov_b32 v23, v10
	v_dual_cndmask_b32 v1, v14, v13 :: v_dual_cndmask_b32 v36, v5, v6
	v_dual_cndmask_b32 v35, v13, v14 :: v_dual_cndmask_b32 v2, v6, v5
	;; [unrolled: 1-line block ×3, first 2 shown]
	v_dual_mov_b32 v6, v15 :: v_dual_mov_b32 v13, v16
	v_dual_mov_b32 v14, v17 :: v_dual_mov_b32 v19, v18
	;; [unrolled: 1-line block ×4, first 2 shown]
	v_mov_b32_e32 v29, v34
	s_mov_b32 s2, exec_lo
	v_cmpx_lt_f32_e32 v27, v28
	s_cbranch_execz .LBB6_59
; %bb.58:
	v_dual_mov_b32 v24, v28 :: v_dual_mov_b32 v37, v27
	v_dual_mov_b32 v6, v11 :: v_dual_mov_b32 v13, v16
	;; [unrolled: 1-line block ×3, first 2 shown]
	v_swap_b32 v11, v12
	v_swap_b32 v3, v4
	v_dual_mov_b32 v28, v27 :: v_dual_mov_b32 v21, v8
	v_dual_mov_b32 v6, v15 :: v_dual_mov_b32 v23, v10
	;; [unrolled: 1-line block ×5, first 2 shown]
	v_mov_b32_e32 v24, v31
	v_mov_b32_e32 v26, v33
.LBB6_59:
	s_or_b32 exec_lo, exec_lo, s2
	s_clause 0x1
	s_load_b32 s8, s[0:1], 0x28
	s_load_b128 s[4:7], s[0:1], 0x10
	s_waitcnt lgkmcnt(0)
	s_cmp_lt_i32 s8, 1
	s_cbranch_scc1 .LBB6_65
; %bb.60:
	v_cmp_lt_f32_e32 vcc_lo, v28, v30
	v_mov_b32_e32 v9, 0
	s_mov_b32 s9, 0x76543210
	s_mov_b32 s10, s8
	v_mov_b32_e32 v8, 0
	v_dual_cndmask_b32 v10, v35, v12 :: v_dual_cndmask_b32 v17, v37, v30
	v_cndmask_b32_e32 v7, v36, v4, vcc_lo
	v_cndmask_b32_e32 v15, v4, v36, vcc_lo
	;; [unrolled: 1-line block ×4, first 2 shown]
	v_cmp_lt_f32_e64 s2, v27, v17
	s_delay_alu instid0(VALU_DEP_1)
	v_cndmask_b32_e64 v12, v15, v3, s2
	v_cndmask_b32_e64 v15, v3, v15, s2
	v_mov_b32_e32 v3, 0
	v_cndmask_b32_e64 v16, v17, v27, s2
	v_cndmask_b32_e64 v17, v27, v17, s2
	;; [unrolled: 1-line block ×4, first 2 shown]
	v_mov_b32_e32 v27, v0
.LBB6_61:                               ; =>This Inner Loop Header: Depth=1
	v_cmp_eq_u32_e32 vcc_lo, 1, v9
	v_cmp_eq_u32_e64 s2, 2, v9
	v_cmp_gt_u32_e64 s3, 8, v9
	v_dual_cndmask_b32 v28, v17, v16 :: v_dual_cndmask_b32 v31, v11, v18
	v_cndmask_b32_e32 v30, v15, v12, vcc_lo
	v_cmp_eq_u32_e32 vcc_lo, 3, v9
	s_delay_alu instid0(VALU_DEP_3) | instskip(NEXT) | instid1(VALU_DEP_4)
	v_cndmask_b32_e64 v28, v28, v4, s2
	v_cndmask_b32_e64 v31, v31, v10, s2
	s_delay_alu instid0(VALU_DEP_4) | instskip(SKIP_1) | instid1(VALU_DEP_4)
	v_cndmask_b32_e64 v30, v30, v7, s2
	v_cmp_eq_u32_e64 s2, 4, v9
	v_cndmask_b32_e32 v28, v28, v5, vcc_lo
	s_delay_alu instid0(VALU_DEP_3) | instskip(SKIP_1) | instid1(VALU_DEP_3)
	v_dual_cndmask_b32 v31, v31, v1 :: v_dual_cndmask_b32 v30, v30, v2
	v_cmp_eq_u32_e32 vcc_lo, 5, v9
	v_cndmask_b32_e64 v28, v28, v24, s2
	s_delay_alu instid0(VALU_DEP_3) | instskip(NEXT) | instid1(VALU_DEP_4)
	v_cndmask_b32_e64 v31, v31, v6, s2
	v_cndmask_b32_e64 v30, v30, v20, s2
	v_cmp_eq_u32_e64 s2, 6, v9
	s_delay_alu instid0(VALU_DEP_4) | instskip(NEXT) | instid1(VALU_DEP_4)
	v_cndmask_b32_e32 v28, v28, v25, vcc_lo
	v_cndmask_b32_e32 v31, v31, v13, vcc_lo
	s_delay_alu instid0(VALU_DEP_4) | instskip(SKIP_1) | instid1(VALU_DEP_4)
	v_cndmask_b32_e32 v30, v30, v21, vcc_lo
	v_cmp_eq_u32_e32 vcc_lo, 7, v9
	v_cndmask_b32_e64 v28, v28, v26, s2
	s_delay_alu instid0(VALU_DEP_3) | instskip(NEXT) | instid1(VALU_DEP_2)
	v_cndmask_b32_e64 v30, v30, v22, s2
	v_cndmask_b32_e32 v28, v28, v29, vcc_lo
	s_delay_alu instid0(VALU_DEP_2) | instskip(NEXT) | instid1(VALU_DEP_2)
	v_cndmask_b32_e32 v30, v30, v23, vcc_lo
	v_cndmask_b32_e64 v28, 0xff800000, v28, s3
	;;#ASMSTART
	v_max_f32 v32, v28, v28 quad_perm:[1,0,3,2] row_mask:0xf bank_mask:0xf bound_ctrl:1
	;;#ASMEND
	;;#ASMSTART
	v_max_f32 v33, v32, v32 quad_perm:[2,3,0,1] row_mask:0xf bank_mask:0xf bound_ctrl:1
	;;#ASMEND
	;;#ASMSTART
	v_max_f32 v32, v33, v33 row_half_mirror row_mask:0xf bank_mask:0xf bound_ctrl:1
	;;#ASMEND
	;;#ASMSTART
	v_max_f32 v33, v32, v32 row_mirror row_mask:0xf bank_mask:0xf bound_ctrl:1
	;;#ASMEND
	v_permlanex16_b32 v32, v33, s9, 0xfedcba98 op_sel:[1,1]
	s_delay_alu instid0(VALU_DEP_1) | instskip(SKIP_1) | instid1(VALU_DEP_2)
	v_dual_max_f32 v33, v33, v33 :: v_dual_max_f32 v32, v32, v32
	v_cndmask_b32_e64 v31, v31, v14, s2
	v_max_f32_e32 v32, v33, v32
	s_delay_alu instid0(VALU_DEP_1) | instskip(SKIP_1) | instid1(VALU_DEP_2)
	v_cmp_eq_f32_e64 s2, v28, v32
	v_cndmask_b32_e64 v28, 0, v30, s3
	s_ctz_i32_b32 s11, s2
	s_cmp_lg_u32 s2, 0
	s_cselect_b32 s2, s11, 0
	s_add_i32 s10, s10, -1
	v_readlane_b32 s11, v28, s2
	v_cndmask_b32_e32 v28, v31, v19, vcc_lo
	s_delay_alu instid0(VALU_DEP_2)
	v_cmp_eq_u32_e32 vcc_lo, s11, v30
	s_and_b32 s2, s11, 31
	s_and_b32 vcc_lo, s3, vcc_lo
	s_cmp_eq_u32 s10, 0
	v_cndmask_b32_e32 v28, 0, v28, vcc_lo
	v_add_co_ci_u32_e32 v9, vcc_lo, 0, v9, vcc_lo
	s_delay_alu instid0(VALU_DEP_2) | instskip(SKIP_2) | instid1(VALU_DEP_2)
	v_readlane_b32 s3, v28, s2
	v_cmp_eq_u32_e64 s2, 0, v27
	v_add_nc_u32_e32 v27, -1, v27
	v_cndmask_b32_e64 v8, v8, s3, s2
	v_cndmask_b32_e64 v3, v3, s11, s2
	s_cbranch_scc0 .LBB6_61
; %bb.62:
	s_mov_b32 s2, exec_lo
	v_cmpx_gt_i32_e64 s8, v0
	s_cbranch_execz .LBB6_64
.LBB6_63:
	s_clause 0x1
	s_load_b64 s[2:3], s[0:1], 0x20
	s_load_b32 s8, s[0:1], 0x30
	s_ashr_i32 s0, s15, 31
	s_waitcnt lgkmcnt(0)
	s_mul_i32 s1, s15, s3
	s_mul_hi_u32 s3, s15, s2
	s_mul_i32 s0, s0, s2
	s_add_i32 s1, s3, s1
	v_mul_f32_e32 v0, s8, v8
	s_add_i32 s1, s1, s0
	s_mul_i32 s0, s15, s2
	s_delay_alu instid0(SALU_CYCLE_1) | instskip(NEXT) | instid1(SALU_CYCLE_1)
	s_lshl_b64 s[0:1], s[0:1], 2
	s_add_u32 s2, s4, s0
	s_addc_u32 s3, s5, s1
	s_add_u32 s0, s6, s0
	s_addc_u32 s1, s7, s1
	s_clause 0x1
	global_store_b32 v103, v0, s[2:3]
	global_store_b32 v103, v3, s[0:1]
.LBB6_64:
	s_nop 0
	s_sendmsg sendmsg(MSG_DEALLOC_VGPRS)
	s_endpgm
.LBB6_65:
	v_dual_mov_b32 v3, 0 :: v_dual_mov_b32 v8, 0
	s_mov_b32 s2, exec_lo
	v_cmpx_gt_i32_e64 s8, v0
	s_cbranch_execnz .LBB6_63
	s_branch .LBB6_64
	.section	.rodata,"a",@progbits
	.p2align	6, 0x0
	.amdhsa_kernel _ZN5aiter24topk_softplus_kernel_optIffLi256ELb0ELi1EEEvPKT_PKT0_PfPimiif
		.amdhsa_group_segment_fixed_size 0
		.amdhsa_private_segment_fixed_size 0
		.amdhsa_kernarg_size 52
		.amdhsa_user_sgpr_count 15
		.amdhsa_user_sgpr_dispatch_ptr 0
		.amdhsa_user_sgpr_queue_ptr 0
		.amdhsa_user_sgpr_kernarg_segment_ptr 1
		.amdhsa_user_sgpr_dispatch_id 0
		.amdhsa_user_sgpr_private_segment_size 0
		.amdhsa_wavefront_size32 1
		.amdhsa_uses_dynamic_stack 0
		.amdhsa_enable_private_segment 0
		.amdhsa_system_sgpr_workgroup_id_x 1
		.amdhsa_system_sgpr_workgroup_id_y 0
		.amdhsa_system_sgpr_workgroup_id_z 0
		.amdhsa_system_sgpr_workgroup_info 0
		.amdhsa_system_vgpr_workitem_id 0
		.amdhsa_next_free_vgpr 104
		.amdhsa_next_free_sgpr 16
		.amdhsa_reserve_vcc 1
		.amdhsa_float_round_mode_32 0
		.amdhsa_float_round_mode_16_64 0
		.amdhsa_float_denorm_mode_32 3
		.amdhsa_float_denorm_mode_16_64 3
		.amdhsa_dx10_clamp 1
		.amdhsa_ieee_mode 1
		.amdhsa_fp16_overflow 0
		.amdhsa_workgroup_processor_mode 1
		.amdhsa_memory_ordered 1
		.amdhsa_forward_progress 0
		.amdhsa_shared_vgpr_count 0
		.amdhsa_exception_fp_ieee_invalid_op 0
		.amdhsa_exception_fp_denorm_src 0
		.amdhsa_exception_fp_ieee_div_zero 0
		.amdhsa_exception_fp_ieee_overflow 0
		.amdhsa_exception_fp_ieee_underflow 0
		.amdhsa_exception_fp_ieee_inexact 0
		.amdhsa_exception_int_div_zero 0
	.end_amdhsa_kernel
	.section	.text._ZN5aiter24topk_softplus_kernel_optIffLi256ELb0ELi1EEEvPKT_PKT0_PfPimiif,"axG",@progbits,_ZN5aiter24topk_softplus_kernel_optIffLi256ELb0ELi1EEEvPKT_PKT0_PfPimiif,comdat
.Lfunc_end6:
	.size	_ZN5aiter24topk_softplus_kernel_optIffLi256ELb0ELi1EEEvPKT_PKT0_PfPimiif, .Lfunc_end6-_ZN5aiter24topk_softplus_kernel_optIffLi256ELb0ELi1EEEvPKT_PKT0_PfPimiif
                                        ; -- End function
	.section	.AMDGPU.csdata,"",@progbits
; Kernel info:
; codeLenInByte = 6732
; NumSgprs: 18
; NumVgprs: 104
; ScratchSize: 0
; MemoryBound: 0
; FloatMode: 240
; IeeeMode: 1
; LDSByteSize: 0 bytes/workgroup (compile time only)
; SGPRBlocks: 2
; VGPRBlocks: 12
; NumSGPRsForWavesPerEU: 18
; NumVGPRsForWavesPerEU: 104
; Occupancy: 12
; WaveLimiterHint : 0
; COMPUTE_PGM_RSRC2:SCRATCH_EN: 0
; COMPUTE_PGM_RSRC2:USER_SGPR: 15
; COMPUTE_PGM_RSRC2:TRAP_HANDLER: 0
; COMPUTE_PGM_RSRC2:TGID_X_EN: 1
; COMPUTE_PGM_RSRC2:TGID_Y_EN: 0
; COMPUTE_PGM_RSRC2:TGID_Z_EN: 0
; COMPUTE_PGM_RSRC2:TIDIG_COMP_CNT: 0
	.section	.text._ZN5aiter24topk_softplus_kernel_optIffLi384ELb1ELi1EEEvPKT_PKT0_PfPimiif,"axG",@progbits,_ZN5aiter24topk_softplus_kernel_optIffLi384ELb1ELi1EEEvPKT_PKT0_PfPimiif,comdat
	.protected	_ZN5aiter24topk_softplus_kernel_optIffLi384ELb1ELi1EEEvPKT_PKT0_PfPimiif ; -- Begin function _ZN5aiter24topk_softplus_kernel_optIffLi384ELb1ELi1EEEvPKT_PKT0_PfPimiif
	.globl	_ZN5aiter24topk_softplus_kernel_optIffLi384ELb1ELi1EEEvPKT_PKT0_PfPimiif
	.p2align	8
	.type	_ZN5aiter24topk_softplus_kernel_optIffLi384ELb1ELi1EEEvPKT_PKT0_PfPimiif,@function
_ZN5aiter24topk_softplus_kernel_optIffLi384ELb1ELi1EEEvPKT_PKT0_PfPimiif: ; @_ZN5aiter24topk_softplus_kernel_optIffLi384ELb1ELi1EEEvPKT_PKT0_PfPimiif
; %bb.0:
	s_load_b128 s[4:7], s[0:1], 0x0
	s_mul_i32 s2, s15, 0x180
	v_lshlrev_b32_e32 v183, 2, v0
	s_ashr_i32 s3, s2, 31
	s_delay_alu instid0(SALU_CYCLE_1)
	s_lshl_b64 s[2:3], s[2:3], 2
	s_waitcnt lgkmcnt(0)
	s_add_u32 s4, s4, s2
	s_addc_u32 s5, s5, s3
	s_cmp_lg_u64 s[6:7], 0
	global_load_b32 v1, v183, s[4:5]
	s_cselect_b32 s2, -1, 0
	s_waitcnt vmcnt(0)
	v_mul_f32_e32 v2, 0xbfb8aa3b, v1
	s_delay_alu instid0(VALU_DEP_1) | instskip(SKIP_1) | instid1(VALU_DEP_1)
	v_cmp_gt_f32_e32 vcc_lo, 0xc2fc0000, v2
	v_cndmask_b32_e64 v2, 0, 0x42800000, vcc_lo
	v_fmac_f32_e32 v2, 0xbfb8aa3b, v1
	s_delay_alu instid0(VALU_DEP_1) | instskip(SKIP_4) | instid1(VALU_DEP_1)
	v_exp_f32_e32 v1, v2
	v_cndmask_b32_e64 v2, 1.0, 0x1f800000, vcc_lo
	s_and_b32 vcc_lo, exec_lo, s2
	s_waitcnt_depctr 0xfff
	v_fma_f32 v1, v1, v2, 1.0
	v_rcp_f32_e32 v37, v1
	v_add_co_u32 v1, s3, s4, v183
	s_delay_alu instid0(VALU_DEP_1)
	v_add_co_ci_u32_e64 v2, null, s5, 0, s3
	s_waitcnt_depctr 0xfff
	v_mov_b32_e32 v48, v37
	s_cbranch_vccz .LBB7_2
; %bb.1:
	global_load_b32 v3, v183, s[6:7]
	s_waitcnt vmcnt(0)
	v_add_f32_e32 v48, v37, v3
.LBB7_2:
	global_load_b32 v3, v[1:2], off offset:128
	s_waitcnt vmcnt(0)
	v_mul_f32_e32 v4, 0xbfb8aa3b, v3
	s_delay_alu instid0(VALU_DEP_1) | instskip(SKIP_3) | instid1(VALU_DEP_2)
	v_cmp_gt_f32_e32 vcc_lo, 0xc2fc0000, v4
	v_cndmask_b32_e64 v5, 0, 0x42800000, vcc_lo
	v_cndmask_b32_e64 v4, 1.0, 0x1f800000, vcc_lo
	s_and_not1_b32 vcc_lo, exec_lo, s2
	v_fmac_f32_e32 v5, 0xbfb8aa3b, v3
	s_delay_alu instid0(VALU_DEP_1) | instskip(SKIP_2) | instid1(VALU_DEP_1)
	v_exp_f32_e32 v3, v5
	s_waitcnt_depctr 0xfff
	v_fma_f32 v3, v3, v4, 1.0
	v_rcp_f32_e32 v14, v3
	v_cndmask_b32_e64 v3, 0, 1, s2
	s_waitcnt_depctr 0xfff
	v_mov_b32_e32 v49, v14
	s_cbranch_vccnz .LBB7_4
; %bb.3:
	global_load_b32 v4, v183, s[6:7] offset:128
	s_waitcnt vmcnt(0)
	v_add_f32_e32 v49, v14, v4
.LBB7_4:
	global_load_b32 v4, v[1:2], off offset:256
	s_waitcnt vmcnt(0)
	v_mul_f32_e32 v5, 0xbfb8aa3b, v4
	s_delay_alu instid0(VALU_DEP_1) | instskip(SKIP_3) | instid1(VALU_DEP_3)
	v_cmp_gt_f32_e32 vcc_lo, 0xc2fc0000, v5
	v_cndmask_b32_e64 v6, 0, 0x42800000, vcc_lo
	v_cndmask_b32_e64 v5, 1.0, 0x1f800000, vcc_lo
	v_cmp_ne_u32_e32 vcc_lo, 1, v3
	v_fmac_f32_e32 v6, 0xbfb8aa3b, v4
	s_and_b32 vcc_lo, exec_lo, vcc_lo
	s_delay_alu instid0(VALU_DEP_1) | instskip(SKIP_2) | instid1(VALU_DEP_1)
	v_exp_f32_e32 v4, v6
	s_waitcnt_depctr 0xfff
	v_fma_f32 v4, v4, v5, 1.0
	v_rcp_f32_e32 v15, v4
	s_waitcnt_depctr 0xfff
	v_mov_b32_e32 v50, v15
	s_cbranch_vccnz .LBB7_6
; %bb.5:
	global_load_b32 v4, v183, s[6:7] offset:256
	s_waitcnt vmcnt(0)
	v_add_f32_e32 v50, v15, v4
.LBB7_6:
	global_load_b32 v4, v[1:2], off offset:384
	s_waitcnt vmcnt(0)
	v_mul_f32_e32 v5, 0xbfb8aa3b, v4
	s_delay_alu instid0(VALU_DEP_1) | instskip(SKIP_3) | instid1(VALU_DEP_3)
	v_cmp_gt_f32_e32 vcc_lo, 0xc2fc0000, v5
	v_cndmask_b32_e64 v6, 0, 0x42800000, vcc_lo
	v_cndmask_b32_e64 v5, 1.0, 0x1f800000, vcc_lo
	v_cmp_ne_u32_e32 vcc_lo, 1, v3
	v_fmac_f32_e32 v6, 0xbfb8aa3b, v4
	s_and_b32 vcc_lo, exec_lo, vcc_lo
	s_delay_alu instid0(VALU_DEP_1) | instskip(SKIP_2) | instid1(VALU_DEP_1)
	v_exp_f32_e32 v4, v6
	s_waitcnt_depctr 0xfff
	v_fma_f32 v4, v4, v5, 1.0
	v_rcp_f32_e32 v16, v4
	s_waitcnt_depctr 0xfff
	v_mov_b32_e32 v51, v16
	s_cbranch_vccnz .LBB7_8
; %bb.7:
	global_load_b32 v4, v183, s[6:7] offset:384
	s_waitcnt vmcnt(0)
	v_add_f32_e32 v51, v16, v4
.LBB7_8:
	global_load_b32 v4, v[1:2], off offset:512
	s_waitcnt vmcnt(0)
	v_mul_f32_e32 v5, 0xbfb8aa3b, v4
	s_delay_alu instid0(VALU_DEP_1) | instskip(SKIP_3) | instid1(VALU_DEP_3)
	v_cmp_gt_f32_e32 vcc_lo, 0xc2fc0000, v5
	v_cndmask_b32_e64 v6, 0, 0x42800000, vcc_lo
	v_cndmask_b32_e64 v5, 1.0, 0x1f800000, vcc_lo
	v_cmp_ne_u32_e32 vcc_lo, 1, v3
	v_fmac_f32_e32 v6, 0xbfb8aa3b, v4
	s_and_b32 vcc_lo, exec_lo, vcc_lo
	s_delay_alu instid0(VALU_DEP_1) | instskip(SKIP_2) | instid1(VALU_DEP_1)
	v_exp_f32_e32 v4, v6
	s_waitcnt_depctr 0xfff
	v_fma_f32 v4, v4, v5, 1.0
	v_rcp_f32_e32 v17, v4
	s_waitcnt_depctr 0xfff
	v_mov_b32_e32 v52, v17
	s_cbranch_vccnz .LBB7_10
; %bb.9:
	global_load_b32 v4, v183, s[6:7] offset:512
	s_waitcnt vmcnt(0)
	v_add_f32_e32 v52, v17, v4
.LBB7_10:
	global_load_b32 v4, v[1:2], off offset:640
	s_waitcnt vmcnt(0)
	v_mul_f32_e32 v5, 0xbfb8aa3b, v4
	s_delay_alu instid0(VALU_DEP_1) | instskip(SKIP_3) | instid1(VALU_DEP_3)
	v_cmp_gt_f32_e32 vcc_lo, 0xc2fc0000, v5
	v_cndmask_b32_e64 v6, 0, 0x42800000, vcc_lo
	v_cndmask_b32_e64 v5, 1.0, 0x1f800000, vcc_lo
	v_cmp_ne_u32_e32 vcc_lo, 1, v3
	v_fmac_f32_e32 v6, 0xbfb8aa3b, v4
	s_and_b32 vcc_lo, exec_lo, vcc_lo
	s_delay_alu instid0(VALU_DEP_1) | instskip(SKIP_2) | instid1(VALU_DEP_1)
	v_exp_f32_e32 v4, v6
	s_waitcnt_depctr 0xfff
	v_fma_f32 v4, v4, v5, 1.0
	v_rcp_f32_e32 v18, v4
	s_waitcnt_depctr 0xfff
	v_mov_b32_e32 v53, v18
	s_cbranch_vccnz .LBB7_12
; %bb.11:
	global_load_b32 v4, v183, s[6:7] offset:640
	s_waitcnt vmcnt(0)
	v_add_f32_e32 v53, v18, v4
.LBB7_12:
	global_load_b32 v4, v[1:2], off offset:768
	s_waitcnt vmcnt(0)
	v_mul_f32_e32 v5, 0xbfb8aa3b, v4
	s_delay_alu instid0(VALU_DEP_1) | instskip(SKIP_3) | instid1(VALU_DEP_3)
	v_cmp_gt_f32_e32 vcc_lo, 0xc2fc0000, v5
	v_cndmask_b32_e64 v6, 0, 0x42800000, vcc_lo
	v_cndmask_b32_e64 v5, 1.0, 0x1f800000, vcc_lo
	v_cmp_ne_u32_e32 vcc_lo, 1, v3
	v_fmac_f32_e32 v6, 0xbfb8aa3b, v4
	s_and_b32 vcc_lo, exec_lo, vcc_lo
	s_delay_alu instid0(VALU_DEP_1) | instskip(SKIP_2) | instid1(VALU_DEP_1)
	v_exp_f32_e32 v4, v6
	s_waitcnt_depctr 0xfff
	v_fma_f32 v4, v4, v5, 1.0
	v_rcp_f32_e32 v19, v4
	s_waitcnt_depctr 0xfff
	v_mov_b32_e32 v54, v19
	s_cbranch_vccnz .LBB7_14
; %bb.13:
	global_load_b32 v4, v183, s[6:7] offset:768
	s_waitcnt vmcnt(0)
	v_add_f32_e32 v54, v19, v4
.LBB7_14:
	global_load_b32 v4, v[1:2], off offset:896
	s_waitcnt vmcnt(0)
	v_mul_f32_e32 v5, 0xbfb8aa3b, v4
	s_delay_alu instid0(VALU_DEP_1) | instskip(SKIP_3) | instid1(VALU_DEP_3)
	v_cmp_gt_f32_e32 vcc_lo, 0xc2fc0000, v5
	v_cndmask_b32_e64 v6, 0, 0x42800000, vcc_lo
	v_cndmask_b32_e64 v5, 1.0, 0x1f800000, vcc_lo
	v_cmp_ne_u32_e32 vcc_lo, 1, v3
	v_fmac_f32_e32 v6, 0xbfb8aa3b, v4
	s_and_b32 vcc_lo, exec_lo, vcc_lo
	s_delay_alu instid0(VALU_DEP_1) | instskip(SKIP_2) | instid1(VALU_DEP_1)
	v_exp_f32_e32 v4, v6
	s_waitcnt_depctr 0xfff
	v_fma_f32 v4, v4, v5, 1.0
	v_rcp_f32_e32 v20, v4
	s_waitcnt_depctr 0xfff
	v_mov_b32_e32 v55, v20
	s_cbranch_vccnz .LBB7_16
; %bb.15:
	global_load_b32 v4, v183, s[6:7] offset:896
	s_waitcnt vmcnt(0)
	v_add_f32_e32 v55, v20, v4
.LBB7_16:
	global_load_b32 v4, v[1:2], off offset:1024
	s_waitcnt vmcnt(0)
	v_mul_f32_e32 v5, 0xbfb8aa3b, v4
	s_delay_alu instid0(VALU_DEP_1) | instskip(SKIP_3) | instid1(VALU_DEP_3)
	v_cmp_gt_f32_e32 vcc_lo, 0xc2fc0000, v5
	v_cndmask_b32_e64 v6, 0, 0x42800000, vcc_lo
	v_cndmask_b32_e64 v5, 1.0, 0x1f800000, vcc_lo
	v_cmp_ne_u32_e32 vcc_lo, 1, v3
	v_fmac_f32_e32 v6, 0xbfb8aa3b, v4
	s_and_b32 vcc_lo, exec_lo, vcc_lo
	s_delay_alu instid0(VALU_DEP_1) | instskip(SKIP_2) | instid1(VALU_DEP_1)
	v_exp_f32_e32 v4, v6
	s_waitcnt_depctr 0xfff
	v_fma_f32 v4, v4, v5, 1.0
	v_rcp_f32_e32 v21, v4
	s_waitcnt_depctr 0xfff
	v_mov_b32_e32 v56, v21
	s_cbranch_vccnz .LBB7_18
; %bb.17:
	global_load_b32 v4, v183, s[6:7] offset:1024
	s_waitcnt vmcnt(0)
	v_add_f32_e32 v56, v21, v4
.LBB7_18:
	global_load_b32 v4, v[1:2], off offset:1152
	s_waitcnt vmcnt(0)
	v_mul_f32_e32 v5, 0xbfb8aa3b, v4
	s_delay_alu instid0(VALU_DEP_1) | instskip(SKIP_3) | instid1(VALU_DEP_3)
	v_cmp_gt_f32_e32 vcc_lo, 0xc2fc0000, v5
	v_cndmask_b32_e64 v6, 0, 0x42800000, vcc_lo
	v_cndmask_b32_e64 v5, 1.0, 0x1f800000, vcc_lo
	v_cmp_ne_u32_e32 vcc_lo, 1, v3
	v_fmac_f32_e32 v6, 0xbfb8aa3b, v4
	s_and_b32 vcc_lo, exec_lo, vcc_lo
	s_delay_alu instid0(VALU_DEP_1) | instskip(SKIP_2) | instid1(VALU_DEP_1)
	v_exp_f32_e32 v4, v6
	s_waitcnt_depctr 0xfff
	v_fma_f32 v4, v4, v5, 1.0
	v_rcp_f32_e32 v22, v4
	s_waitcnt_depctr 0xfff
	v_mov_b32_e32 v57, v22
	s_cbranch_vccnz .LBB7_20
; %bb.19:
	global_load_b32 v4, v183, s[6:7] offset:1152
	s_waitcnt vmcnt(0)
	v_add_f32_e32 v57, v22, v4
.LBB7_20:
	global_load_b32 v4, v[1:2], off offset:1280
	s_waitcnt vmcnt(0)
	v_mul_f32_e32 v5, 0xbfb8aa3b, v4
	s_delay_alu instid0(VALU_DEP_1) | instskip(SKIP_3) | instid1(VALU_DEP_3)
	v_cmp_gt_f32_e32 vcc_lo, 0xc2fc0000, v5
	v_cndmask_b32_e64 v6, 0, 0x42800000, vcc_lo
	v_cndmask_b32_e64 v5, 1.0, 0x1f800000, vcc_lo
	v_cmp_ne_u32_e32 vcc_lo, 1, v3
	v_fmac_f32_e32 v6, 0xbfb8aa3b, v4
	s_and_b32 vcc_lo, exec_lo, vcc_lo
	s_delay_alu instid0(VALU_DEP_1) | instskip(SKIP_2) | instid1(VALU_DEP_1)
	v_exp_f32_e32 v4, v6
	s_waitcnt_depctr 0xfff
	v_fma_f32 v4, v4, v5, 1.0
	v_rcp_f32_e32 v23, v4
	s_waitcnt_depctr 0xfff
	v_mov_b32_e32 v58, v23
	s_cbranch_vccnz .LBB7_22
; %bb.21:
	global_load_b32 v4, v183, s[6:7] offset:1280
	s_waitcnt vmcnt(0)
	v_add_f32_e32 v58, v23, v4
.LBB7_22:
	global_load_b32 v1, v[1:2], off offset:1408
	s_waitcnt vmcnt(0)
	v_mul_f32_e32 v2, 0xbfb8aa3b, v1
	s_delay_alu instid0(VALU_DEP_1) | instskip(SKIP_3) | instid1(VALU_DEP_3)
	v_cmp_gt_f32_e32 vcc_lo, 0xc2fc0000, v2
	v_cndmask_b32_e64 v4, 0, 0x42800000, vcc_lo
	v_cndmask_b32_e64 v2, 1.0, 0x1f800000, vcc_lo
	v_cmp_ne_u32_e32 vcc_lo, 1, v3
	v_fmac_f32_e32 v4, 0xbfb8aa3b, v1
	s_delay_alu instid0(VALU_DEP_1) | instskip(SKIP_2) | instid1(VALU_DEP_1)
	v_exp_f32_e32 v1, v4
	s_waitcnt_depctr 0xfff
	v_fma_f32 v1, v1, v2, 1.0
	v_rcp_f32_e32 v24, v1
	s_cbranch_vccnz .LBB7_24
; %bb.23:
	global_load_b32 v1, v183, s[6:7] offset:1408
	s_waitcnt vmcnt(0)
	v_add_f32_e32 v59, v24, v1
	s_branch .LBB7_25
.LBB7_24:
	s_waitcnt_depctr 0xfff
	v_mov_b32_e32 v59, v24
.LBB7_25:
	v_dual_mov_b32 v1, v48 :: v_dual_add_nc_u32 v26, 32, v0
	v_dual_mov_b32 v2, v49 :: v_dual_add_nc_u32 v27, 64, v0
	v_dual_mov_b32 v3, v50 :: v_dual_add_nc_u32 v28, 0x60, v0
	v_dual_mov_b32 v4, v51 :: v_dual_add_nc_u32 v29, 0x80, v0
	v_dual_mov_b32 v5, v52 :: v_dual_add_nc_u32 v30, 0xa0, v0
	v_dual_mov_b32 v6, v53 :: v_dual_add_nc_u32 v31, 0xc0, v0
	v_dual_mov_b32 v7, v54 :: v_dual_add_nc_u32 v32, 0xe0, v0
	v_dual_mov_b32 v8, v55 :: v_dual_add_nc_u32 v33, 0x100, v0
	v_dual_mov_b32 v9, v56 :: v_dual_add_nc_u32 v34, 0x120, v0
	v_dual_mov_b32 v10, v57 :: v_dual_add_nc_u32 v35, 0x140, v0
	v_dual_mov_b32 v11, v58 :: v_dual_add_nc_u32 v36, 0x160, v0
	v_dual_mov_b32 v12, v59 :: v_dual_mov_b32 v13, v37
	v_mov_b32_e32 v25, v0
	s_mov_b32 s2, exec_lo
	v_cmpx_lt_f32_e32 v48, v49
	s_xor_b32 s2, exec_lo, s2
; %bb.26:
	v_dual_mov_b32 v1, v49 :: v_dual_mov_b32 v2, v48
	v_dual_mov_b32 v3, v50 :: v_dual_mov_b32 v4, v51
	;; [unrolled: 1-line block ×6, first 2 shown]
	v_mov_b32_e32 v49, v48
	v_dual_mov_b32 v13, v14 :: v_dual_mov_b32 v14, v37
	v_dual_mov_b32 v25, v26 :: v_dual_mov_b32 v26, v0
; %bb.27:
	s_or_b32 exec_lo, exec_lo, s2
	v_dual_mov_b32 v122, v24 :: v_dual_mov_b32 v119, v21
	v_dual_mov_b32 v86, v24 :: v_dual_mov_b32 v85, v23
	;; [unrolled: 1-line block ×37, first 2 shown]
	s_clause 0x8
	scratch_store_b128 off, v[13:16], off
	scratch_store_b128 off, v[17:20], off offset:16
	scratch_store_b128 off, v[21:24], off offset:32
	;; [unrolled: 1-line block ×8, first 2 shown]
	v_dual_mov_b32 v72, v34 :: v_dual_mov_b32 v69, v31
	v_dual_mov_b32 v70, v32 :: v_dual_mov_b32 v67, v29
	;; [unrolled: 1-line block ×29, first 2 shown]
	v_mov_b32_e32 v160, v26
	s_clause 0x2
	scratch_store_b128 off, v[25:28], off offset:144
	scratch_store_b128 off, v[29:32], off offset:160
	;; [unrolled: 1-line block ×3, first 2 shown]
	s_mov_b32 s2, exec_lo
	v_dual_mov_b32 v182, v36 :: v_dual_mov_b32 v179, v33
	v_dual_mov_b32 v181, v35 :: v_dual_mov_b32 v180, v34
	;; [unrolled: 1-line block ×6, first 2 shown]
	v_cmpx_lt_f32_e32 v49, v3
	s_cbranch_execz .LBB7_29
; %bb.28:
	v_dual_mov_b32 v182, v36 :: v_dual_mov_b32 v179, v33
	v_dual_mov_b32 v174, v28 :: v_dual_mov_b32 v171, v25
	;; [unrolled: 1-line block ×3, first 2 shown]
	v_mov_b32_e32 v172, v26
	v_dual_mov_b32 v62, v49 :: v_dual_mov_b32 v181, v35
	v_dual_mov_b32 v180, v34 :: v_dual_mov_b32 v177, v31
	;; [unrolled: 1-line block ×11, first 2 shown]
	v_mov_b32_e32 v125, v14
	v_dual_mov_b32 v162, v174 :: v_dual_mov_b32 v163, v175
	v_dual_mov_b32 v164, v176 :: v_dual_mov_b32 v165, v177
	;; [unrolled: 1-line block ×5, first 2 shown]
	v_mov_b32_e32 v162, v28
	v_dual_mov_b32 v170, v182 :: v_dual_mov_b32 v37, v159
	s_clause 0x2
	scratch_store_b128 off, v[123:126], off offset:96
	scratch_store_b128 off, v[127:130], off offset:112
	scratch_store_b128 off, v[131:134], off offset:128
	v_dual_mov_b32 v42, v164 :: v_dual_mov_b32 v47, v169
	v_dual_mov_b32 v126, v16 :: v_dual_mov_b32 v45, v167
	;; [unrolled: 1-line block ×5, first 2 shown]
	v_mov_b32_e32 v38, v160
	v_mov_b32_e32 v40, v162
	s_clause 0x2
	scratch_store_b128 off, v[37:40], off offset:144
	scratch_store_b128 off, v[41:44], off offset:160
	;; [unrolled: 1-line block ×3, first 2 shown]
	v_dual_mov_b32 v2, v3 :: v_dual_mov_b32 v3, v49
	v_mov_b32_e32 v147, v159
	v_mov_b32_e32 v127, v17
	;; [unrolled: 1-line block ×3, first 2 shown]
	v_dual_mov_b32 v151, v163 :: v_dual_mov_b32 v148, v160
	v_dual_mov_b32 v153, v165 :: v_dual_mov_b32 v152, v164
	;; [unrolled: 1-line block ×3, first 2 shown]
	v_mov_b32_e32 v158, v170
	v_dual_mov_b32 v150, v162 :: v_dual_mov_b32 v155, v167
	v_mov_b32_e32 v156, v168
	v_mov_b32_e32 v152, v30
	;; [unrolled: 1-line block ×3, first 2 shown]
	v_dual_mov_b32 v27, v26 :: v_dual_mov_b32 v42, v128
	v_mov_b32_e32 v37, v123
	v_dual_mov_b32 v43, v129 :: v_dual_mov_b32 v44, v130
	v_mov_b32_e32 v39, v125
	v_dual_mov_b32 v45, v131 :: v_dual_mov_b32 v46, v132
	v_dual_mov_b32 v47, v133 :: v_dual_mov_b32 v48, v134
	v_mov_b32_e32 v38, v124
	v_mov_b32_e32 v40, v126
	s_clause 0x2
	scratch_store_b128 off, v[37:40], off offset:48
	scratch_store_b128 off, v[41:44], off offset:64
	;; [unrolled: 1-line block ×3, first 2 shown]
	v_mov_b32_e32 v37, v123
	v_mov_b32_e32 v39, v125
	v_dual_mov_b32 v41, v127 :: v_dual_mov_b32 v38, v124
	v_mov_b32_e32 v99, v147
	v_mov_b32_e32 v105, v153
	v_dual_mov_b32 v105, v31 :: v_dual_mov_b32 v106, v154
	v_dual_mov_b32 v40, v126 :: v_dual_mov_b32 v101, v149
	;; [unrolled: 1-line block ×3, first 2 shown]
	v_mov_b32_e32 v110, v158
	v_mov_b32_e32 v50, v123
	v_dual_mov_b32 v100, v148 :: v_dual_mov_b32 v107, v155
	v_dual_mov_b32 v102, v150 :: v_dual_mov_b32 v109, v157
	;; [unrolled: 1-line block ×7, first 2 shown]
	v_mov_b32_e32 v58, v131
	v_mov_b32_e32 v56, v19
	s_clause 0x2
	scratch_store_b128 off, v[37:40], off
	scratch_store_b128 off, v[41:44], off offset:16
	scratch_store_b128 off, v[45:48], off offset:32
	v_dual_mov_b32 v60, v133 :: v_dual_mov_b32 v55, v128
	v_mov_b32_e32 v37, v99
	v_mov_b32_e32 v41, v103
	;; [unrolled: 1-line block ×3, first 2 shown]
	v_dual_mov_b32 v43, v105 :: v_dual_mov_b32 v48, v110
	v_dual_mov_b32 v38, v100 :: v_dual_mov_b32 v45, v107
	v_mov_b32_e32 v44, v106
	v_dual_mov_b32 v122, v61 :: v_dual_mov_b32 v113, v52
	v_dual_mov_b32 v40, v102 :: v_dual_mov_b32 v47, v109
	;; [unrolled: 1-line block ×7, first 2 shown]
	v_mov_b32_e32 v114, v53
	v_mov_b32_e32 v116, v55
	;; [unrolled: 1-line block ×4, first 2 shown]
	v_dual_mov_b32 v98, v48 :: v_dual_mov_b32 v95, v45
	v_mov_b32_e32 v95, v33
	v_mov_b32_e32 v93, v43
	;; [unrolled: 1-line block ×4, first 2 shown]
	v_dual_mov_b32 v87, v37 :: v_dual_mov_b32 v146, v122
	v_dual_mov_b32 v137, v113 :: v_dual_mov_b32 v96, v46
	;; [unrolled: 1-line block ×3, first 2 shown]
	v_mov_b32_e32 v135, v111
	v_dual_mov_b32 v97, v47 :: v_dual_mov_b32 v94, v44
	v_dual_mov_b32 v92, v42 :: v_dual_mov_b32 v143, v119
	;; [unrolled: 1-line block ×4, first 2 shown]
	v_mov_b32_e32 v138, v114
	v_dual_mov_b32 v142, v118 :: v_dual_mov_b32 v143, v21
	v_dual_mov_b32 v140, v116 :: v_dual_mov_b32 v63, v87
	;; [unrolled: 1-line block ×8, first 2 shown]
	v_mov_b32_e32 v86, v146
	v_dual_mov_b32 v64, v88 :: v_dual_mov_b32 v69, v93
	v_dual_mov_b32 v66, v90 :: v_dual_mov_b32 v71, v95
	;; [unrolled: 1-line block ×7, first 2 shown]
	v_mov_b32_e32 v82, v142
	v_mov_b32_e32 v84, v22
	;; [unrolled: 1-line block ×3, first 2 shown]
.LBB7_29:
	s_or_b32 exec_lo, exec_lo, s2
	v_mov_b32_e32 v13, v4
	s_mov_b32 s2, exec_lo
	v_cmpx_lt_f32_e32 v62, v4
	s_cbranch_execz .LBB7_31
; %bb.30:
	s_clause 0x2
	scratch_load_b128 v[37:40], off, off offset:96
	scratch_load_b128 v[41:44], off, off offset:112
	;; [unrolled: 1-line block ×3, first 2 shown]
	v_dual_mov_b32 v173, v28 :: v_dual_mov_b32 v28, v27
	v_mov_b32_e32 v3, v4
	s_waitcnt vmcnt(0)
	v_dual_mov_b32 v13, v62 :: v_dual_mov_b32 v134, v48
	v_dual_mov_b32 v133, v47 :: v_dual_mov_b32 v124, v38
	;; [unrolled: 1-line block ×3, first 2 shown]
	v_mov_b32_e32 v125, v16
	v_dual_mov_b32 v159, v171 :: v_dual_mov_b32 v160, v172
	s_delay_alu instid0(VALU_DEP_3) | instskip(NEXT) | instid1(VALU_DEP_3)
	v_dual_mov_b32 v162, v174 :: v_dual_mov_b32 v37, v123
	v_dual_mov_b32 v38, v124 :: v_dual_mov_b32 v39, v125
	;; [unrolled: 1-line block ×5, first 2 shown]
	v_mov_b32_e32 v126, v15
	s_clause 0x2
	scratch_store_b128 off, v[37:40], off offset:96
	scratch_store_b128 off, v[41:44], off offset:112
	;; [unrolled: 1-line block ×3, first 2 shown]
	v_dual_mov_b32 v161, v173 :: v_dual_mov_b32 v164, v176
	v_dual_mov_b32 v167, v179 :: v_dual_mov_b32 v170, v182
	;; [unrolled: 1-line block ×5, first 2 shown]
	s_delay_alu instid0(VALU_DEP_2) | instskip(SKIP_2) | instid1(VALU_DEP_4)
	v_dual_mov_b32 v42, v164 :: v_dual_mov_b32 v43, v165
	v_dual_mov_b32 v48, v170 :: v_dual_mov_b32 v37, v159
	;; [unrolled: 1-line block ×6, first 2 shown]
	s_clause 0x2
	scratch_store_b128 off, v[37:40], off offset:144
	scratch_store_b128 off, v[41:44], off offset:160
	;; [unrolled: 1-line block ×3, first 2 shown]
	v_dual_mov_b32 v42, v128 :: v_dual_mov_b32 v43, v129
	v_dual_mov_b32 v48, v134 :: v_dual_mov_b32 v37, v123
	v_dual_mov_b32 v44, v130 :: v_dual_mov_b32 v45, v131
	v_dual_mov_b32 v46, v132 :: v_dual_mov_b32 v47, v133
	v_dual_mov_b32 v38, v124 :: v_dual_mov_b32 v39, v125
	v_dual_mov_b32 v40, v126 :: v_dual_mov_b32 v127, v17
	s_clause 0x2
	scratch_store_b128 off, v[37:40], off offset:48
	scratch_store_b128 off, v[41:44], off offset:64
	;; [unrolled: 1-line block ×3, first 2 shown]
	v_dual_mov_b32 v147, v159 :: v_dual_mov_b32 v148, v160
	v_dual_mov_b32 v151, v163 :: v_dual_mov_b32 v152, v164
	;; [unrolled: 1-line block ×10, first 2 shown]
	s_delay_alu instid0(VALU_DEP_4)
	v_dual_mov_b32 v106, v154 :: v_dual_mov_b32 v107, v155
	v_mov_b32_e32 v110, v158
	v_dual_mov_b32 v100, v148 :: v_dual_mov_b32 v101, v149
	v_dual_mov_b32 v104, v152 :: v_dual_mov_b32 v105, v153
	;; [unrolled: 1-line block ×5, first 2 shown]
	v_mov_b32_e32 v61, v134
	s_clause 0x2
	scratch_store_b128 off, v[37:40], off
	scratch_store_b128 off, v[41:44], off offset:16
	scratch_store_b128 off, v[45:48], off offset:32
	v_dual_mov_b32 v54, v127 :: v_dual_mov_b32 v55, v128
	v_dual_mov_b32 v56, v129 :: v_dual_mov_b32 v57, v130
	;; [unrolled: 1-line block ×8, first 2 shown]
	v_mov_b32_e32 v48, v110
	v_mov_b32_e32 v44, v32
	v_dual_mov_b32 v42, v104 :: v_dual_mov_b32 v43, v105
	v_dual_mov_b32 v46, v108 :: v_dual_mov_b32 v47, v109
	;; [unrolled: 1-line block ×9, first 2 shown]
	v_mov_b32_e32 v114, v53
	v_mov_b32_e32 v112, v51
	v_dual_mov_b32 v98, v48 :: v_dual_mov_b32 v91, v41
	v_dual_mov_b32 v94, v44 :: v_dual_mov_b32 v87, v37
	;; [unrolled: 1-line block ×3, first 2 shown]
	v_mov_b32_e32 v89, v39
	v_mov_b32_e32 v95, v45
	v_dual_mov_b32 v93, v43 :: v_dual_mov_b32 v146, v122
	v_dual_mov_b32 v143, v119 :: v_dual_mov_b32 v140, v116
	;; [unrolled: 1-line block ×15, first 2 shown]
	v_mov_b32_e32 v86, v146
	v_dual_mov_b32 v64, v88 :: v_dual_mov_b32 v65, v89
	v_dual_mov_b32 v66, v90 :: v_dual_mov_b32 v67, v91
	;; [unrolled: 1-line block ×8, first 2 shown]
	v_mov_b32_e32 v84, v22
	v_mov_b32_e32 v86, v24
.LBB7_31:
	s_or_b32 exec_lo, exec_lo, s2
	v_mov_b32_e32 v14, v5
	s_mov_b32 s2, exec_lo
	v_cmpx_lt_f32_e32 v13, v5
	s_cbranch_execz .LBB7_33
; %bb.32:
	s_clause 0x2
	scratch_load_b128 v[37:40], off, off offset:96
	scratch_load_b128 v[41:44], off, off offset:112
	scratch_load_b128 v[45:48], off, off offset:128
	v_mov_b32_e32 v174, v29
	v_mov_b32_e32 v14, v13
	;; [unrolled: 1-line block ×3, first 2 shown]
	v_dual_mov_b32 v17, v16 :: v_dual_mov_b32 v4, v5
	v_mov_b32_e32 v29, v28
	s_waitcnt vmcnt(0)
	v_dual_mov_b32 v73, v48 :: v_dual_mov_b32 v64, v39
	v_dual_mov_b32 v70, v45 :: v_dual_mov_b32 v69, v44
	;; [unrolled: 1-line block ×18, first 2 shown]
	v_mov_b32_e32 v127, v16
	v_dual_mov_b32 v147, v159 :: v_dual_mov_b32 v148, v160
	v_dual_mov_b32 v149, v161 :: v_dual_mov_b32 v152, v164
	v_dual_mov_b32 v153, v165 :: v_dual_mov_b32 v156, v168
	v_dual_mov_b32 v155, v167 :: v_dual_mov_b32 v158, v170
	v_dual_mov_b32 v157, v169 :: v_dual_mov_b32 v152, v30
	v_dual_mov_b32 v151, v163 :: v_dual_mov_b32 v154, v166
	v_dual_mov_b32 v150, v162 :: v_dual_mov_b32 v43, v129
	v_dual_mov_b32 v44, v130 :: v_dual_mov_b32 v37, v123
	v_dual_mov_b32 v38, v124 :: v_dual_mov_b32 v45, v131
	v_dual_mov_b32 v46, v132 :: v_dual_mov_b32 v47, v133
	v_dual_mov_b32 v48, v134 :: v_dual_mov_b32 v39, v125
	v_dual_mov_b32 v40, v126 :: v_dual_mov_b32 v41, v127
	v_dual_mov_b32 v128, v18 :: v_dual_mov_b32 v99, v147
	v_dual_mov_b32 v100, v148 :: v_dual_mov_b32 v105, v153
	v_dual_mov_b32 v106, v154 :: v_dual_mov_b32 v109, v157
	v_dual_mov_b32 v110, v158 :: v_dual_mov_b32 v103, v151
	v_dual_mov_b32 v104, v152 :: v_dual_mov_b32 v105, v31
	v_dual_mov_b32 v5, v13 :: v_dual_mov_b32 v50, v123
	v_dual_mov_b32 v107, v155 :: v_dual_mov_b32 v108, v156
	v_mov_b32_e32 v61, v134
	s_clause 0x2
	scratch_store_b128 off, v[37:40], off
	scratch_store_b128 off, v[41:44], off offset:16
	scratch_store_b128 off, v[45:48], off offset:32
	v_dual_mov_b32 v53, v126 :: v_dual_mov_b32 v54, v127
	v_dual_mov_b32 v101, v149 :: v_dual_mov_b32 v102, v150
	;; [unrolled: 1-line block ×10, first 2 shown]
	v_mov_b32_e32 v46, v108
	v_dual_mov_b32 v122, v61 :: v_dual_mov_b32 v121, v60
	v_dual_mov_b32 v43, v105 :: v_dual_mov_b32 v44, v106
	;; [unrolled: 1-line block ×8, first 2 shown]
	v_mov_b32_e32 v112, v51
	v_mov_b32_e32 v118, v20
	v_dual_mov_b32 v98, v48 :: v_dual_mov_b32 v93, v43
	v_dual_mov_b32 v92, v42 :: v_dual_mov_b32 v87, v37
	v_mov_b32_e32 v97, v47
	v_dual_mov_b32 v95, v45 :: v_dual_mov_b32 v146, v122
	v_dual_mov_b32 v143, v119 :: v_dual_mov_b32 v138, v114
	;; [unrolled: 1-line block ×7, first 2 shown]
	v_mov_b32_e32 v89, v39
	s_clause 0x5
	scratch_store_b128 off, v[62:65], off offset:48
	scratch_store_b128 off, v[66:69], off offset:64
	;; [unrolled: 1-line block ×6, first 2 shown]
	v_dual_mov_b32 v142, v118 :: v_dual_mov_b32 v139, v115
	v_dual_mov_b32 v140, v116 :: v_dual_mov_b32 v137, v113
	;; [unrolled: 1-line block ×17, first 2 shown]
	v_mov_b32_e32 v84, v22
	v_mov_b32_e32 v86, v24
.LBB7_33:
	s_or_b32 exec_lo, exec_lo, s2
	v_mov_b32_e32 v13, v6
	s_mov_b32 s2, exec_lo
	v_cmpx_lt_f32_e32 v14, v6
	s_cbranch_execz .LBB7_35
; %bb.34:
	s_clause 0x2
	scratch_load_b128 v[37:40], off, off offset:144
	scratch_load_b128 v[41:44], off, off offset:160
	;; [unrolled: 1-line block ×3, first 2 shown]
	v_mov_b32_e32 v5, v6
	s_waitcnt vmcnt(0)
	v_dual_mov_b32 v13, v14 :: v_dual_mov_b32 v170, v48
	v_dual_mov_b32 v169, v47 :: v_dual_mov_b32 v162, v40
	;; [unrolled: 1-line block ×6, first 2 shown]
	s_clause 0x2
	scratch_load_b128 v[37:40], off, off offset:48
	scratch_load_b128 v[41:44], off, off offset:64
	;; [unrolled: 1-line block ×3, first 2 shown]
	v_dual_mov_b32 v163, v30 :: v_dual_mov_b32 v30, v29
	s_waitcnt vmcnt(0)
	v_dual_mov_b32 v73, v48 :: v_dual_mov_b32 v72, v47
	v_dual_mov_b32 v65, v40 :: v_dual_mov_b32 v62, v37
	v_mov_b32_e32 v63, v38
	v_dual_mov_b32 v67, v42 :: v_dual_mov_b32 v64, v39
	v_dual_mov_b32 v71, v46 :: v_dual_mov_b32 v70, v45
	;; [unrolled: 1-line block ×4, first 2 shown]
	v_mov_b32_e32 v148, v160
	v_dual_mov_b32 v134, v73 :: v_dual_mov_b32 v133, v72
	v_dual_mov_b32 v124, v63 :: v_dual_mov_b32 v123, v62
	;; [unrolled: 1-line block ×11, first 2 shown]
	v_mov_b32_e32 v128, v17
	v_mov_b32_e32 v152, v29
	v_dual_mov_b32 v50, v123 :: v_dual_mov_b32 v51, v124
	v_mov_b32_e32 v99, v147
	s_delay_alu instid0(VALU_DEP_3)
	v_dual_mov_b32 v53, v126 :: v_dual_mov_b32 v104, v152
	v_dual_mov_b32 v105, v153 :: v_dual_mov_b32 v100, v148
	;; [unrolled: 1-line block ×7, first 2 shown]
	v_mov_b32_e32 v57, v130
	v_dual_mov_b32 v102, v150 :: v_dual_mov_b32 v103, v151
	v_dual_mov_b32 v108, v156 :: v_dual_mov_b32 v109, v157
	;; [unrolled: 1-line block ×3, first 2 shown]
	v_mov_b32_e32 v58, v131
	v_mov_b32_e32 v56, v19
	v_dual_mov_b32 v37, v99 :: v_dual_mov_b32 v38, v100
	v_mov_b32_e32 v39, v101
	v_dual_mov_b32 v43, v105 :: v_dual_mov_b32 v48, v110
	s_delay_alu instid0(VALU_DEP_4)
	v_dual_mov_b32 v122, v61 :: v_dual_mov_b32 v117, v56
	v_dual_mov_b32 v42, v104 :: v_dual_mov_b32 v45, v107
	;; [unrolled: 1-line block ×9, first 2 shown]
	v_mov_b32_e32 v118, v20
	v_mov_b32_e32 v44, v32
	;; [unrolled: 1-line block ×3, first 2 shown]
	v_dual_mov_b32 v98, v48 :: v_dual_mov_b32 v95, v45
	v_dual_mov_b32 v146, v122 :: v_dual_mov_b32 v145, v121
	s_delay_alu instid0(VALU_DEP_4)
	v_dual_mov_b32 v94, v44 :: v_dual_mov_b32 v87, v37
	v_dual_mov_b32 v97, v47 :: v_dual_mov_b32 v144, v120
	;; [unrolled: 1-line block ×5, first 2 shown]
	v_mov_b32_e32 v93, v43
	v_dual_mov_b32 v91, v41 :: v_dual_mov_b32 v90, v40
	v_dual_mov_b32 v141, v117 :: v_dual_mov_b32 v88, v38
	;; [unrolled: 1-line block ×6, first 2 shown]
	s_clause 0x2
	scratch_store_b128 off, v[62:65], off
	scratch_store_b128 off, v[66:69], off offset:16
	scratch_store_b128 off, v[70:73], off offset:32
	v_dual_mov_b32 v63, v87 :: v_dual_mov_b32 v74, v98
	v_dual_mov_b32 v75, v135 :: v_dual_mov_b32 v72, v96
	;; [unrolled: 1-line block ×14, first 2 shown]
	v_mov_b32_e32 v84, v22
	v_mov_b32_e32 v86, v24
	;; [unrolled: 1-line block ×3, first 2 shown]
.LBB7_35:
	s_or_b32 exec_lo, exec_lo, s2
	v_mov_b32_e32 v14, v7
	s_mov_b32 s2, exec_lo
	v_cmpx_lt_f32_e32 v13, v7
	s_cbranch_execz .LBB7_37
; %bb.36:
	s_clause 0x2
	scratch_load_b128 v[37:40], off, off
	scratch_load_b128 v[41:44], off, off offset:16
	scratch_load_b128 v[45:48], off, off offset:32
	v_mov_b32_e32 v164, v31
	v_dual_mov_b32 v14, v13 :: v_dual_mov_b32 v31, v30
	s_waitcnt vmcnt(0)
	v_dual_mov_b32 v134, v48 :: v_dual_mov_b32 v133, v47
	v_dual_mov_b32 v130, v44 :: v_dual_mov_b32 v127, v41
	;; [unrolled: 1-line block ×5, first 2 shown]
	v_mov_b32_e32 v125, v39
	v_dual_mov_b32 v99, v159 :: v_dual_mov_b32 v100, v160
	v_dual_mov_b32 v128, v19 :: v_dual_mov_b32 v101, v161
	v_mov_b32_e32 v110, v170
	v_dual_mov_b32 v50, v123 :: v_dual_mov_b32 v53, v126
	v_dual_mov_b32 v106, v166 :: v_dual_mov_b32 v107, v167
	;; [unrolled: 1-line block ×19, first 2 shown]
	v_mov_b32_e32 v47, v109
	v_dual_mov_b32 v114, v53 :: v_dual_mov_b32 v111, v50
	v_mov_b32_e32 v118, v20
	v_dual_mov_b32 v120, v59 :: v_dual_mov_b32 v117, v56
	v_dual_mov_b32 v116, v55 :: v_dual_mov_b32 v113, v52
	v_mov_b32_e32 v44, v32
	v_mov_b32_e32 v112, v51
	v_dual_mov_b32 v98, v48 :: v_dual_mov_b32 v95, v45
	v_dual_mov_b32 v146, v122 :: v_dual_mov_b32 v145, v121
	;; [unrolled: 1-line block ×8, first 2 shown]
	v_mov_b32_e32 v89, v39
	v_dual_mov_b32 v93, v43 :: v_dual_mov_b32 v88, v38
	v_dual_mov_b32 v141, v117 :: v_dual_mov_b32 v140, v116
	v_mov_b32_e32 v95, v33
	v_dual_mov_b32 v139, v115 :: v_dual_mov_b32 v138, v114
	v_dual_mov_b32 v143, v21 :: v_dual_mov_b32 v136, v112
	v_dual_mov_b32 v63, v87 :: v_dual_mov_b32 v64, v88
	v_dual_mov_b32 v6, v7 :: v_dual_mov_b32 v65, v89
	v_dual_mov_b32 v7, v13 :: v_dual_mov_b32 v74, v98
	v_dual_mov_b32 v75, v135 :: v_dual_mov_b32 v72, v96
	v_dual_mov_b32 v73, v97 :: v_dual_mov_b32 v84, v144
	v_dual_mov_b32 v85, v145 :: v_dual_mov_b32 v86, v146
	v_dual_mov_b32 v73, v35 :: v_dual_mov_b32 v74, v36
	v_dual_mov_b32 v147, v159 :: v_dual_mov_b32 v66, v90
	v_dual_mov_b32 v67, v91 :: v_dual_mov_b32 v68, v92
	v_dual_mov_b32 v69, v93 :: v_dual_mov_b32 v70, v94
	v_dual_mov_b32 v71, v95 :: v_dual_mov_b32 v76, v136
	v_dual_mov_b32 v77, v137 :: v_dual_mov_b32 v78, v138
	v_dual_mov_b32 v79, v139 :: v_dual_mov_b32 v80, v140
	v_dual_mov_b32 v81, v141 :: v_dual_mov_b32 v82, v142
	v_dual_mov_b32 v83, v143 :: v_dual_mov_b32 v72, v34
	v_dual_mov_b32 v85, v23 :: v_dual_mov_b32 v84, v22
	v_dual_mov_b32 v149, v161 :: v_dual_mov_b32 v86, v24
	v_dual_mov_b32 v151, v163 :: v_dual_mov_b32 v148, v160
	v_dual_mov_b32 v153, v165 :: v_dual_mov_b32 v150, v162
	v_dual_mov_b32 v155, v167 :: v_dual_mov_b32 v152, v164
	v_dual_mov_b32 v157, v169 :: v_dual_mov_b32 v154, v166
	v_dual_mov_b32 v156, v168 :: v_dual_mov_b32 v19, v18
	v_mov_b32_e32 v158, v170
.LBB7_37:
	s_or_b32 exec_lo, exec_lo, s2
	v_mov_b32_e32 v13, v8
	s_mov_b32 s2, exec_lo
	v_cmpx_lt_f32_e32 v14, v8
	s_cbranch_execz .LBB7_39
; %bb.38:
	v_mov_b32_e32 v129, v20
	v_mov_b32_e32 v153, v32
	v_dual_mov_b32 v111, v123 :: v_dual_mov_b32 v114, v126
	v_dual_mov_b32 v37, v147 :: v_dual_mov_b32 v38, v148
	;; [unrolled: 1-line block ×10, first 2 shown]
	v_mov_b32_e32 v120, v132
	v_dual_mov_b32 v116, v128 :: v_dual_mov_b32 v121, v133
	v_mov_b32_e32 v44, v31
	v_dual_mov_b32 v119, v131 :: v_dual_mov_b32 v98, v48
	v_dual_mov_b32 v118, v19 :: v_dual_mov_b32 v95, v45
	;; [unrolled: 1-line block ×13, first 2 shown]
	v_mov_b32_e32 v95, v33
	v_dual_mov_b32 v7, v8 :: v_dual_mov_b32 v8, v14
	v_mov_b32_e32 v143, v21
	v_dual_mov_b32 v63, v87 :: v_dual_mov_b32 v68, v92
	v_dual_mov_b32 v64, v88 :: v_dual_mov_b32 v75, v135
	v_dual_mov_b32 v80, v140 :: v_dual_mov_b32 v67, v91
	v_dual_mov_b32 v72, v96 :: v_dual_mov_b32 v69, v93
	v_dual_mov_b32 v74, v98 :: v_dual_mov_b32 v73, v97
	v_dual_mov_b32 v78, v138 :: v_dual_mov_b32 v79, v139
	v_dual_mov_b32 v84, v144 :: v_dual_mov_b32 v81, v141
	v_dual_mov_b32 v86, v146 :: v_dual_mov_b32 v85, v145
	v_mov_b32_e32 v74, v36
	v_dual_mov_b32 v50, v123 :: v_dual_mov_b32 v51, v124
	v_dual_mov_b32 v99, v147 :: v_dual_mov_b32 v100, v148
	v_dual_mov_b32 v65, v89 :: v_dual_mov_b32 v70, v94
	v_dual_mov_b32 v66, v90 :: v_dual_mov_b32 v71, v95
	v_dual_mov_b32 v76, v136 :: v_dual_mov_b32 v77, v137
	v_dual_mov_b32 v82, v142 :: v_dual_mov_b32 v83, v143
	v_dual_mov_b32 v72, v34 :: v_dual_mov_b32 v73, v35
	;; [unrolled: 9-line block ×3, first 2 shown]
	v_dual_mov_b32 v105, v153 :: v_dual_mov_b32 v106, v154
	v_dual_mov_b32 v107, v155 :: v_dual_mov_b32 v108, v156
	;; [unrolled: 1-line block ×4, first 2 shown]
	v_mov_b32_e32 v32, v31
.LBB7_39:
	s_or_b32 exec_lo, exec_lo, s2
	v_mov_b32_e32 v14, v9
	s_mov_b32 s2, exec_lo
	v_cmpx_lt_f32_e32 v13, v9
	s_cbranch_execz .LBB7_41
; %bb.40:
	v_mov_b32_e32 v57, v21
	v_mov_b32_e32 v106, v33
	v_dual_mov_b32 v146, v61 :: v_dual_mov_b32 v145, v60
	v_dual_mov_b32 v87, v99 :: v_dual_mov_b32 v90, v102
	v_mov_b32_e32 v88, v100
	v_dual_mov_b32 v136, v51 :: v_dual_mov_b32 v135, v50
	v_dual_mov_b32 v91, v103 :: v_dual_mov_b32 v94, v106
	;; [unrolled: 1-line block ×7, first 2 shown]
	v_mov_b32_e32 v139, v54
	v_dual_mov_b32 v89, v101 :: v_dual_mov_b32 v92, v104
	v_dual_mov_b32 v138, v53 :: v_dual_mov_b32 v137, v52
	;; [unrolled: 1-line block ×3, first 2 shown]
	v_mov_b32_e32 v143, v20
	s_delay_alu instid0(VALU_DEP_4)
	v_dual_mov_b32 v63, v87 :: v_dual_mov_b32 v68, v92
	v_dual_mov_b32 v66, v90 :: v_dual_mov_b32 v75, v135
	;; [unrolled: 1-line block ×8, first 2 shown]
	v_mov_b32_e32 v74, v36
	v_dual_mov_b32 v122, v61 :: v_dual_mov_b32 v121, v60
	v_dual_mov_b32 v37, v99 :: v_dual_mov_b32 v38, v100
	;; [unrolled: 1-line block ×20, first 2 shown]
	v_mov_b32_e32 v33, v32
.LBB7_41:
	s_or_b32 exec_lo, exec_lo, s2
	v_mov_b32_e32 v15, v10
	s_mov_b32 s2, exec_lo
	v_cmpx_lt_f32_e32 v14, v10
	s_cbranch_execz .LBB7_43
; %bb.42:
	v_mov_b32_e32 v45, v34
	v_dual_mov_b32 v9, v10 :: v_dual_mov_b32 v74, v48
	v_mov_b32_e32 v72, v46
	v_mov_b32_e32 v72, v33
	s_delay_alu instid0(VALU_DEP_4) | instskip(SKIP_4) | instid1(VALU_DEP_4)
	v_mov_b32_e32 v71, v45
	v_dual_mov_b32 v119, v22 :: v_dual_mov_b32 v70, v44
	v_dual_mov_b32 v75, v111 :: v_dual_mov_b32 v78, v114
	;; [unrolled: 1-line block ×27, first 2 shown]
	v_mov_b32_e32 v34, v33
.LBB7_43:
	s_or_b32 exec_lo, exec_lo, s2
	v_mov_b32_e32 v13, v11
	s_mov_b32 s2, exec_lo
	v_cmpx_lt_f32_e32 v15, v11
	s_cbranch_execz .LBB7_45
; %bb.44:
	v_dual_mov_b32 v144, v23 :: v_dual_mov_b32 v145, v22
	v_dual_mov_b32 v96, v35 :: v_dual_mov_b32 v97, v34
	v_mov_b32_e32 v146, v24
	v_mov_b32_e32 v10, v11
	v_dual_mov_b32 v11, v15 :: v_dual_mov_b32 v98, v36
	v_dual_mov_b32 v75, v135 :: v_dual_mov_b32 v84, v144
	v_dual_mov_b32 v63, v87 :: v_dual_mov_b32 v76, v136
	v_mov_b32_e32 v79, v139
	v_dual_mov_b32 v77, v137 :: v_dual_mov_b32 v78, v138
	v_dual_mov_b32 v81, v141 :: v_dual_mov_b32 v80, v140
	;; [unrolled: 1-line block ×10, first 2 shown]
.LBB7_45:
	s_or_b32 exec_lo, exec_lo, s2
	s_delay_alu instid0(VALU_DEP_1)
	v_cmp_lt_f32_e32 vcc_lo, v13, v12
	v_cmp_lt_f32_e64 s2, v1, v2
	v_dual_mov_b32 v40, v76 :: v_dual_mov_b32 v41, v77
	v_dual_mov_b32 v43, v79 :: v_dual_mov_b32 v44, v80
	v_dual_cndmask_b32 v23, v12, v13 :: v_dual_mov_b32 v42, v78
	v_dual_cndmask_b32 v11, v11, v12 :: v_dual_cndmask_b32 v62, v74, v73
	s_delay_alu instid0(VALU_DEP_2) | instskip(SKIP_3) | instid1(VALU_DEP_4)
	v_dual_cndmask_b32 v49, v85, v86 :: v_dual_mov_b32 v12, v23
	v_dual_cndmask_b32 v61, v73, v74 :: v_dual_cndmask_b32 v50, v86, v85
	v_mov_b32_e32 v39, v75
	v_dual_mov_b32 v45, v81 :: v_dual_mov_b32 v48, v84
	v_dual_mov_b32 v38, v12 :: v_dual_mov_b32 v37, v11
	;; [unrolled: 1-line block ×13, first 2 shown]
	s_and_saveexec_b32 s3, s2
	s_delay_alu instid0(SALU_CYCLE_1)
	s_xor_b32 s2, exec_lo, s3
	s_cbranch_execz .LBB7_47
; %bb.46:
	v_dual_mov_b32 v12, v2 :: v_dual_mov_b32 v13, v1
	v_dual_mov_b32 v14, v3 :: v_dual_mov_b32 v15, v4
	;; [unrolled: 1-line block ×6, first 2 shown]
	s_delay_alu instid0(VALU_DEP_2) | instskip(NEXT) | instid1(VALU_DEP_2)
	v_dual_mov_b32 v38, v23 :: v_dual_mov_b32 v35, v20
	v_dual_mov_b32 v36, v21 :: v_dual_mov_b32 v37, v22
	;; [unrolled: 1-line block ×15, first 2 shown]
	v_mov_b32_e32 v58, v70
	v_mov_b32_e32 v60, v72
.LBB7_47:
	s_or_b32 exec_lo, exec_lo, s2
	v_dual_mov_b32 v1, v29 :: v_dual_mov_b32 v122, v50
	v_dual_mov_b32 v15, v39 :: v_dual_mov_b32 v16, v40
	;; [unrolled: 1-line block ×30, first 2 shown]
	v_mov_b32_e32 v135, v39
	s_clause 0x2
	scratch_store_b128 off, v[39:42], off offset:48
	scratch_store_b128 off, v[43:46], off offset:64
	;; [unrolled: 1-line block ×3, first 2 shown]
	v_dual_mov_b32 v3, v51 :: v_dual_mov_b32 v6, v54
	v_dual_mov_b32 v13, v61 :: v_dual_mov_b32 v74, v62
	;; [unrolled: 1-line block ×34, first 2 shown]
	v_mov_b32_e32 v159, v51
	s_mov_b32 s2, exec_lo
	v_dual_mov_b32 v73, v61 :: v_dual_mov_b32 v72, v60
	v_mov_b32_e32 v4, v52
	s_clause 0x2
	scratch_store_b128 off, v[51:54], off
	scratch_store_b128 off, v[55:58], off offset:16
	scratch_store_b128 off, v[59:62], off offset:32
	v_dual_mov_b32 v182, v50 :: v_dual_mov_b32 v181, v49
	v_dual_mov_b32 v180, v48 :: v_dual_mov_b32 v179, v47
	;; [unrolled: 1-line block ×6, first 2 shown]
	v_cmpx_lt_f32_e32 v2, v29
	s_cbranch_execz .LBB7_49
; %bb.48:
	v_dual_mov_b32 v170, v62 :: v_dual_mov_b32 v169, v61
	v_dual_mov_b32 v162, v54 :: v_dual_mov_b32 v161, v53
	;; [unrolled: 1-line block ×7, first 2 shown]
	s_clause 0x2
	scratch_store_b128 off, v[159:162], off
	scratch_store_b128 off, v[163:166], off offset:16
	scratch_store_b128 off, v[167:170], off offset:32
	v_dual_mov_b32 v182, v50 :: v_dual_mov_b32 v181, v49
	v_dual_mov_b32 v172, v40 :: v_dual_mov_b32 v171, v39
	;; [unrolled: 1-line block ×8, first 2 shown]
	s_delay_alu instid0(VALU_DEP_3)
	v_dual_mov_b32 v140, v176 :: v_dual_mov_b32 v141, v177
	v_dual_mov_b32 v138, v174 :: v_dual_mov_b32 v139, v175
	;; [unrolled: 1-line block ×3, first 2 shown]
	v_mov_b32_e32 v146, v182
	v_dual_mov_b32 v136, v172 :: v_dual_mov_b32 v137, v173
	v_mov_b32_e32 v138, v42
	v_dual_mov_b32 v142, v178 :: v_dual_mov_b32 v143, v179
	v_mov_b32_e32 v53, v52
	v_mov_b32_e32 v139, v43
	;; [unrolled: 1-line block ×3, first 2 shown]
	v_dual_mov_b32 v147, v159 :: v_dual_mov_b32 v148, v160
	v_mov_b32_e32 v151, v163
	v_dual_mov_b32 v149, v161 :: v_dual_mov_b32 v150, v162
	v_dual_mov_b32 v153, v165 :: v_dual_mov_b32 v152, v164
	;; [unrolled: 1-line block ×16, first 2 shown]
	v_mov_b32_e32 v122, v146
	v_dual_mov_b32 v114, v138 :: v_dual_mov_b32 v117, v141
	v_dual_mov_b32 v116, v140 :: v_dual_mov_b32 v119, v143
	;; [unrolled: 1-line block ×14, first 2 shown]
	v_mov_b32_e32 v82, v118
	v_dual_mov_b32 v76, v112 :: v_dual_mov_b32 v81, v117
	v_dual_mov_b32 v80, v116 :: v_dual_mov_b32 v85, v121
	;; [unrolled: 1-line block ×6, first 2 shown]
	v_mov_b32_e32 v81, v45
	v_dual_mov_b32 v65, v89 :: v_dual_mov_b32 v72, v96
	v_mov_b32_e32 v29, v2
	s_delay_alu instid0(VALU_DEP_3)
	v_dual_mov_b32 v110, v86 :: v_dual_mov_b32 v105, v81
	v_dual_mov_b32 v70, v94 :: v_dual_mov_b32 v73, v97
	v_dual_mov_b32 v106, v82 :: v_dual_mov_b32 v103, v79
	v_dual_mov_b32 v102, v78 :: v_dual_mov_b32 v99, v75
	v_dual_mov_b32 v64, v88 :: v_dual_mov_b32 v67, v91
	v_dual_mov_b32 v66, v90 :: v_dual_mov_b32 v69, v93
	v_dual_mov_b32 v68, v92 :: v_dual_mov_b32 v71, v95
	v_dual_mov_b32 v74, v98 :: v_dual_mov_b32 v109, v85
	v_dual_mov_b32 v70, v58 :: v_dual_mov_b32 v107, v83
	v_dual_mov_b32 v1, v2 :: v_dual_mov_b32 v108, v84
	v_dual_mov_b32 v104, v80 :: v_dual_mov_b32 v101, v77
	v_mov_b32_e32 v106, v46
	s_clause 0x2
	scratch_store_b128 off, v[3:6], off offset:48
	scratch_store_b128 off, v[7:10], off offset:64
	;; [unrolled: 1-line block ×3, first 2 shown]
	v_dual_mov_b32 v100, v76 :: v_dual_mov_b32 v3, v63
	v_dual_mov_b32 v12, v72 :: v_dual_mov_b32 v5, v65
	;; [unrolled: 1-line block ×16, first 2 shown]
	v_mov_b32_e32 v26, v50
.LBB7_49:
	s_or_b32 exec_lo, exec_lo, s2
	v_mov_b32_e32 v2, v30
	s_mov_b32 s2, exec_lo
	v_cmpx_lt_f32_e32 v1, v30
	s_cbranch_execz .LBB7_51
; %bb.50:
	s_clause 0x2
	scratch_load_b128 v[2:5], off, off
	scratch_load_b128 v[6:9], off, off offset:16
	scratch_load_b128 v[10:13], off, off offset:32
	v_dual_mov_b32 v29, v30 :: v_dual_mov_b32 v30, v1
	v_dual_mov_b32 v161, v54 :: v_dual_mov_b32 v54, v53
	s_waitcnt vmcnt(0)
	v_dual_mov_b32 v170, v13 :: v_dual_mov_b32 v169, v12
	v_mov_b32_e32 v160, v3
	v_dual_mov_b32 v162, v5 :: v_dual_mov_b32 v159, v2
	v_dual_mov_b32 v173, v42 :: v_dual_mov_b32 v168, v11
	;; [unrolled: 1-line block ×3, first 2 shown]
	s_delay_alu instid0(VALU_DEP_3)
	v_dual_mov_b32 v165, v8 :: v_dual_mov_b32 v2, v159
	v_dual_mov_b32 v3, v160 :: v_dual_mov_b32 v4, v161
	;; [unrolled: 1-line block ×3, first 2 shown]
	s_clause 0x2
	scratch_store_b128 off, v[2:5], off
	scratch_store_b128 off, v[6:9], off offset:16
	scratch_store_b128 off, v[10:13], off offset:32
	v_dual_mov_b32 v162, v53 :: v_dual_mov_b32 v135, v171
	v_dual_mov_b32 v140, v176 :: v_dual_mov_b32 v141, v177
	;; [unrolled: 1-line block ×14, first 2 shown]
	v_mov_b32_e32 v137, v173
	v_dual_mov_b32 v123, v147 :: v_dual_mov_b32 v126, v150
	v_dual_mov_b32 v124, v148 :: v_dual_mov_b32 v111, v135
	s_delay_alu instid0(VALU_DEP_4)
	v_dual_mov_b32 v112, v136 :: v_dual_mov_b32 v125, v149
	v_dual_mov_b32 v128, v152 :: v_dual_mov_b32 v115, v139
	;; [unrolled: 1-line block ×7, first 2 shown]
	v_mov_b32_e32 v128, v56
	v_dual_mov_b32 v116, v44 :: v_dual_mov_b32 v87, v123
	v_dual_mov_b32 v113, v137 :: v_dual_mov_b32 v114, v138
	;; [unrolled: 1-line block ×21, first 2 shown]
	v_mov_b32_e32 v81, v45
	v_dual_mov_b32 v63, v87 :: v_dual_mov_b32 v66, v90
	v_mov_b32_e32 v64, v88
	v_dual_mov_b32 v110, v86 :: v_dual_mov_b32 v109, v85
	v_dual_mov_b32 v65, v89 :: v_dual_mov_b32 v68, v92
	;; [unrolled: 1-line block ×9, first 2 shown]
	v_mov_b32_e32 v102, v78
	v_dual_mov_b32 v42, v41 :: v_dual_mov_b32 v103, v79
	v_mov_b32_e32 v100, v76
	v_mov_b32_e32 v106, v46
	s_clause 0x2
	scratch_store_b128 off, v[2:5], off offset:48
	scratch_store_b128 off, v[6:9], off offset:64
	;; [unrolled: 1-line block ×3, first 2 shown]
	v_dual_mov_b32 v2, v1 :: v_dual_mov_b32 v107, v83
	v_mov_b32_e32 v3, v63
	v_mov_b32_e32 v5, v65
	v_dual_mov_b32 v7, v67 :: v_dual_mov_b32 v14, v74
	v_dual_mov_b32 v15, v99 :: v_dual_mov_b32 v6, v66
	;; [unrolled: 1-line block ×14, first 2 shown]
	v_mov_b32_e32 v24, v48
	v_mov_b32_e32 v26, v50
.LBB7_51:
	s_or_b32 exec_lo, exec_lo, s2
	v_mov_b32_e32 v1, v31
	s_mov_b32 s2, exec_lo
	v_cmpx_lt_f32_e32 v2, v31
	s_cbranch_execz .LBB7_53
; %bb.52:
	s_clause 0x2
	scratch_load_b128 v[3:6], off, off
	scratch_load_b128 v[7:10], off, off offset:16
	scratch_load_b128 v[11:14], off, off offset:32
	v_dual_mov_b32 v30, v31 :: v_dual_mov_b32 v31, v2
	v_mov_b32_e32 v1, v2
	s_waitcnt vmcnt(0)
	v_dual_mov_b32 v170, v14 :: v_dual_mov_b32 v169, v13
	v_dual_mov_b32 v161, v5 :: v_dual_mov_b32 v160, v4
	;; [unrolled: 1-line block ×5, first 2 shown]
	v_mov_b32_e32 v174, v43
	v_mov_b32_e32 v159, v3
	;; [unrolled: 1-line block ×3, first 2 shown]
	v_dual_mov_b32 v135, v171 :: v_dual_mov_b32 v136, v172
	v_mov_b32_e32 v137, v173
	s_delay_alu instid0(VALU_DEP_4) | instskip(NEXT) | instid1(VALU_DEP_4)
	v_dual_mov_b32 v147, v159 :: v_dual_mov_b32 v148, v160
	v_dual_mov_b32 v149, v161 :: v_dual_mov_b32 v150, v162
	;; [unrolled: 1-line block ×10, first 2 shown]
	v_mov_b32_e32 v139, v42
	v_mov_b32_e32 v151, v54
	v_dual_mov_b32 v146, v182 :: v_dual_mov_b32 v123, v147
	v_dual_mov_b32 v111, v135 :: v_dual_mov_b32 v112, v136
	v_dual_mov_b32 v133, v157 :: v_dual_mov_b32 v134, v158
	s_delay_alu instid0(VALU_DEP_4)
	v_dual_mov_b32 v124, v148 :: v_dual_mov_b32 v127, v151
	v_dual_mov_b32 v128, v152 :: v_dual_mov_b32 v131, v155
	;; [unrolled: 1-line block ×9, first 2 shown]
	v_mov_b32_e32 v120, v144
	v_dual_mov_b32 v116, v44 :: v_dual_mov_b32 v87, v123
	v_mov_b32_e32 v114, v138
	v_dual_mov_b32 v98, v134 :: v_dual_mov_b32 v75, v111
	v_dual_mov_b32 v88, v124 :: v_dual_mov_b32 v89, v125
	;; [unrolled: 1-line block ×3, first 2 shown]
	v_mov_b32_e32 v86, v122
	v_dual_mov_b32 v90, v126 :: v_dual_mov_b32 v91, v127
	v_dual_mov_b32 v92, v128 :: v_dual_mov_b32 v93, v129
	v_dual_mov_b32 v94, v130 :: v_dual_mov_b32 v95, v131
	v_dual_mov_b32 v82, v118 :: v_dual_mov_b32 v83, v119
	v_dual_mov_b32 v80, v116 :: v_dual_mov_b32 v81, v117
	v_dual_mov_b32 v84, v120 :: v_dual_mov_b32 v85, v121
	v_dual_mov_b32 v93, v57 :: v_dual_mov_b32 v76, v112
	v_dual_mov_b32 v77, v113 :: v_dual_mov_b32 v78, v114
	v_mov_b32_e32 v79, v115
	v_mov_b32_e32 v81, v45
	v_dual_mov_b32 v63, v87 :: v_dual_mov_b32 v66, v90
	v_dual_mov_b32 v64, v88 :: v_dual_mov_b32 v73, v97
	;; [unrolled: 1-line block ×9, first 2 shown]
	v_mov_b32_e32 v108, v84
	v_dual_mov_b32 v106, v46 :: v_dual_mov_b32 v3, v63
	v_dual_mov_b32 v105, v81 :: v_dual_mov_b32 v104, v80
	;; [unrolled: 1-line block ×19, first 2 shown]
	v_mov_b32_e32 v26, v50
	v_mov_b32_e32 v43, v42
	;; [unrolled: 1-line block ×3, first 2 shown]
	s_clause 0x2
	scratch_store_b128 off, v[171:174], off offset:48
	scratch_store_b128 off, v[175:178], off offset:64
	;; [unrolled: 1-line block ×3, first 2 shown]
.LBB7_53:
	s_or_b32 exec_lo, exec_lo, s2
	v_mov_b32_e32 v2, v32
	s_mov_b32 s2, exec_lo
	v_cmpx_lt_f32_e32 v1, v32
	s_cbranch_execz .LBB7_55
; %bb.54:
	s_clause 0x2
	scratch_load_b128 v[2:5], off, off offset:48
	scratch_load_b128 v[6:9], off, off offset:64
	;; [unrolled: 1-line block ×3, first 2 shown]
	v_dual_mov_b32 v163, v56 :: v_dual_mov_b32 v56, v55
	s_waitcnt vmcnt(0)
	v_dual_mov_b32 v31, v32 :: v_dual_mov_b32 v146, v13
	v_dual_mov_b32 v138, v5 :: v_dual_mov_b32 v137, v4
	;; [unrolled: 1-line block ×6, first 2 shown]
	v_mov_b32_e32 v139, v44
	v_dual_mov_b32 v123, v159 :: v_dual_mov_b32 v124, v160
	v_dual_mov_b32 v125, v161 :: v_dual_mov_b32 v128, v164
	;; [unrolled: 1-line block ×12, first 2 shown]
	v_mov_b32_e32 v120, v144
	v_mov_b32_e32 v116, v43
	v_dual_mov_b32 v87, v123 :: v_dual_mov_b32 v88, v124
	v_dual_mov_b32 v89, v125 :: v_dual_mov_b32 v98, v134
	;; [unrolled: 1-line block ×12, first 2 shown]
	v_mov_b32_e32 v79, v115
	v_mov_b32_e32 v81, v45
	v_dual_mov_b32 v63, v87 :: v_dual_mov_b32 v66, v90
	v_dual_mov_b32 v64, v88 :: v_dual_mov_b32 v73, v97
	v_dual_mov_b32 v110, v86 :: v_dual_mov_b32 v71, v95
	v_dual_mov_b32 v74, v98 :: v_dual_mov_b32 v99, v75
	v_dual_mov_b32 v67, v91 :: v_dual_mov_b32 v70, v94
	v_dual_mov_b32 v107, v83 :: v_dual_mov_b32 v106, v82
	v_dual_mov_b32 v69, v93 :: v_dual_mov_b32 v72, v96
	v_dual_mov_b32 v109, v85 :: v_dual_mov_b32 v108, v84
	v_mov_b32_e32 v70, v58
	v_dual_mov_b32 v106, v46 :: v_dual_mov_b32 v65, v89
	v_dual_mov_b32 v68, v92 :: v_dual_mov_b32 v105, v81
	;; [unrolled: 1-line block ×4, first 2 shown]
	v_mov_b32_e32 v100, v76
	v_dual_mov_b32 v32, v1 :: v_dual_mov_b32 v3, v63
	v_dual_mov_b32 v14, v74 :: v_dual_mov_b32 v15, v99
	v_mov_b32_e32 v26, v110
	v_dual_mov_b32 v10, v70 :: v_dual_mov_b32 v11, v71
	v_dual_mov_b32 v12, v72 :: v_dual_mov_b32 v13, v73
	;; [unrolled: 1-line block ×20, first 2 shown]
	v_mov_b32_e32 v2, v1
	v_mov_b32_e32 v44, v43
.LBB7_55:
	s_or_b32 exec_lo, exec_lo, s2
	v_mov_b32_e32 v1, v33
	s_mov_b32 s2, exec_lo
	v_cmpx_lt_f32_e32 v2, v33
	s_cbranch_execz .LBB7_57
; %bb.56:
	v_mov_b32_e32 v140, v45
	v_dual_mov_b32 v152, v57 :: v_dual_mov_b32 v75, v135
	v_dual_mov_b32 v87, v147 :: v_dual_mov_b32 v90, v150
	v_dual_mov_b32 v91, v151 :: v_dual_mov_b32 v86, v146
	s_delay_alu instid0(VALU_DEP_3)
	v_dual_mov_b32 v92, v152 :: v_dual_mov_b32 v93, v153
	v_dual_mov_b32 v76, v136 :: v_dual_mov_b32 v79, v139
	v_dual_mov_b32 v88, v148 :: v_dual_mov_b32 v89, v149
	v_dual_mov_b32 v94, v154 :: v_dual_mov_b32 v95, v155
	v_dual_mov_b32 v96, v156 :: v_dual_mov_b32 v97, v157
	v_dual_mov_b32 v98, v158 :: v_dual_mov_b32 v77, v137
	v_mov_b32_e32 v93, v56
	v_dual_mov_b32 v84, v144 :: v_dual_mov_b32 v63, v87
	v_dual_mov_b32 v78, v138 :: v_dual_mov_b32 v81, v141
	;; [unrolled: 1-line block ×5, first 2 shown]
	s_delay_alu instid0(VALU_DEP_3) | instskip(SKIP_1) | instid1(VALU_DEP_4)
	v_dual_mov_b32 v110, v86 :: v_dual_mov_b32 v109, v85
	v_dual_mov_b32 v100, v76 :: v_dual_mov_b32 v99, v75
	;; [unrolled: 1-line block ×11, first 2 shown]
	v_mov_b32_e32 v106, v46
	v_dual_mov_b32 v70, v58 :: v_dual_mov_b32 v15, v99
	v_dual_mov_b32 v3, v63 :: v_dual_mov_b32 v24, v108
	;; [unrolled: 1-line block ×3, first 2 shown]
	s_delay_alu instid0(VALU_DEP_3)
	v_dual_mov_b32 v10, v70 :: v_dual_mov_b32 v11, v71
	v_dual_mov_b32 v12, v72 :: v_dual_mov_b32 v13, v73
	;; [unrolled: 1-line block ×26, first 2 shown]
	v_mov_b32_e32 v1, v2
	v_dual_mov_b32 v134, v158 :: v_dual_mov_b32 v45, v44
	v_mov_b32_e32 v57, v56
.LBB7_57:
	s_or_b32 exec_lo, exec_lo, s2
	v_mov_b32_e32 v2, v34
	s_mov_b32 s2, exec_lo
	v_cmpx_lt_f32_e32 v1, v34
	s_cbranch_execz .LBB7_59
; %bb.58:
	v_mov_b32_e32 v129, v58
	v_dual_mov_b32 v63, v123 :: v_dual_mov_b32 v70, v130
	v_dual_mov_b32 v70, v57 :: v_dual_mov_b32 v71, v131
	;; [unrolled: 1-line block ×22, first 2 shown]
	v_mov_b32_e32 v34, v1
	v_dual_mov_b32 v5, v65 :: v_dual_mov_b32 v6, v66
	v_dual_mov_b32 v7, v67 :: v_dual_mov_b32 v8, v68
	;; [unrolled: 1-line block ×20, first 2 shown]
	v_mov_b32_e32 v2, v1
	v_mov_b32_e32 v46, v45
	;; [unrolled: 1-line block ×3, first 2 shown]
.LBB7_59:
	s_or_b32 exec_lo, exec_lo, s2
	v_mov_b32_e32 v1, v35
	s_mov_b32 s2, exec_lo
	v_cmpx_lt_f32_e32 v2, v35
	s_cbranch_execz .LBB7_61
; %bb.60:
	v_mov_b32_e32 v94, v59
	v_dual_mov_b32 v34, v35 :: v_dual_mov_b32 v35, v2
	v_mov_b32_e32 v82, v47
	v_dual_mov_b32 v3, v87 :: v_dual_mov_b32 v4, v88
	v_dual_mov_b32 v12, v96 :: v_dual_mov_b32 v9, v93
	;; [unrolled: 1-line block ×13, first 2 shown]
	v_mov_b32_e32 v7, v91
	v_mov_b32_e32 v11, v58
	v_dual_mov_b32 v14, v62 :: v_dual_mov_b32 v17, v77
	v_dual_mov_b32 v16, v76 :: v_dual_mov_b32 v19, v79
	;; [unrolled: 1-line block ×14, first 2 shown]
	v_mov_b32_e32 v47, v46
	v_mov_b32_e32 v59, v58
	;; [unrolled: 1-line block ×3, first 2 shown]
.LBB7_61:
	s_or_b32 exec_lo, exec_lo, s2
	v_mov_b32_e32 v39, v36
	s_mov_b32 s2, exec_lo
	v_cmpx_lt_f32_e32 v1, v36
	s_cbranch_execz .LBB7_63
; %bb.62:
	v_dual_mov_b32 v71, v60 :: v_dual_mov_b32 v72, v59
	v_dual_mov_b32 v73, v61 :: v_dual_mov_b32 v108, v47
	;; [unrolled: 1-line block ×17, first 2 shown]
	v_mov_b32_e32 v39, v1
.LBB7_63:
	s_or_b32 exec_lo, exec_lo, s2
	s_delay_alu instid0(VALU_DEP_1)
	v_cmp_lt_f32_e32 vcc_lo, v39, v37
	v_dual_mov_b32 v40, v28 :: v_dual_mov_b32 v43, v31
	v_dual_mov_b32 v42, v30 :: v_dual_mov_b32 v45, v33
	v_dual_cndmask_b32 v1, v25, v24 :: v_dual_cndmask_b32 v24, v24, v25
	v_cndmask_b32_e32 v2, v13, v12, vcc_lo
	v_dual_cndmask_b32 v12, v12, v13 :: v_dual_cndmask_b32 v49, v37, v39
	v_dual_cndmask_b32 v48, v36, v37 :: v_dual_mov_b32 v41, v29
	v_dual_mov_b32 v39, v27 :: v_dual_mov_b32 v44, v32
	v_dual_mov_b32 v47, v35 :: v_dual_mov_b32 v46, v34
	v_mov_b32_e32 v50, v38
	s_mov_b32 s2, exec_lo
	v_cmpx_lt_f32_e32 v27, v28
	s_cbranch_execz .LBB7_65
; %bb.64:
	v_dual_mov_b32 v28, v40 :: v_dual_mov_b32 v29, v39
	v_dual_mov_b32 v38, v49 :: v_dual_mov_b32 v39, v50
	;; [unrolled: 1-line block ×6, first 2 shown]
	v_mov_b32_e32 v50, v39
	v_mov_b32_e32 v13, v15
	v_dual_mov_b32 v25, v3 :: v_dual_mov_b32 v44, v33
	v_swap_b32 v15, v16
	v_swap_b32 v3, v4
	v_dual_mov_b32 v49, v38 :: v_dual_mov_b32 v46, v35
	v_dual_mov_b32 v48, v37 :: v_dual_mov_b32 v47, v36
	;; [unrolled: 1-line block ×4, first 2 shown]
	v_mov_b32_e32 v41, v30
	v_dual_mov_b32 v39, v28 :: v_dual_mov_b32 v28, v27
.LBB7_65:
	s_or_b32 exec_lo, exec_lo, s2
	v_mov_b32_e32 v13, v2
	v_dual_mov_b32 v25, v1 :: v_dual_mov_b32 v62, v14
	v_dual_mov_b32 v74, v26 :: v_dual_mov_b32 v63, v15
	v_mov_b32_e32 v86, v26
	v_dual_mov_b32 v72, v24 :: v_dual_mov_b32 v75, v15
	v_dual_mov_b32 v110, v26 :: v_dual_mov_b32 v53, v5
	;; [unrolled: 1-line block ×61, first 2 shown]
	v_mov_b32_e32 v149, v5
	v_mov_b32_e32 v147, v3
	;; [unrolled: 1-line block ×3, first 2 shown]
	s_mov_b32 s2, exec_lo
	v_dual_mov_b32 v85, v25 :: v_dual_mov_b32 v84, v24
	v_dual_mov_b32 v83, v23 :: v_dual_mov_b32 v82, v22
	s_clause 0x2
	scratch_store_b128 off, v[3:6], off
	scratch_store_b128 off, v[7:10], off offset:16
	scratch_store_b128 off, v[11:14], off offset:32
	v_cmpx_lt_f32_e32 v28, v41
	s_cbranch_execz .LBB7_67
; %bb.66:
	v_dual_mov_b32 v158, v14 :: v_dual_mov_b32 v157, v13
	v_dual_mov_b32 v150, v6 :: v_dual_mov_b32 v149, v5
	;; [unrolled: 1-line block ×7, first 2 shown]
	s_clause 0x2
	scratch_store_b128 off, v[147:150], off
	scratch_store_b128 off, v[151:154], off offset:16
	scratch_store_b128 off, v[155:158], off offset:32
	v_dual_mov_b32 v182, v26 :: v_dual_mov_b32 v181, v25
	v_dual_mov_b32 v172, v16 :: v_dual_mov_b32 v171, v15
	;; [unrolled: 1-line block ×8, first 2 shown]
	s_delay_alu instid0(VALU_DEP_4) | instskip(SKIP_1) | instid1(VALU_DEP_4)
	v_dual_mov_b32 v160, v172 :: v_dual_mov_b32 v161, v173
	v_dual_mov_b32 v162, v174 :: v_dual_mov_b32 v163, v175
	;; [unrolled: 1-line block ×4, first 2 shown]
	v_mov_b32_e32 v170, v182
	v_dual_mov_b32 v166, v178 :: v_dual_mov_b32 v167, v179
	v_mov_b32_e32 v162, v18
	v_dual_mov_b32 v40, v41 :: v_dual_mov_b32 v41, v28
	v_mov_b32_e32 v5, v4
	v_mov_b32_e32 v17, v16
	;; [unrolled: 1-line block ×3, first 2 shown]
	v_dual_mov_b32 v137, v149 :: v_dual_mov_b32 v144, v156
	v_dual_mov_b32 v123, v159 :: v_dual_mov_b32 v136, v148
	;; [unrolled: 1-line block ×12, first 2 shown]
	v_mov_b32_e32 v133, v169
	v_dual_mov_b32 v111, v135 :: v_dual_mov_b32 v112, v136
	v_dual_mov_b32 v99, v123 :: v_dual_mov_b32 v100, v124
	v_dual_mov_b32 v115, v139 :: v_dual_mov_b32 v116, v140
	v_dual_mov_b32 v103, v127 :: v_dual_mov_b32 v104, v128
	v_dual_mov_b32 v113, v137 :: v_dual_mov_b32 v114, v138
	v_dual_mov_b32 v117, v141 :: v_dual_mov_b32 v118, v142
	v_dual_mov_b32 v119, v143 :: v_dual_mov_b32 v120, v144
	v_dual_mov_b32 v121, v145 :: v_dual_mov_b32 v122, v146
	v_dual_mov_b32 v101, v125 :: v_dual_mov_b32 v102, v126
	v_dual_mov_b32 v105, v129 :: v_dual_mov_b32 v106, v130
	v_dual_mov_b32 v107, v131 :: v_dual_mov_b32 v108, v132
	v_dual_mov_b32 v109, v133 :: v_dual_mov_b32 v110, v134
	v_mov_b32_e32 v104, v20
	v_dual_mov_b32 v116, v8 :: v_dual_mov_b32 v75, v99
	v_mov_b32_e32 v87, v111
	v_dual_mov_b32 v93, v117 :: v_dual_mov_b32 v78, v102
	s_delay_alu instid0(VALU_DEP_3)
	v_dual_mov_b32 v81, v105 :: v_dual_mov_b32 v92, v116
	v_dual_mov_b32 v90, v114 :: v_dual_mov_b32 v91, v115
	;; [unrolled: 1-line block ×11, first 2 shown]
	v_mov_b32_e32 v51, v87
	v_dual_mov_b32 v63, v75 :: v_dual_mov_b32 v66, v78
	v_dual_mov_b32 v55, v91 :: v_dual_mov_b32 v58, v94
	;; [unrolled: 1-line block ×14, first 2 shown]
	v_mov_b32_e32 v72, v24
	v_dual_mov_b32 v62, v14 :: v_dual_mov_b32 v71, v23
	v_dual_mov_b32 v70, v22 :: v_dual_mov_b32 v73, v1
	v_mov_b32_e32 v74, v26
.LBB7_67:
	s_or_b32 exec_lo, exec_lo, s2
	v_mov_b32_e32 v3, v42
	v_cmp_lt_f32_e32 vcc_lo, v13, v42
	s_mov_b32 s2, exec_lo
	s_clause 0x2
	scratch_load_b128 v[27:30], off, off
	scratch_load_b128 v[31:34], off, off offset:16
	scratch_load_b128 v[35:38], off, off offset:32
	s_and_b32 s3, s2, vcc_lo
	s_delay_alu instid0(SALU_CYCLE_1)
	s_mov_b32 exec_lo, s3
	s_cbranch_execz .LBB7_69
; %bb.68:
	v_mov_b32_e32 v173, v18
	s_waitcnt vmcnt(2)
	v_mov_b32_e32 v29, v6
	v_dual_mov_b32 v159, v171 :: v_dual_mov_b32 v160, v172
	s_waitcnt vmcnt(0)
	v_dual_mov_b32 v158, v38 :: v_dual_mov_b32 v157, v37
	v_dual_mov_b32 v156, v36 :: v_dual_mov_b32 v147, v27
	;; [unrolled: 1-line block ×6, first 2 shown]
	v_mov_b32_e32 v168, v180
	v_dual_mov_b32 v164, v176 :: v_dual_mov_b32 v165, v177
	v_dual_mov_b32 v170, v182 :: v_dual_mov_b32 v155, v35
	v_dual_mov_b32 v154, v34 :: v_dual_mov_b32 v161, v173
	v_dual_mov_b32 v166, v178 :: v_dual_mov_b32 v167, v179
	v_mov_b32_e32 v150, v5
	v_mov_b32_e32 v169, v181
	v_dual_mov_b32 v162, v17 :: v_dual_mov_b32 v135, v147
	v_dual_mov_b32 v136, v148 :: v_dual_mov_b32 v123, v159
	;; [unrolled: 1-line block ×13, first 2 shown]
	v_mov_b32_e32 v139, v7
	v_dual_mov_b32 v99, v123 :: v_dual_mov_b32 v100, v124
	v_dual_mov_b32 v111, v135 :: v_dual_mov_b32 v114, v138
	;; [unrolled: 1-line block ×4, first 2 shown]
	v_mov_b32_e32 v120, v144
	v_dual_mov_b32 v104, v128 :: v_dual_mov_b32 v105, v129
	v_dual_mov_b32 v110, v134 :: v_dual_mov_b32 v115, v139
	;; [unrolled: 1-line block ×21, first 2 shown]
	v_mov_b32_e32 v93, v9
	v_dual_mov_b32 v63, v75 :: v_dual_mov_b32 v64, v76
	v_dual_mov_b32 v51, v87 :: v_dual_mov_b32 v54, v90
	;; [unrolled: 1-line block ×3, first 2 shown]
	s_delay_alu instid0(VALU_DEP_4)
	v_dual_mov_b32 v58, v94 :: v_dual_mov_b32 v57, v93
	v_dual_mov_b32 v60, v96 :: v_dual_mov_b32 v59, v95
	;; [unrolled: 1-line block ×9, first 2 shown]
	v_mov_b32_e32 v42, v13
	v_dual_mov_b32 v53, v89 :: v_dual_mov_b32 v56, v92
	v_dual_mov_b32 v68, v80 :: v_dual_mov_b32 v59, v11
	v_mov_b32_e32 v62, v14
	v_dual_mov_b32 v61, v2 :: v_dual_mov_b32 v72, v24
	v_dual_mov_b32 v70, v22 :: v_dual_mov_b32 v71, v23
	;; [unrolled: 1-line block ×3, first 2 shown]
	v_mov_b32_e32 v3, v13
	v_mov_b32_e32 v18, v17
	;; [unrolled: 1-line block ×3, first 2 shown]
.LBB7_69:
	s_or_b32 exec_lo, exec_lo, s2
	v_mov_b32_e32 v4, v43
	s_mov_b32 s2, exec_lo
	v_cmpx_lt_f32_e32 v3, v43
	s_cbranch_execz .LBB7_71
; %bb.70:
	v_mov_b32_e32 v174, v19
	s_waitcnt vmcnt(2)
	v_mov_b32_e32 v30, v7
	v_mov_b32_e32 v123, v171
	s_waitcnt vmcnt(0)
	v_dual_mov_b32 v125, v173 :: v_dual_mov_b32 v146, v38
	s_delay_alu instid0(VALU_DEP_3)
	v_dual_mov_b32 v143, v35 :: v_dual_mov_b32 v138, v30
	v_mov_b32_e32 v135, v27
	v_dual_mov_b32 v145, v37 :: v_dual_mov_b32 v142, v34
	v_dual_mov_b32 v139, v31 :: v_dual_mov_b32 v136, v28
	;; [unrolled: 1-line block ×6, first 2 shown]
	v_mov_b32_e32 v139, v6
	v_dual_mov_b32 v127, v18 :: v_dual_mov_b32 v124, v172
	v_dual_mov_b32 v126, v174 :: v_dual_mov_b32 v129, v177
	v_dual_mov_b32 v130, v178 :: v_dual_mov_b32 v133, v181
	v_dual_mov_b32 v134, v182 :: v_dual_mov_b32 v111, v135
	v_dual_mov_b32 v112, v136 :: v_dual_mov_b32 v99, v123
	v_dual_mov_b32 v100, v124 :: v_dual_mov_b32 v115, v139
	v_dual_mov_b32 v116, v140 :: v_dual_mov_b32 v103, v127
	v_dual_mov_b32 v104, v128 :: v_dual_mov_b32 v113, v137
	v_dual_mov_b32 v114, v138 :: v_dual_mov_b32 v117, v141
	v_dual_mov_b32 v118, v142 :: v_dual_mov_b32 v119, v143
	v_dual_mov_b32 v120, v144 :: v_dual_mov_b32 v121, v145
	v_dual_mov_b32 v122, v146 :: v_dual_mov_b32 v101, v125
	v_dual_mov_b32 v102, v126 :: v_dual_mov_b32 v105, v129
	v_dual_mov_b32 v106, v130 :: v_dual_mov_b32 v107, v131
	v_dual_mov_b32 v108, v132 :: v_dual_mov_b32 v109, v133
	v_mov_b32_e32 v110, v134
	v_mov_b32_e32 v104, v20
	v_dual_mov_b32 v116, v8 :: v_dual_mov_b32 v75, v99
	v_mov_b32_e32 v87, v111
	v_dual_mov_b32 v93, v117 :: v_dual_mov_b32 v78, v102
	s_delay_alu instid0(VALU_DEP_3)
	v_dual_mov_b32 v81, v105 :: v_dual_mov_b32 v92, v116
	v_dual_mov_b32 v80, v104 :: v_dual_mov_b32 v83, v107
	;; [unrolled: 1-line block ×11, first 2 shown]
	v_mov_b32_e32 v63, v75
	s_delay_alu instid0(VALU_DEP_3)
	v_dual_mov_b32 v51, v87 :: v_dual_mov_b32 v54, v90
	v_dual_mov_b32 v71, v83 :: v_dual_mov_b32 v72, v84
	;; [unrolled: 1-line block ×14, first 2 shown]
	v_mov_b32_e32 v68, v80
	v_dual_mov_b32 v58, v10 :: v_dual_mov_b32 v59, v11
	v_dual_mov_b32 v60, v12 :: v_dual_mov_b32 v61, v2
	;; [unrolled: 1-line block ×14, first 2 shown]
	v_mov_b32_e32 v150, v30
	v_dual_mov_b32 v148, v28 :: v_dual_mov_b32 v19, v18
	v_dual_mov_b32 v4, v3 :: v_dual_mov_b32 v7, v6
.LBB7_71:
	s_or_b32 exec_lo, exec_lo, s2
	v_mov_b32_e32 v3, v44
	s_mov_b32 s2, exec_lo
	s_delay_alu instid0(VALU_DEP_2)
	v_cmpx_lt_f32_e32 v4, v44
	s_cbranch_execz .LBB7_73
; %bb.72:
	v_mov_b32_e32 v163, v20
	v_mov_b32_e32 v151, v8
	v_dual_mov_b32 v99, v159 :: v_dual_mov_b32 v102, v162
	v_dual_mov_b32 v111, v147 :: v_dual_mov_b32 v112, v148
	;; [unrolled: 1-line block ×10, first 2 shown]
	v_mov_b32_e32 v108, v168
	v_dual_mov_b32 v104, v164 :: v_dual_mov_b32 v109, v169
	v_mov_b32_e32 v116, v7
	v_mov_b32_e32 v107, v167
	;; [unrolled: 1-line block ×3, first 2 shown]
	v_dual_mov_b32 v87, v111 :: v_dual_mov_b32 v90, v114
	v_dual_mov_b32 v88, v112 :: v_dual_mov_b32 v89, v113
	;; [unrolled: 1-line block ×12, first 2 shown]
	v_mov_b32_e32 v93, v9
	v_mov_b32_e32 v43, v44
	v_dual_mov_b32 v44, v4 :: v_dual_mov_b32 v81, v21
	v_dual_mov_b32 v51, v87 :: v_dual_mov_b32 v56, v92
	v_dual_mov_b32 v52, v88 :: v_dual_mov_b32 v63, v75
	v_dual_mov_b32 v68, v80 :: v_dual_mov_b32 v53, v89
	v_dual_mov_b32 v58, v94 :: v_dual_mov_b32 v55, v91
	v_dual_mov_b32 v60, v96 :: v_dual_mov_b32 v57, v93
	v_dual_mov_b32 v62, v98 :: v_dual_mov_b32 v59, v95
	v_dual_mov_b32 v64, v76 :: v_dual_mov_b32 v61, v97
	v_dual_mov_b32 v66, v78 :: v_dual_mov_b32 v65, v77
	v_dual_mov_b32 v70, v82 :: v_dual_mov_b32 v67, v79
	v_dual_mov_b32 v72, v84 :: v_dual_mov_b32 v69, v81
	v_dual_mov_b32 v74, v86 :: v_dual_mov_b32 v71, v83
	v_dual_mov_b32 v58, v10 :: v_dual_mov_b32 v73, v85
	v_dual_mov_b32 v60, v12 :: v_dual_mov_b32 v123, v159
	v_dual_mov_b32 v124, v160 :: v_dual_mov_b32 v135, v147
	v_mov_b32_e32 v136, v148
	v_dual_mov_b32 v54, v90 :: v_dual_mov_b32 v59, v11
	v_mov_b32_e32 v62, v14
	v_dual_mov_b32 v61, v2 :: v_dual_mov_b32 v72, v24
	v_dual_mov_b32 v70, v22 :: v_dual_mov_b32 v71, v23
	;; [unrolled: 1-line block ×14, first 2 shown]
	v_mov_b32_e32 v8, v7
.LBB7_73:
	s_or_b32 exec_lo, exec_lo, s2
	v_mov_b32_e32 v4, v45
	s_mov_b32 s2, exec_lo
	v_cmpx_lt_f32_e32 v3, v45
	s_cbranch_execz .LBB7_75
; %bb.74:
	v_mov_b32_e32 v140, v9
	v_dual_mov_b32 v128, v21 :: v_dual_mov_b32 v87, v135
	v_mov_b32_e32 v93, v141
	v_dual_mov_b32 v93, v8 :: v_dual_mov_b32 v94, v142
	v_dual_mov_b32 v96, v144 :: v_dual_mov_b32 v97, v145
	v_mov_b32_e32 v98, v146
	v_dual_mov_b32 v44, v45 :: v_dual_mov_b32 v75, v123
	v_dual_mov_b32 v84, v132 :: v_dual_mov_b32 v85, v133
	;; [unrolled: 1-line block ×8, first 2 shown]
	v_mov_b32_e32 v81, v20
	v_dual_mov_b32 v51, v87 :: v_dual_mov_b32 v52, v88
	v_dual_mov_b32 v76, v124 :: v_dual_mov_b32 v77, v125
	;; [unrolled: 1-line block ×30, first 2 shown]
	v_mov_b32_e32 v120, v144
	v_dual_mov_b32 v122, v146 :: v_dual_mov_b32 v21, v20
	v_dual_mov_b32 v4, v3 :: v_dual_mov_b32 v9, v8
.LBB7_75:
	s_or_b32 exec_lo, exec_lo, s2
	v_mov_b32_e32 v3, v46
	s_mov_b32 s2, exec_lo
	s_delay_alu instid0(VALU_DEP_2)
	v_cmpx_lt_f32_e32 v4, v46
	s_cbranch_execz .LBB7_77
; %bb.76:
	v_mov_b32_e32 v117, v10
	v_dual_mov_b32 v45, v46 :: v_dual_mov_b32 v46, v4
	v_mov_b32_e32 v105, v22
	v_dual_mov_b32 v51, v111 :: v_dual_mov_b32 v54, v114
	v_dual_mov_b32 v56, v116 :: v_dual_mov_b32 v63, v99
	;; [unrolled: 1-line block ×6, first 2 shown]
	v_mov_b32_e32 v58, v9
	v_dual_mov_b32 v61, v121 :: v_dual_mov_b32 v60, v12
	v_dual_mov_b32 v67, v103 :: v_dual_mov_b32 v70, v106
	;; [unrolled: 1-line block ×8, first 2 shown]
	v_mov_b32_e32 v62, v14
	v_dual_mov_b32 v61, v2 :: v_dual_mov_b32 v64, v100
	v_dual_mov_b32 v65, v101 :: v_dual_mov_b32 v68, v104
	v_dual_mov_b32 v70, v21 :: v_dual_mov_b32 v71, v23
	v_dual_mov_b32 v73, v1 :: v_dual_mov_b32 v74, v26
	v_dual_mov_b32 v77, v101 :: v_dual_mov_b32 v78, v102
	v_dual_mov_b32 v79, v103 :: v_dual_mov_b32 v80, v104
	v_dual_mov_b32 v81, v105 :: v_dual_mov_b32 v82, v106
	v_dual_mov_b32 v89, v113 :: v_dual_mov_b32 v90, v114
	v_dual_mov_b32 v91, v115 :: v_dual_mov_b32 v92, v116
	v_dual_mov_b32 v93, v117 :: v_dual_mov_b32 v94, v118
	v_dual_mov_b32 v3, v4 :: v_dual_mov_b32 v22, v21
	v_dual_mov_b32 v10, v9 :: v_dual_mov_b32 v83, v107
	v_dual_mov_b32 v84, v108 :: v_dual_mov_b32 v85, v109
	v_dual_mov_b32 v86, v110 :: v_dual_mov_b32 v95, v119
	v_dual_mov_b32 v96, v120 :: v_dual_mov_b32 v97, v121
	v_mov_b32_e32 v98, v122
.LBB7_77:
	s_or_b32 exec_lo, exec_lo, s2
	v_mov_b32_e32 v4, v47
	s_mov_b32 s2, exec_lo
	v_cmpx_lt_f32_e32 v3, v47
	s_cbranch_execz .LBB7_79
; %bb.78:
	v_dual_mov_b32 v84, v24 :: v_dual_mov_b32 v85, v1
	v_dual_mov_b32 v94, v11 :: v_dual_mov_b32 v95, v10
	;; [unrolled: 1-line block ×4, first 2 shown]
	v_mov_b32_e32 v86, v26
	v_mov_b32_e32 v46, v47
	v_dual_mov_b32 v47, v3 :: v_dual_mov_b32 v98, v14
	v_dual_mov_b32 v63, v75 :: v_dual_mov_b32 v72, v84
	;; [unrolled: 1-line block ×3, first 2 shown]
	v_mov_b32_e32 v67, v79
	v_dual_mov_b32 v65, v77 :: v_dual_mov_b32 v66, v78
	v_dual_mov_b32 v69, v81 :: v_dual_mov_b32 v68, v80
	;; [unrolled: 1-line block ×9, first 2 shown]
	v_mov_b32_e32 v62, v98
	v_mov_b32_e32 v4, v3
.LBB7_79:
	s_or_b32 exec_lo, exec_lo, s2
	s_delay_alu instid0(VALU_DEP_1)
	v_cmp_lt_f32_e32 vcc_lo, v4, v48
	v_dual_mov_b32 v3, v41 :: v_dual_mov_b32 v8, v46
	v_dual_mov_b32 v5, v43 :: v_dual_mov_b32 v12, v50
	s_waitcnt vmcnt(0)
	v_cndmask_b32_e32 v37, v72, v71, vcc_lo
	v_dual_cndmask_b32 v71, v71, v72 :: v_dual_cndmask_b32 v38, v60, v59
	v_dual_cndmask_b32 v59, v59, v60 :: v_dual_mov_b32 v2, v40
	v_dual_cndmask_b32 v10, v48, v4 :: v_dual_mov_b32 v1, v39
	;; [unrolled: 1-line block ×3, first 2 shown]
	v_dual_mov_b32 v4, v42 :: v_dual_mov_b32 v7, v45
	v_mov_b32_e32 v11, v49
	s_mov_b32 s2, exec_lo
	v_cmpx_lt_f32_e32 v39, v40
	s_cbranch_execz .LBB7_81
; %bb.80:
	v_dual_mov_b32 v13, v2 :: v_dual_mov_b32 v14, v1
	v_dual_mov_b32 v15, v3 :: v_dual_mov_b32 v16, v4
	;; [unrolled: 1-line block ×6, first 2 shown]
	v_mov_b32_e32 v25, v63
	v_dual_mov_b32 v26, v51 :: v_dual_mov_b32 v1, v13
	v_swap_b32 v63, v64
	v_swap_b32 v51, v52
	v_dual_mov_b32 v2, v14 :: v_dual_mov_b32 v3, v15
	v_dual_mov_b32 v4, v16 :: v_dual_mov_b32 v5, v17
	;; [unrolled: 1-line block ×5, first 2 shown]
	v_mov_b32_e32 v12, v24
	v_mov_b32_e32 v40, v39
.LBB7_81:
	s_or_b32 exec_lo, exec_lo, s2
	v_mov_b32_e32 v60, v38
	v_dual_mov_b32 v72, v37 :: v_dual_mov_b32 v13, v51
	v_dual_mov_b32 v25, v63 :: v_dual_mov_b32 v98, v74
	;; [unrolled: 1-line block ×60, first 2 shown]
	s_mov_b32 s2, exec_lo
	v_dual_mov_b32 v96, v72 :: v_dual_mov_b32 v93, v69
	v_cmpx_lt_f32_e32 v40, v3
	s_cbranch_execz .LBB7_83
; %bb.82:
	v_dual_mov_b32 v134, v62 :: v_dual_mov_b32 v133, v61
	v_dual_mov_b32 v124, v52 :: v_dual_mov_b32 v123, v51
	v_mov_b32_e32 v124, v53
	v_dual_mov_b32 v128, v56 :: v_dual_mov_b32 v127, v55
	v_dual_mov_b32 v132, v60 :: v_dual_mov_b32 v131, v59
	;; [unrolled: 1-line block ×11, first 2 shown]
	v_mov_b32_e32 v141, v69
	v_dual_mov_b32 v136, v65 :: v_dual_mov_b32 v137, v64
	v_dual_mov_b32 v160, v124 :: v_dual_mov_b32 v159, v123
	;; [unrolled: 1-line block ×40, first 2 shown]
	v_mov_b32_e32 v22, v84
	v_dual_mov_b32 v22, v38 :: v_dual_mov_b32 v25, v87
	v_dual_mov_b32 v16, v78 :: v_dual_mov_b32 v19, v81
	;; [unrolled: 1-line block ×16, first 2 shown]
	v_mov_b32_e32 v35, v73
	v_dual_mov_b32 v34, v37 :: v_dual_mov_b32 v39, v40
	v_dual_mov_b32 v36, v74 :: v_dual_mov_b32 v65, v64
	v_mov_b32_e32 v53, v52
.LBB7_83:
	s_or_b32 exec_lo, exec_lo, s2
	v_mov_b32_e32 v40, v4
	s_mov_b32 s2, exec_lo
	v_cmpx_lt_f32_e32 v39, v4
	s_cbranch_execz .LBB7_85
; %bb.84:
	v_mov_b32_e32 v137, v66
	v_mov_b32_e32 v125, v54
	;; [unrolled: 1-line block ×4, first 2 shown]
	v_dual_mov_b32 v170, v134 :: v_dual_mov_b32 v169, v133
	v_dual_mov_b32 v168, v132 :: v_dual_mov_b32 v159, v123
	;; [unrolled: 1-line block ×9, first 2 shown]
	v_mov_b32_e32 v157, v145
	v_dual_mov_b32 v155, v143 :: v_dual_mov_b32 v152, v140
	v_mov_b32_e32 v162, v53
	v_mov_b32_e32 v149, v137
	v_dual_mov_b32 v150, v65 :: v_dual_mov_b32 v111, v159
	v_dual_mov_b32 v112, v160 :: v_dual_mov_b32 v99, v147
	;; [unrolled: 1-line block ×13, first 2 shown]
	v_mov_b32_e32 v115, v55
	v_dual_mov_b32 v87, v99 :: v_dual_mov_b32 v88, v100
	v_dual_mov_b32 v75, v111 :: v_dual_mov_b32 v78, v114
	;; [unrolled: 1-line block ×3, first 2 shown]
	s_delay_alu instid0(VALU_DEP_4)
	v_dual_mov_b32 v80, v116 :: v_dual_mov_b32 v79, v115
	v_dual_mov_b32 v82, v118 :: v_dual_mov_b32 v81, v117
	;; [unrolled: 1-line block ×6, first 2 shown]
	v_mov_b32_e32 v96, v108
	v_dual_mov_b32 v92, v104 :: v_dual_mov_b32 v93, v105
	v_dual_mov_b32 v98, v110 :: v_dual_mov_b32 v95, v107
	;; [unrolled: 1-line block ×21, first 2 shown]
	v_mov_b32_e32 v34, v37
	v_dual_mov_b32 v35, v73 :: v_dual_mov_b32 v36, v74
	v_mov_b32_e32 v40, v39
	v_mov_b32_e32 v66, v65
	;; [unrolled: 1-line block ×3, first 2 shown]
.LBB7_85:
	s_or_b32 exec_lo, exec_lo, s2
	v_mov_b32_e32 v39, v5
	s_mov_b32 s2, exec_lo
	v_cmpx_lt_f32_e32 v40, v5
	s_cbranch_execz .LBB7_87
; %bb.86:
	v_mov_b32_e32 v126, v55
	v_mov_b32_e32 v111, v123
	;; [unrolled: 1-line block ×3, first 2 shown]
	v_dual_mov_b32 v115, v54 :: v_dual_mov_b32 v116, v128
	v_dual_mov_b32 v138, v67 :: v_dual_mov_b32 v113, v125
	v_mov_b32_e32 v112, v124
	v_dual_mov_b32 v118, v130 :: v_dual_mov_b32 v119, v131
	v_dual_mov_b32 v120, v132 :: v_dual_mov_b32 v121, v133
	;; [unrolled: 1-line block ×24, first 2 shown]
	v_mov_b32_e32 v22, v84
	v_dual_mov_b32 v22, v38 :: v_dual_mov_b32 v25, v87
	v_dual_mov_b32 v16, v78 :: v_dual_mov_b32 v19, v81
	;; [unrolled: 1-line block ×18, first 2 shown]
	v_mov_b32_e32 v35, v73
	v_dual_mov_b32 v34, v37 :: v_dual_mov_b32 v155, v143
	v_dual_mov_b32 v36, v74 :: v_dual_mov_b32 v157, v145
	;; [unrolled: 1-line block ×12, first 2 shown]
	v_mov_b32_e32 v55, v54
.LBB7_87:
	s_or_b32 exec_lo, exec_lo, s2
	v_mov_b32_e32 v40, v6
	s_mov_b32 s2, exec_lo
	v_cmpx_lt_f32_e32 v39, v6
	s_cbranch_execz .LBB7_89
; %bb.88:
	v_mov_b32_e32 v163, v56
	v_dual_mov_b32 v75, v159 :: v_dual_mov_b32 v80, v164
	v_dual_mov_b32 v80, v55 :: v_dual_mov_b32 v81, v165
	;; [unrolled: 1-line block ×7, first 2 shown]
	v_mov_b32_e32 v85, v169
	v_dual_mov_b32 v89, v149 :: v_dual_mov_b32 v92, v152
	v_dual_mov_b32 v91, v151 :: v_dual_mov_b32 v94, v154
	v_dual_mov_b32 v93, v153 :: v_dual_mov_b32 v96, v156
	v_dual_mov_b32 v95, v155 :: v_dual_mov_b32 v98, v158
	v_dual_mov_b32 v97, v157 :: v_dual_mov_b32 v92, v67
	v_dual_mov_b32 v76, v160 :: v_dual_mov_b32 v5, v6
	v_mov_b32_e32 v88, v148
	v_mov_b32_e32 v6, v39
	s_delay_alu instid0(VALU_DEP_3) | instskip(NEXT) | instid1(VALU_DEP_3)
	v_dual_mov_b32 v13, v75 :: v_dual_mov_b32 v14, v76
	v_dual_mov_b32 v25, v87 :: v_dual_mov_b32 v26, v88
	;; [unrolled: 1-line block ×30, first 2 shown]
	v_mov_b32_e32 v40, v39
	v_mov_b32_e32 v68, v67
	v_mov_b32_e32 v56, v55
.LBB7_89:
	s_or_b32 exec_lo, exec_lo, s2
	v_mov_b32_e32 v39, v7
	s_mov_b32 s2, exec_lo
	v_cmpx_lt_f32_e32 v40, v7
	s_cbranch_execz .LBB7_91
; %bb.90:
	v_mov_b32_e32 v116, v57
	v_dual_mov_b32 v6, v7 :: v_dual_mov_b32 v7, v40
	v_dual_mov_b32 v104, v69 :: v_dual_mov_b32 v13, v111
	v_mov_b32_e32 v22, v120
	v_dual_mov_b32 v22, v38 :: v_dual_mov_b32 v25, v99
	v_mov_b32_e32 v34, v108
	v_dual_mov_b32 v34, v37 :: v_dual_mov_b32 v87, v99
	v_dual_mov_b32 v16, v114 :: v_dual_mov_b32 v19, v117
	v_dual_mov_b32 v18, v116 :: v_dual_mov_b32 v21, v119
	v_dual_mov_b32 v20, v118 :: v_dual_mov_b32 v23, v121
	v_dual_mov_b32 v24, v122 :: v_dual_mov_b32 v19, v56
	v_dual_mov_b32 v28, v102 :: v_dual_mov_b32 v31, v105
	v_dual_mov_b32 v30, v104 :: v_dual_mov_b32 v33, v107
	v_dual_mov_b32 v32, v106 :: v_dual_mov_b32 v35, v109
	v_dual_mov_b32 v36, v110 :: v_dual_mov_b32 v31, v68
	v_dual_mov_b32 v96, v108 :: v_dual_mov_b32 v75, v111
	v_dual_mov_b32 v14, v112 :: v_dual_mov_b32 v17, v115
	v_dual_mov_b32 v15, v113 :: v_dual_mov_b32 v20, v58
	v_mov_b32_e32 v23, v61
	v_dual_mov_b32 v21, v59 :: v_dual_mov_b32 v24, v62
	v_dual_mov_b32 v27, v101 :: v_dual_mov_b32 v26, v100
	;; [unrolled: 1-line block ×3, first 2 shown]
	v_mov_b32_e32 v35, v73
	v_dual_mov_b32 v33, v71 :: v_dual_mov_b32 v36, v74
	v_dual_mov_b32 v89, v101 :: v_dual_mov_b32 v88, v100
	;; [unrolled: 1-line block ×9, first 2 shown]
	v_mov_b32_e32 v39, v40
	v_mov_b32_e32 v69, v68
	v_dual_mov_b32 v57, v56 :: v_dual_mov_b32 v94, v106
	v_dual_mov_b32 v97, v109 :: v_dual_mov_b32 v82, v118
	;; [unrolled: 1-line block ×3, first 2 shown]
.LBB7_91:
	s_or_b32 exec_lo, exec_lo, s2
	v_mov_b32_e32 v40, v8
	s_mov_b32 s2, exec_lo
	v_cmpx_lt_f32_e32 v39, v8
	s_cbranch_execz .LBB7_93
; %bb.92:
	v_dual_mov_b32 v81, v58 :: v_dual_mov_b32 v82, v57
	v_dual_mov_b32 v83, v59 :: v_dual_mov_b32 v84, v38
	;; [unrolled: 1-line block ×19, first 2 shown]
	v_mov_b32_e32 v40, v39
.LBB7_93:
	s_or_b32 exec_lo, exec_lo, s2
	s_delay_alu instid0(VALU_DEP_1)
	v_cmp_lt_f32_e32 vcc_lo, v40, v9
	v_dual_mov_b32 v38, v2 :: v_dual_mov_b32 v41, v5
	v_dual_mov_b32 v42, v6 :: v_dual_mov_b32 v47, v11
	v_dual_cndmask_b32 v145, v33, v32 :: v_dual_cndmask_b32 v32, v32, v33
	v_dual_cndmask_b32 v146, v21, v20 :: v_dual_mov_b32 v39, v3
	v_dual_cndmask_b32 v20, v20, v21 :: v_dual_cndmask_b32 v45, v9, v40
	v_dual_cndmask_b32 v44, v8, v9 :: v_dual_mov_b32 v37, v1
	v_dual_mov_b32 v40, v4 :: v_dual_mov_b32 v43, v7
	v_mov_b32_e32 v46, v10
	v_mov_b32_e32 v48, v12
	s_mov_b32 s2, exec_lo
	v_cmpx_lt_f32_e32 v1, v2
	s_cbranch_execz .LBB7_95
; %bb.94:
	v_dual_mov_b32 v49, v38 :: v_dual_mov_b32 v50, v37
	v_dual_mov_b32 v51, v39 :: v_dual_mov_b32 v52, v40
	;; [unrolled: 1-line block ×6, first 2 shown]
	v_mov_b32_e32 v3, v25
	v_mov_b32_e32 v4, v13
	v_dual_mov_b32 v37, v49 :: v_dual_mov_b32 v40, v52
	v_swap_b32 v25, v26
	v_swap_b32 v13, v14
	v_dual_mov_b32 v38, v50 :: v_dual_mov_b32 v39, v51
	v_dual_mov_b32 v41, v53 :: v_dual_mov_b32 v42, v54
	;; [unrolled: 1-line block ×5, first 2 shown]
	v_mov_b32_e32 v2, v1
.LBB7_95:
	s_or_b32 exec_lo, exec_lo, s2
	v_mov_b32_e32 v21, v146
	v_dual_mov_b32 v33, v145 :: v_dual_mov_b32 v60, v24
	v_dual_mov_b32 v72, v36 :: v_dual_mov_b32 v61, v25
	;; [unrolled: 1-line block ×43, first 2 shown]
	v_mov_b32_e32 v97, v13
	v_mov_b32_e32 v1, v39
	s_mov_b32 s2, exec_lo
	v_dual_mov_b32 v95, v35 :: v_dual_mov_b32 v94, v34
	v_dual_mov_b32 v93, v33 :: v_dual_mov_b32 v92, v32
	v_dual_mov_b32 v91, v31 :: v_dual_mov_b32 v90, v30
	v_dual_mov_b32 v83, v23 :: v_dual_mov_b32 v80, v20
	v_dual_mov_b32 v81, v21 :: v_dual_mov_b32 v78, v18
	v_cmpx_lt_f32_e32 v2, v39
	s_cbranch_execz .LBB7_97
; %bb.96:
	v_dual_mov_b32 v108, v24 :: v_dual_mov_b32 v107, v23
	v_dual_mov_b32 v98, v14 :: v_dual_mov_b32 v97, v13
	v_mov_b32_e32 v98, v15
	v_dual_mov_b32 v104, v20 :: v_dual_mov_b32 v103, v19
	v_dual_mov_b32 v100, v16 :: v_dual_mov_b32 v99, v15
	;; [unrolled: 1-line block ×26, first 2 shown]
	v_mov_b32_e32 v84, v144
	v_dual_mov_b32 v74, v134 :: v_dual_mov_b32 v77, v137
	v_mov_b32_e32 v75, v135
	v_dual_mov_b32 v38, v39 :: v_dual_mov_b32 v85, v121
	v_dual_mov_b32 v76, v136 :: v_dual_mov_b32 v79, v139
	;; [unrolled: 1-line block ×10, first 2 shown]
	v_mov_b32_e32 v39, v2
	v_dual_mov_b32 v49, v73 :: v_dual_mov_b32 v50, v74
	v_dual_mov_b32 v59, v83 :: v_dual_mov_b32 v60, v84
	;; [unrolled: 1-line block ×18, first 2 shown]
	v_mov_b32_e32 v70, v34
	v_dual_mov_b32 v72, v36 :: v_dual_mov_b32 v1, v2
	v_mov_b32_e32 v27, v26
	v_mov_b32_e32 v15, v14
.LBB7_97:
	s_or_b32 exec_lo, exec_lo, s2
	v_mov_b32_e32 v2, v40
	s_mov_b32 s2, exec_lo
	v_cmpx_lt_f32_e32 v1, v40
	s_cbranch_execz .LBB7_99
; %bb.98:
	v_mov_b32_e32 v99, v16
	v_mov_b32_e32 v144, v108
	;; [unrolled: 1-line block ×3, first 2 shown]
	v_dual_mov_b32 v136, v15 :: v_dual_mov_b32 v111, v28
	v_dual_mov_b32 v142, v106 :: v_dual_mov_b32 v133, v97
	;; [unrolled: 1-line block ×4, first 2 shown]
	v_mov_b32_e32 v135, v99
	v_dual_mov_b32 v125, v113 :: v_dual_mov_b32 v124, v112
	v_mov_b32_e32 v143, v107
	v_dual_mov_b32 v141, v105 :: v_dual_mov_b32 v140, v104
	v_dual_mov_b32 v139, v103 :: v_dual_mov_b32 v138, v102
	;; [unrolled: 1-line block ×18, first 2 shown]
	v_mov_b32_e32 v95, v131
	v_dual_mov_b32 v89, v29 :: v_dual_mov_b32 v88, v124
	v_dual_mov_b32 v49, v73 :: v_dual_mov_b32 v54, v78
	v_mov_b32_e32 v50, v74
	v_dual_mov_b32 v52, v76 :: v_dual_mov_b32 v61, v85
	s_delay_alu instid0(VALU_DEP_4)
	v_dual_mov_b32 v64, v88 :: v_dual_mov_b32 v51, v75
	v_dual_mov_b32 v56, v80 :: v_dual_mov_b32 v53, v77
	;; [unrolled: 1-line block ×12, first 2 shown]
	v_mov_b32_e32 v58, v22
	v_dual_mov_b32 v57, v146 :: v_dual_mov_b32 v60, v24
	v_dual_mov_b32 v59, v23 :: v_dual_mov_b32 v62, v86
	;; [unrolled: 1-line block ×5, first 2 shown]
	v_mov_b32_e32 v2, v1
	v_mov_b32_e32 v28, v27
	;; [unrolled: 1-line block ×3, first 2 shown]
.LBB7_99:
	s_or_b32 exec_lo, exec_lo, s2
	v_mov_b32_e32 v1, v41
	s_mov_b32 s2, exec_lo
	v_cmpx_lt_f32_e32 v2, v41
	s_cbranch_execz .LBB7_101
; %bb.100:
	v_mov_b32_e32 v100, v17
	v_mov_b32_e32 v73, v97
	v_mov_b32_e32 v77, v101
	v_dual_mov_b32 v77, v16 :: v_dual_mov_b32 v78, v102
	v_dual_mov_b32 v112, v29 :: v_dual_mov_b32 v75, v99
	;; [unrolled: 1-line block ×3, first 2 shown]
	v_mov_b32_e32 v84, v108
	v_dual_mov_b32 v74, v98 :: v_dual_mov_b32 v85, v109
	v_mov_b32_e32 v86, v110
	v_dual_mov_b32 v76, v100 :: v_dual_mov_b32 v79, v103
	v_dual_mov_b32 v80, v104 :: v_dual_mov_b32 v81, v105
	;; [unrolled: 1-line block ×8, first 2 shown]
	v_mov_b32_e32 v49, v73
	v_dual_mov_b32 v89, v28 :: v_dual_mov_b32 v50, v74
	v_dual_mov_b32 v59, v83 :: v_dual_mov_b32 v60, v84
	;; [unrolled: 1-line block ×32, first 2 shown]
	v_mov_b32_e32 v17, v16
.LBB7_101:
	s_or_b32 exec_lo, exec_lo, s2
	v_mov_b32_e32 v2, v42
	s_mov_b32 s2, exec_lo
	v_cmpx_lt_f32_e32 v1, v42
	s_cbranch_execz .LBB7_103
; %bb.102:
	v_mov_b32_e32 v137, v18
	v_mov_b32_e32 v125, v30
	v_dual_mov_b32 v41, v42 :: v_dual_mov_b32 v42, v1
	v_dual_mov_b32 v49, v133 :: v_dual_mov_b32 v50, v134
	;; [unrolled: 1-line block ×13, first 2 shown]
	v_mov_b32_e32 v66, v29
	v_dual_mov_b32 v85, v121 :: v_dual_mov_b32 v86, v122
	v_dual_mov_b32 v73, v133 :: v_dual_mov_b32 v74, v134
	v_dual_mov_b32 v52, v136 :: v_dual_mov_b32 v55, v19
	v_dual_mov_b32 v56, v20 :: v_dual_mov_b32 v57, v146
	v_mov_b32_e32 v64, v124
	v_dual_mov_b32 v58, v22 :: v_dual_mov_b32 v59, v23
	v_dual_mov_b32 v67, v31 :: v_dual_mov_b32 v68, v32
	;; [unrolled: 1-line block ×8, first 2 shown]
	v_mov_b32_e32 v2, v1
	v_mov_b32_e32 v30, v29
	v_dual_mov_b32 v18, v17 :: v_dual_mov_b32 v91, v127
	v_dual_mov_b32 v92, v128 :: v_dual_mov_b32 v93, v129
	;; [unrolled: 1-line block ×6, first 2 shown]
	v_mov_b32_e32 v84, v144
.LBB7_103:
	s_or_b32 exec_lo, exec_lo, s2
	v_mov_b32_e32 v1, v43
	s_mov_b32 s2, exec_lo
	v_cmpx_lt_f32_e32 v2, v43
	s_cbranch_execz .LBB7_105
; %bb.104:
	v_dual_mov_b32 v94, v34 :: v_dual_mov_b32 v95, v35
	v_dual_mov_b32 v78, v19 :: v_dual_mov_b32 v79, v18
	;; [unrolled: 1-line block ×6, first 2 shown]
	v_mov_b32_e32 v96, v36
	v_dual_mov_b32 v42, v43 :: v_dual_mov_b32 v43, v2
	v_dual_mov_b32 v84, v24 :: v_dual_mov_b32 v61, v85
	;; [unrolled: 1-line block ×14, first 2 shown]
.LBB7_105:
	s_or_b32 exec_lo, exec_lo, s2
	s_delay_alu instid0(VALU_DEP_1)
	v_cmp_lt_f32_e32 vcc_lo, v1, v44
	v_dual_mov_b32 v3, v39 :: v_dual_mov_b32 v10, v46
	v_dual_mov_b32 v5, v41 :: v_dual_mov_b32 v12, v48
	v_dual_cndmask_b32 v121, v68, v67 :: v_dual_mov_b32 v2, v38
	v_dual_cndmask_b32 v67, v67, v68 :: v_dual_cndmask_b32 v122, v56, v55
	v_dual_cndmask_b32 v55, v55, v56 :: v_dual_cndmask_b32 v8, v44, v1
	v_dual_cndmask_b32 v7, v43, v44 :: v_dual_mov_b32 v4, v40
	v_dual_mov_b32 v1, v37 :: v_dual_mov_b32 v6, v42
	v_mov_b32_e32 v9, v45
	v_mov_b32_e32 v11, v47
	s_mov_b32 s2, exec_lo
	v_cmpx_lt_f32_e32 v37, v38
	s_cbranch_execz .LBB7_107
; %bb.106:
	v_dual_mov_b32 v13, v2 :: v_dual_mov_b32 v14, v1
	v_dual_mov_b32 v15, v3 :: v_dual_mov_b32 v16, v4
	;; [unrolled: 1-line block ×6, first 2 shown]
	v_mov_b32_e32 v25, v61
	v_mov_b32_e32 v26, v49
	v_dual_mov_b32 v1, v13 :: v_dual_mov_b32 v4, v16
	v_swap_b32 v61, v62
	v_swap_b32 v49, v50
	v_dual_mov_b32 v2, v14 :: v_dual_mov_b32 v3, v15
	v_dual_mov_b32 v5, v17 :: v_dual_mov_b32 v6, v18
	;; [unrolled: 1-line block ×5, first 2 shown]
	v_mov_b32_e32 v38, v37
.LBB7_107:
	s_or_b32 exec_lo, exec_lo, s2
	v_mov_b32_e32 v56, v122
	v_mov_b32_e32 v68, v121
	;; [unrolled: 1-line block ×3, first 2 shown]
	v_dual_mov_b32 v27, v51 :: v_dual_mov_b32 v84, v72
	v_mov_b32_e32 v81, v69
	v_dual_mov_b32 v83, v71 :: v_dual_mov_b32 v96, v60
	v_dual_mov_b32 v91, v55 :: v_dual_mov_b32 v120, v72
	;; [unrolled: 1-line block ×31, first 2 shown]
	v_mov_b32_e32 v24, v60
	s_mov_b32 s2, exec_lo
	v_dual_mov_b32 v118, v70 :: v_dual_mov_b32 v115, v67
	v_dual_mov_b32 v116, v68 :: v_dual_mov_b32 v113, v65
	;; [unrolled: 1-line block ×3, first 2 shown]
	v_cmpx_lt_f32_e32 v38, v3
	s_cbranch_execz .LBB7_109
; %bb.108:
	v_dual_mov_b32 v13, v49 :: v_dual_mov_b32 v14, v50
	v_dual_mov_b32 v23, v59 :: v_dual_mov_b32 v24, v60
	;; [unrolled: 1-line block ×30, first 2 shown]
	v_mov_b32_e32 v112, v64
	v_dual_mov_b32 v34, v94 :: v_dual_mov_b32 v35, v95
	v_dual_mov_b32 v35, v59 :: v_dual_mov_b32 v34, v58
	;; [unrolled: 1-line block ×15, first 2 shown]
	v_mov_b32_e32 v81, v69
	v_dual_mov_b32 v80, v121 :: v_dual_mov_b32 v83, v71
	v_mov_b32_e32 v82, v70
	v_dual_mov_b32 v84, v72 :: v_dual_mov_b32 v37, v38
	v_mov_b32_e32 v63, v62
	v_mov_b32_e32 v51, v50
.LBB7_109:
	s_or_b32 exec_lo, exec_lo, s2
	v_mov_b32_e32 v38, v4
	s_mov_b32 s2, exec_lo
	v_cmpx_lt_f32_e32 v37, v4
	s_cbranch_execz .LBB7_111
; %bb.110:
	v_mov_b32_e32 v15, v52
	v_mov_b32_e32 v96, v24
	;; [unrolled: 1-line block ×3, first 2 shown]
	v_dual_mov_b32 v88, v51 :: v_dual_mov_b32 v99, v64
	v_dual_mov_b32 v94, v22 :: v_dual_mov_b32 v85, v13
	;; [unrolled: 1-line block ×3, first 2 shown]
	v_mov_b32_e32 v95, v23
	v_dual_mov_b32 v93, v21 :: v_dual_mov_b32 v92, v20
	v_dual_mov_b32 v91, v19 :: v_dual_mov_b32 v90, v18
	;; [unrolled: 1-line block ×7, first 2 shown]
	v_mov_b32_e32 v87, v15
	v_dual_mov_b32 v111, v99 :: v_dual_mov_b32 v110, v98
	v_dual_mov_b32 v112, v63 :: v_dual_mov_b32 v25, v85
	;; [unrolled: 1-line block ×3, first 2 shown]
	s_delay_alu instid0(VALU_DEP_3)
	v_dual_mov_b32 v74, v110 :: v_dual_mov_b32 v29, v89
	v_dual_mov_b32 v30, v90 :: v_dual_mov_b32 v31, v91
	;; [unrolled: 1-line block ×8, first 2 shown]
	v_mov_b32_e32 v84, v120
	v_dual_mov_b32 v3, v4 :: v_dual_mov_b32 v4, v37
	v_dual_mov_b32 v27, v87 :: v_dual_mov_b32 v28, v88
	;; [unrolled: 1-line block ×11, first 2 shown]
	v_mov_b32_e32 v38, v37
	v_mov_b32_e32 v64, v63
	;; [unrolled: 1-line block ×3, first 2 shown]
.LBB7_111:
	s_or_b32 exec_lo, exec_lo, s2
	v_mov_b32_e32 v16, v5
	s_mov_b32 s2, exec_lo
	v_cmpx_lt_f32_e32 v38, v5
	s_cbranch_execz .LBB7_113
; %bb.112:
	v_mov_b32_e32 v100, v65
	v_mov_b32_e32 v16, v53
	v_dual_mov_b32 v4, v5 :: v_dual_mov_b32 v5, v38
	v_dual_mov_b32 v36, v24 :: v_dual_mov_b32 v33, v21
	v_dual_mov_b32 v35, v23 :: v_dual_mov_b32 v34, v22
	v_mov_b32_e32 v31, v19
	v_dual_mov_b32 v35, v59 :: v_dual_mov_b32 v34, v58
	v_dual_mov_b32 v73, v97 :: v_dual_mov_b32 v32, v20
	;; [unrolled: 1-line block ×8, first 2 shown]
	v_mov_b32_e32 v77, v64
	v_dual_mov_b32 v84, v108 :: v_dual_mov_b32 v79, v67
	v_dual_mov_b32 v120, v108 :: v_dual_mov_b32 v115, v103
	;; [unrolled: 1-line block ×19, first 2 shown]
	v_mov_b32_e32 v88, v16
	v_dual_mov_b32 v86, v14 :: v_dual_mov_b32 v65, v64
	v_dual_mov_b32 v16, v38 :: v_dual_mov_b32 v53, v52
	;; [unrolled: 1-line block ×3, first 2 shown]
.LBB7_113:
	s_or_b32 exec_lo, exec_lo, s2
	v_mov_b32_e32 v13, v6
	s_mov_b32 s2, exec_lo
	v_cmpx_lt_f32_e32 v16, v6
	s_cbranch_execz .LBB7_115
; %bb.114:
	v_dual_mov_b32 v89, v54 :: v_dual_mov_b32 v90, v53
	v_dual_mov_b32 v91, v55 :: v_dual_mov_b32 v92, v122
	;; [unrolled: 1-line block ×21, first 2 shown]
	v_mov_b32_e32 v13, v16
.LBB7_115:
	s_or_b32 exec_lo, exec_lo, s2
	s_delay_alu instid0(VALU_DEP_1)
	v_cmp_lt_f32_e32 vcc_lo, v13, v7
	v_dual_mov_b32 v14, v2 :: v_dual_mov_b32 v17, v5
	v_dual_mov_b32 v16, v4 :: v_dual_mov_b32 v21, v9
	v_dual_cndmask_b32 v37, v79, v78 :: v_dual_cndmask_b32 v78, v78, v79
	v_cndmask_b32_e32 v38, v31, v30, vcc_lo
	v_dual_cndmask_b32 v30, v30, v31 :: v_dual_cndmask_b32 v19, v7, v13
	v_dual_cndmask_b32 v18, v6, v7 :: v_dual_mov_b32 v15, v3
	v_dual_mov_b32 v13, v1 :: v_dual_mov_b32 v20, v8
	v_dual_mov_b32 v23, v11 :: v_dual_mov_b32 v22, v10
	v_mov_b32_e32 v24, v12
	s_mov_b32 s2, exec_lo
	v_cmpx_lt_f32_e32 v1, v2
	s_cbranch_execz .LBB7_117
; %bb.116:
	v_dual_mov_b32 v2, v14 :: v_dual_mov_b32 v3, v13
	v_dual_mov_b32 v12, v23 :: v_dual_mov_b32 v13, v24
	;; [unrolled: 1-line block ×6, first 2 shown]
	v_mov_b32_e32 v24, v13
	v_mov_b32_e32 v31, v73
	v_dual_mov_b32 v39, v25 :: v_dual_mov_b32 v18, v7
	v_swap_b32 v73, v74
	v_swap_b32 v25, v26
	v_dual_mov_b32 v23, v12 :: v_dual_mov_b32 v20, v9
	v_dual_mov_b32 v22, v11 :: v_dual_mov_b32 v21, v10
	v_dual_mov_b32 v16, v5 :: v_dual_mov_b32 v19, v8
	v_dual_mov_b32 v14, v3 :: v_dual_mov_b32 v17, v6
	v_mov_b32_e32 v15, v4
	v_dual_mov_b32 v13, v2 :: v_dual_mov_b32 v2, v1
.LBB7_117:
	s_or_b32 exec_lo, exec_lo, s2
	v_mov_b32_e32 v31, v38
	v_dual_mov_b32 v79, v37 :: v_dual_mov_b32 v50, v36
	v_dual_mov_b32 v51, v73 :: v_dual_mov_b32 v52, v74
	;; [unrolled: 1-line block ×24, first 2 shown]
	v_mov_b32_e32 v85, v25
	v_mov_b32_e32 v1, v15
	s_mov_b32 s2, exec_lo
	v_cmpx_lt_f32_e32 v2, v15
	s_cbranch_execz .LBB7_119
; %bb.118:
	v_dual_mov_b32 v96, v36 :: v_dual_mov_b32 v95, v35
	v_dual_mov_b32 v86, v26 :: v_dual_mov_b32 v85, v25
	v_dual_mov_b32 v90, v30 :: v_dual_mov_b32 v89, v29
	v_dual_mov_b32 v88, v28 :: v_dual_mov_b32 v87, v27
	v_dual_mov_b32 v94, v34 :: v_dual_mov_b32 v93, v33
	v_dual_mov_b32 v92, v32 :: v_dual_mov_b32 v91, v31
	v_dual_mov_b32 v86, v27 :: v_dual_mov_b32 v87, v26
	v_dual_mov_b32 v39, v85 :: v_dual_mov_b32 v108, v84
	v_mov_b32_e32 v105, v81
	v_dual_mov_b32 v43, v89 :: v_dual_mov_b32 v44, v90
	v_dual_mov_b32 v100, v76 :: v_dual_mov_b32 v97, v73
	;; [unrolled: 1-line block ×6, first 2 shown]
	v_mov_b32_e32 v98, v74
	v_dual_mov_b32 v98, v75 :: v_dual_mov_b32 v99, v74
	v_dual_mov_b32 v49, v95 :: v_dual_mov_b32 v50, v96
	;; [unrolled: 1-line block ×12, first 2 shown]
	v_mov_b32_e32 v40, v86
	v_dual_mov_b32 v42, v28 :: v_dual_mov_b32 v43, v29
	v_dual_mov_b32 v45, v38 :: v_dual_mov_b32 v46, v32
	;; [unrolled: 1-line block ×9, first 2 shown]
	v_mov_b32_e32 v75, v74
	v_mov_b32_e32 v27, v26
.LBB7_119:
	s_or_b32 exec_lo, exec_lo, s2
	v_mov_b32_e32 v2, v16
	s_mov_b32 s2, exec_lo
	v_cmpx_lt_f32_e32 v1, v16
	s_cbranch_execz .LBB7_121
; %bb.120:
	v_mov_b32_e32 v87, v28
	v_mov_b32_e32 v99, v76
	v_dual_mov_b32 v15, v16 :: v_dual_mov_b32 v16, v1
	v_dual_mov_b32 v39, v85 :: v_dual_mov_b32 v42, v88
	v_dual_mov_b32 v45, v91 :: v_dual_mov_b32 v48, v94
	v_dual_mov_b32 v48, v34 :: v_dual_mov_b32 v51, v97
	v_dual_mov_b32 v54, v100 :: v_dual_mov_b32 v41, v87
	v_dual_mov_b32 v44, v90 :: v_dual_mov_b32 v43, v89
	v_dual_mov_b32 v46, v92 :: v_dual_mov_b32 v47, v93
	v_dual_mov_b32 v50, v96 :: v_dual_mov_b32 v49, v95
	v_dual_mov_b32 v44, v30 :: v_dual_mov_b32 v53, v99
	v_dual_mov_b32 v56, v102 :: v_dual_mov_b32 v55, v101
	v_dual_mov_b32 v58, v104 :: v_dual_mov_b32 v57, v103
	v_dual_mov_b32 v60, v106 :: v_dual_mov_b32 v59, v105
	v_dual_mov_b32 v62, v108 :: v_dual_mov_b32 v61, v107
	v_mov_b32_e32 v56, v78
	v_mov_b32_e32 v40, v86
	v_dual_mov_b32 v42, v27 :: v_dual_mov_b32 v43, v29
	v_dual_mov_b32 v45, v38 :: v_dual_mov_b32 v46, v32
	;; [unrolled: 1-line block ×8, first 2 shown]
	v_mov_b32_e32 v2, v1
	v_mov_b32_e32 v76, v75
	;; [unrolled: 1-line block ×3, first 2 shown]
.LBB7_121:
	s_or_b32 exec_lo, exec_lo, s2
	v_mov_b32_e32 v1, v17
	s_mov_b32 s2, exec_lo
	v_cmpx_lt_f32_e32 v2, v17
	s_cbranch_execz .LBB7_123
; %bb.122:
	v_dual_mov_b32 v106, v82 :: v_dual_mov_b32 v107, v83
	v_dual_mov_b32 v88, v29 :: v_dual_mov_b32 v89, v28
	;; [unrolled: 1-line block ×8, first 2 shown]
	v_mov_b32_e32 v108, v84
	v_dual_mov_b32 v16, v17 :: v_dual_mov_b32 v17, v2
	v_dual_mov_b32 v96, v36 :: v_dual_mov_b32 v51, v97
	;; [unrolled: 1-line block ×14, first 2 shown]
.LBB7_123:
	s_or_b32 exec_lo, exec_lo, s2
	s_delay_alu instid0(VALU_DEP_1)
	v_cmp_lt_f32_e32 vcc_lo, v1, v18
	v_dual_mov_b32 v27, v13 :: v_dual_mov_b32 v34, v20
	v_dual_mov_b32 v29, v15 :: v_dual_mov_b32 v36, v22
	v_dual_cndmask_b32 v63, v56, v55 :: v_dual_cndmask_b32 v32, v18, v1
	v_dual_cndmask_b32 v55, v55, v56 :: v_dual_cndmask_b32 v64, v44, v43
	v_dual_cndmask_b32 v43, v43, v44 :: v_dual_mov_b32 v28, v14
	v_dual_cndmask_b32 v31, v17, v18 :: v_dual_mov_b32 v30, v16
	v_dual_mov_b32 v33, v19 :: v_dual_mov_b32 v38, v24
	v_mov_b32_e32 v35, v21
	v_mov_b32_e32 v37, v23
	s_mov_b32 s2, exec_lo
	v_cmpx_lt_f32_e32 v13, v14
	s_cbranch_execz .LBB7_125
; %bb.124:
	s_delay_alu instid0(VALU_DEP_2)
	v_dual_mov_b32 v11, v37 :: v_dual_mov_b32 v12, v38
	v_dual_mov_b32 v1, v28 :: v_dual_mov_b32 v2, v27
	;; [unrolled: 1-line block ×7, first 2 shown]
	s_delay_alu instid0(VALU_DEP_2)
	v_dual_mov_b32 v16, v39 :: v_dual_mov_b32 v35, v9
	v_swap_b32 v51, v52
	v_swap_b32 v39, v40
	v_dual_mov_b32 v37, v11 :: v_dual_mov_b32 v36, v10
	v_dual_mov_b32 v34, v8 :: v_dual_mov_b32 v33, v7
	;; [unrolled: 1-line block ×5, first 2 shown]
	v_mov_b32_e32 v14, v13
.LBB7_125:
	s_or_b32 exec_lo, exec_lo, s2
	v_mov_b32_e32 v44, v64
	v_mov_b32_e32 v56, v63
	;; [unrolled: 1-line block ×4, first 2 shown]
	v_dual_mov_b32 v15, v51 :: v_dual_mov_b32 v2, v40
	v_dual_mov_b32 v16, v52 :: v_dual_mov_b32 v17, v53
	;; [unrolled: 1-line block ×11, first 2 shown]
	v_mov_b32_e32 v12, v50
	s_mov_b32 s2, exec_lo
	v_cmpx_lt_f32_e32 v14, v29
	s_cbranch_execz .LBB7_127
; %bb.126:
	v_dual_mov_b32 v1, v39 :: v_dual_mov_b32 v2, v40
	v_dual_mov_b32 v11, v49 :: v_dual_mov_b32 v12, v50
	v_dual_mov_b32 v12, v50 :: v_dual_mov_b32 v15, v51
	v_dual_mov_b32 v3, v41 :: v_dual_mov_b32 v4, v42
	v_dual_mov_b32 v5, v43 :: v_dual_mov_b32 v6, v44
	v_dual_mov_b32 v7, v45 :: v_dual_mov_b32 v8, v46
	v_dual_mov_b32 v9, v47 :: v_dual_mov_b32 v10, v48
	v_dual_mov_b32 v16, v52 :: v_dual_mov_b32 v17, v53
	v_dual_mov_b32 v18, v54 :: v_dual_mov_b32 v19, v55
	v_dual_mov_b32 v20, v56 :: v_dual_mov_b32 v21, v57
	v_dual_mov_b32 v22, v58 :: v_dual_mov_b32 v23, v59
	v_dual_mov_b32 v24, v60 :: v_dual_mov_b32 v25, v61
	v_dual_mov_b32 v26, v62 :: v_dual_mov_b32 v17, v52
	v_dual_mov_b32 v28, v29 :: v_dual_mov_b32 v29, v14
	v_dual_mov_b32 v2, v41 :: v_dual_mov_b32 v3, v40
	v_dual_mov_b32 v4, v42 :: v_dual_mov_b32 v5, v43
	v_dual_mov_b32 v6, v64 :: v_dual_mov_b32 v7, v45
	v_dual_mov_b32 v8, v46 :: v_dual_mov_b32 v9, v47
	v_dual_mov_b32 v10, v48 :: v_dual_mov_b32 v11, v49
	v_dual_mov_b32 v16, v53 :: v_dual_mov_b32 v19, v55
	v_dual_mov_b32 v18, v54 :: v_dual_mov_b32 v21, v57
	v_dual_mov_b32 v20, v63 :: v_dual_mov_b32 v25, v61
	v_dual_mov_b32 v22, v58 :: v_dual_mov_b32 v23, v59
	v_dual_mov_b32 v24, v60 :: v_dual_mov_b32 v13, v14
	v_dual_mov_b32 v26, v62 :: v_dual_mov_b32 v53, v52
	v_mov_b32_e32 v41, v40
.LBB7_127:
	s_or_b32 exec_lo, exec_lo, s2
	v_mov_b32_e32 v39, v30
	s_mov_b32 s2, exec_lo
	v_cmpx_lt_f32_e32 v13, v30
	s_cbranch_execz .LBB7_129
; %bb.128:
	v_dual_mov_b32 v29, v30 :: v_dual_mov_b32 v30, v13
	v_dual_mov_b32 v3, v42 :: v_dual_mov_b32 v4, v41
	;; [unrolled: 1-line block ×11, first 2 shown]
	v_mov_b32_e32 v39, v13
.LBB7_129:
	s_or_b32 exec_lo, exec_lo, s2
	s_delay_alu instid0(VALU_DEP_1)
	v_cmp_lt_f32_e32 vcc_lo, v39, v31
	v_dual_mov_b32 v40, v28 :: v_dual_mov_b32 v45, v33
	v_dual_mov_b32 v44, v32 :: v_dual_mov_b32 v47, v35
	v_dual_cndmask_b32 v13, v19, v18 :: v_dual_cndmask_b32 v18, v18, v19
	v_dual_cndmask_b32 v14, v5, v4 :: v_dual_cndmask_b32 v43, v31, v39
	v_dual_cndmask_b32 v4, v4, v5 :: v_dual_mov_b32 v39, v27
	v_dual_cndmask_b32 v42, v30, v31 :: v_dual_mov_b32 v41, v29
	v_dual_mov_b32 v46, v34 :: v_dual_mov_b32 v49, v37
	v_mov_b32_e32 v48, v36
	v_mov_b32_e32 v50, v38
	s_mov_b32 s2, exec_lo
	v_cmpx_lt_f32_e32 v27, v28
	s_cbranch_execz .LBB7_131
; %bb.130:
	v_dual_mov_b32 v28, v40 :: v_dual_mov_b32 v29, v39
	v_dual_mov_b32 v38, v49 :: v_dual_mov_b32 v39, v50
	;; [unrolled: 1-line block ×7, first 2 shown]
	v_mov_b32_e32 v5, v15
	v_swap_b32 v15, v16
	s_delay_alu instid0(VALU_DEP_4)
	v_mov_b32_e32 v48, v37
	v_swap_b32 v1, v2
	v_dual_mov_b32 v49, v38 :: v_dual_mov_b32 v46, v35
	v_dual_mov_b32 v47, v36 :: v_dual_mov_b32 v44, v33
	;; [unrolled: 1-line block ×4, first 2 shown]
	v_mov_b32_e32 v41, v30
	v_dual_mov_b32 v39, v28 :: v_dual_mov_b32 v28, v27
.LBB7_131:
	s_or_b32 exec_lo, exec_lo, s2
	v_mov_b32_e32 v5, v14
	v_mov_b32_e32 v19, v13
	v_mov_b32_e32 v27, v41
	s_mov_b32 s2, exec_lo
	v_cmpx_lt_f32_e32 v28, v41
	s_cbranch_execz .LBB7_133
; %bb.132:
	v_dual_mov_b32 v74, v26 :: v_dual_mov_b32 v73, v25
	v_dual_mov_b32 v62, v12 :: v_dual_mov_b32 v61, v11
	;; [unrolled: 1-line block ×22, first 2 shown]
	v_mov_b32_e32 v74, v26
	v_dual_mov_b32 v40, v41 :: v_dual_mov_b32 v41, v28
	v_dual_mov_b32 v62, v12 :: v_dual_mov_b32 v15, v63
	;; [unrolled: 1-line block ×14, first 2 shown]
.LBB7_133:
	s_or_b32 exec_lo, exec_lo, s2
	s_delay_alu instid0(VALU_DEP_1)
	v_cmp_lt_f32_e32 vcc_lo, v27, v42
	v_dual_mov_b32 v29, v24 :: v_dual_mov_b32 v32, v5
	v_dual_mov_b32 v31, v26 :: v_dual_mov_b32 v34, v7
	v_dual_cndmask_b32 v13, v18, v17 :: v_dual_cndmask_b32 v14, v4, v3
	v_cndmask_b32_e32 v51, v17, v18, vcc_lo
	v_dual_cndmask_b32 v59, v3, v4 :: v_dual_cndmask_b32 v60, v41, v42
	v_dual_cndmask_b32 v3, v42, v27 :: v_dual_mov_b32 v18, v21
	v_cmp_lt_f32_e32 vcc_lo, v39, v40
	v_dual_mov_b32 v4, v19 :: v_dual_mov_b32 v17, v20
	v_dual_mov_b32 v28, v23 :: v_dual_mov_b32 v27, v22
	;; [unrolled: 1-line block ×7, first 2 shown]
	v_mov_b32_e32 v58, v50
	v_dual_mov_b32 v52, v44 :: v_dual_mov_b32 v53, v45
	v_dual_mov_b32 v55, v47 :: v_dual_mov_b32 v56, v48
	v_mov_b32_e32 v57, v49
	s_and_saveexec_b32 s2, vcc_lo
	s_cbranch_execz .LBB7_135
; %bb.134:
	v_dual_mov_b32 v42, v40 :: v_dual_mov_b32 v27, v22
	v_dual_mov_b32 v4, v15 :: v_dual_mov_b32 v17, v20
	;; [unrolled: 1-line block ×3, first 2 shown]
	v_swap_b32 v15, v16
	v_swap_b32 v1, v2
	v_dual_mov_b32 v40, v39 :: v_dual_mov_b32 v29, v24
	v_dual_mov_b32 v4, v19 :: v_dual_mov_b32 v31, v26
	;; [unrolled: 1-line block ×10, first 2 shown]
	v_mov_b32_e32 v52, v44
	v_mov_b32_e32 v54, v46
	;; [unrolled: 1-line block ×4, first 2 shown]
.LBB7_135:
	s_or_b32 exec_lo, exec_lo, s2
	s_clause 0x1
	s_load_b32 s8, s[0:1], 0x28
	s_load_b128 s[4:7], s[0:1], 0x10
	v_mov_b32_e32 v6, 0
	s_waitcnt lgkmcnt(0)
	s_cmp_lt_i32 s8, 1
	s_cbranch_scc1 .LBB7_141
; %bb.136:
	v_cmp_lt_f32_e32 vcc_lo, v40, v60
	v_mov_b32_e32 v7, 0
	s_mov_b32 s9, 0x76543210
	s_mov_b32 s10, s8
	v_mov_b32_e32 v6, 0
	v_cndmask_b32_e32 v8, v60, v40, vcc_lo
	v_cndmask_b32_e32 v19, v61, v60, vcc_lo
	v_dual_cndmask_b32 v5, v59, v2 :: v_dual_cndmask_b32 v2, v2, v59
	v_dual_cndmask_b32 v9, v51, v16 :: v_dual_cndmask_b32 v20, v16, v51
	s_delay_alu instid0(VALU_DEP_3) | instskip(NEXT) | instid1(VALU_DEP_1)
	v_cmp_lt_f32_e64 s2, v39, v19
	v_cndmask_b32_e64 v10, v2, v1, s2
	v_cndmask_b32_e64 v11, v1, v2, s2
	;; [unrolled: 1-line block ×6, first 2 shown]
	v_dual_mov_b32 v20, v0 :: v_dual_mov_b32 v1, 0
	v_mov_b32_e32 v2, 0
.LBB7_137:                              ; =>This Inner Loop Header: Depth=1
	v_cmp_eq_u32_e32 vcc_lo, 1, v7
	v_cmp_eq_u32_e64 s2, 2, v7
	v_dual_cndmask_b32 v21, v16, v12 :: v_dual_cndmask_b32 v22, v11, v10
	s_delay_alu instid0(VALU_DEP_1) | instskip(NEXT) | instid1(VALU_DEP_2)
	v_cndmask_b32_e64 v21, v21, v8, s2
	v_cndmask_b32_e64 v22, v22, v5, s2
	v_cndmask_b32_e32 v23, v15, v19, vcc_lo
	v_cmp_eq_u32_e32 vcc_lo, 3, v7
	s_delay_alu instid0(VALU_DEP_3) | instskip(NEXT) | instid1(VALU_DEP_3)
	v_cndmask_b32_e32 v22, v22, v14, vcc_lo
	v_cndmask_b32_e64 v23, v23, v9, s2
	v_cmp_eq_u32_e64 s2, 4, v7
	s_delay_alu instid0(VALU_DEP_2) | instskip(NEXT) | instid1(VALU_DEP_2)
	v_cndmask_b32_e32 v23, v23, v13, vcc_lo
	v_cndmask_b32_e64 v22, v22, v32, s2
	v_cndmask_b32_e32 v21, v21, v3, vcc_lo
	v_cmp_eq_u32_e32 vcc_lo, 5, v7
	s_delay_alu instid0(VALU_DEP_4) | instskip(NEXT) | instid1(VALU_DEP_4)
	v_cndmask_b32_e64 v23, v23, v4, s2
	v_cndmask_b32_e32 v22, v22, v33, vcc_lo
	s_delay_alu instid0(VALU_DEP_4) | instskip(SKIP_1) | instid1(VALU_DEP_4)
	v_cndmask_b32_e64 v21, v21, v42, s2
	v_cmp_eq_u32_e64 s2, 6, v7
	v_cndmask_b32_e32 v23, v23, v17, vcc_lo
	s_delay_alu instid0(VALU_DEP_3) | instskip(SKIP_1) | instid1(VALU_DEP_4)
	v_cndmask_b32_e32 v21, v21, v52, vcc_lo
	v_cmp_eq_u32_e32 vcc_lo, 7, v7
	v_cndmask_b32_e64 v22, v22, v34, s2
	s_delay_alu instid0(VALU_DEP_4) | instskip(NEXT) | instid1(VALU_DEP_4)
	v_cndmask_b32_e64 v23, v23, v18, s2
	v_cndmask_b32_e64 v21, v21, v53, s2
	v_cmp_eq_u32_e64 s2, 8, v7
	s_delay_alu instid0(VALU_DEP_4) | instskip(NEXT) | instid1(VALU_DEP_4)
	v_cndmask_b32_e32 v22, v22, v35, vcc_lo
	v_cndmask_b32_e32 v23, v23, v27, vcc_lo
	s_delay_alu instid0(VALU_DEP_4) | instskip(SKIP_1) | instid1(VALU_DEP_4)
	v_cndmask_b32_e32 v21, v21, v54, vcc_lo
	v_cmp_eq_u32_e32 vcc_lo, 9, v7
	v_cndmask_b32_e64 v22, v22, v36, s2
	s_delay_alu instid0(VALU_DEP_4) | instskip(NEXT) | instid1(VALU_DEP_4)
	v_cndmask_b32_e64 v23, v23, v28, s2
	v_cndmask_b32_e64 v21, v21, v55, s2
	v_cmp_eq_u32_e64 s2, 10, v7
	s_delay_alu instid0(VALU_DEP_4) | instskip(NEXT) | instid1(VALU_DEP_4)
	v_cndmask_b32_e32 v22, v22, v37, vcc_lo
	v_cndmask_b32_e32 v23, v23, v29, vcc_lo
	s_delay_alu instid0(VALU_DEP_4) | instskip(SKIP_1) | instid1(VALU_DEP_4)
	v_cndmask_b32_e32 v21, v21, v56, vcc_lo
	v_cmp_eq_u32_e32 vcc_lo, 11, v7
	v_cndmask_b32_e64 v22, v22, v38, s2
	s_delay_alu instid0(VALU_DEP_4) | instskip(NEXT) | instid1(VALU_DEP_4)
	v_cndmask_b32_e64 v23, v23, v30, s2
	v_cndmask_b32_e64 v21, v21, v57, s2
	v_cmp_gt_u32_e64 s2, 12, v7
	s_delay_alu instid0(VALU_DEP_2) | instskip(NEXT) | instid1(VALU_DEP_1)
	v_dual_cndmask_b32 v22, v22, v41 :: v_dual_cndmask_b32 v21, v21, v58
	v_cndmask_b32_e64 v24, 0, v22, s2
	s_delay_alu instid0(VALU_DEP_2)
	v_cndmask_b32_e64 v21, 0xff800000, v21, s2
	;;#ASMSTART
	v_max_f32 v25, v21, v21 quad_perm:[1,0,3,2] row_mask:0xf bank_mask:0xf bound_ctrl:1
	;;#ASMEND
	;;#ASMSTART
	v_max_f32 v26, v25, v25 quad_perm:[2,3,0,1] row_mask:0xf bank_mask:0xf bound_ctrl:1
	;;#ASMEND
	;;#ASMSTART
	v_max_f32 v25, v26, v26 row_half_mirror row_mask:0xf bank_mask:0xf bound_ctrl:1
	;;#ASMEND
	;;#ASMSTART
	v_max_f32 v26, v25, v25 row_mirror row_mask:0xf bank_mask:0xf bound_ctrl:1
	;;#ASMEND
	v_permlanex16_b32 v25, v26, s9, 0xfedcba98 op_sel:[1,1]
	s_delay_alu instid0(VALU_DEP_1) | instskip(NEXT) | instid1(VALU_DEP_1)
	v_dual_max_f32 v26, v26, v26 :: v_dual_max_f32 v25, v25, v25
	v_max_f32_e32 v25, v26, v25
	s_delay_alu instid0(VALU_DEP_1) | instskip(SKIP_1) | instid1(VALU_DEP_2)
	v_cmp_eq_f32_e64 s3, v21, v25
	v_cndmask_b32_e32 v21, v23, v31, vcc_lo
	s_ctz_i32_b32 s11, s3
	s_cmp_lg_u32 s3, 0
	s_cselect_b32 s3, s11, 0
	s_add_i32 s10, s10, -1
	v_readlane_b32 s3, v24, s3
	s_delay_alu instid0(VALU_DEP_1)
	v_cmp_eq_u32_e32 vcc_lo, s3, v22
	s_and_b32 vcc_lo, s2, vcc_lo
	s_and_b32 s2, s3, 31
	v_cndmask_b32_e32 v21, 0, v21, vcc_lo
	v_add_co_ci_u32_e32 v7, vcc_lo, 0, v7, vcc_lo
	s_cmp_eq_u32 s10, 0
	s_delay_alu instid0(VALU_DEP_2) | instskip(SKIP_2) | instid1(VALU_DEP_3)
	v_readlane_b32 s11, v21, s2
	v_cmp_eq_u32_e64 s2, 0, v20
	v_add_nc_u32_e32 v20, -1, v20
	v_add_f32_e32 v6, s11, v6
	s_delay_alu instid0(VALU_DEP_3)
	v_cndmask_b32_e64 v2, v2, s11, s2
	v_cndmask_b32_e64 v1, v1, s3, s2
	s_cbranch_scc0 .LBB7_137
; %bb.138:
	s_mov_b32 s2, exec_lo
	v_cmpx_gt_i32_e64 s8, v0
	s_cbranch_execz .LBB7_140
.LBB7_139:
	s_load_b32 s2, s[0:1], 0x30
	v_max_f32_e32 v0, v6, v6
	s_load_b64 s[0:1], s[0:1], 0x20
	s_ashr_i32 s3, s15, 31
	s_delay_alu instid0(VALU_DEP_1) | instskip(SKIP_1) | instid1(VALU_DEP_1)
	v_max_f32_e32 v0, 0x1e3ce508, v0
	s_waitcnt lgkmcnt(0)
	v_div_scale_f32 v3, null, v0, v0, s2
	v_div_scale_f32 v6, vcc_lo, s2, v0, s2
	s_mul_i32 s1, s15, s1
	s_delay_alu instid0(VALU_DEP_2)
	v_rcp_f32_e32 v4, v3
	s_mul_hi_u32 s8, s15, s0
	s_mul_i32 s3, s3, s0
	s_add_i32 s1, s8, s1
	s_mul_i32 s0, s15, s0
	s_add_i32 s1, s1, s3
	s_delay_alu instid0(SALU_CYCLE_1) | instskip(SKIP_2) | instid1(VALU_DEP_1)
	s_lshl_b64 s[0:1], s[0:1], 2
	s_waitcnt_depctr 0xfff
	v_fma_f32 v5, -v3, v4, 1.0
	v_fmac_f32_e32 v4, v5, v4
	s_delay_alu instid0(VALU_DEP_1) | instskip(NEXT) | instid1(VALU_DEP_1)
	v_mul_f32_e32 v5, v6, v4
	v_fma_f32 v7, -v3, v5, v6
	s_delay_alu instid0(VALU_DEP_1) | instskip(NEXT) | instid1(VALU_DEP_1)
	v_fmac_f32_e32 v5, v7, v4
	v_fma_f32 v3, -v3, v5, v6
	s_delay_alu instid0(VALU_DEP_1) | instskip(NEXT) | instid1(VALU_DEP_1)
	v_div_fmas_f32 v3, v3, v4, v5
	v_div_fixup_f32 v0, v3, v0, s2
	s_add_u32 s2, s4, s0
	s_addc_u32 s3, s5, s1
	s_add_u32 s0, s6, s0
	s_addc_u32 s1, s7, s1
	v_mul_f32_e32 v0, v2, v0
	s_clause 0x1
	global_store_b32 v183, v0, s[2:3]
	global_store_b32 v183, v1, s[0:1]
.LBB7_140:
	s_endpgm
.LBB7_141:
	v_dual_mov_b32 v1, 0 :: v_dual_mov_b32 v2, 0
	s_mov_b32 s2, exec_lo
	v_cmpx_gt_i32_e64 s8, v0
	s_cbranch_execnz .LBB7_139
	s_branch .LBB7_140
	.section	.rodata,"a",@progbits
	.p2align	6, 0x0
	.amdhsa_kernel _ZN5aiter24topk_softplus_kernel_optIffLi384ELb1ELi1EEEvPKT_PKT0_PfPimiif
		.amdhsa_group_segment_fixed_size 0
		.amdhsa_private_segment_fixed_size 196
		.amdhsa_kernarg_size 52
		.amdhsa_user_sgpr_count 15
		.amdhsa_user_sgpr_dispatch_ptr 0
		.amdhsa_user_sgpr_queue_ptr 0
		.amdhsa_user_sgpr_kernarg_segment_ptr 1
		.amdhsa_user_sgpr_dispatch_id 0
		.amdhsa_user_sgpr_private_segment_size 0
		.amdhsa_wavefront_size32 1
		.amdhsa_uses_dynamic_stack 0
		.amdhsa_enable_private_segment 1
		.amdhsa_system_sgpr_workgroup_id_x 1
		.amdhsa_system_sgpr_workgroup_id_y 0
		.amdhsa_system_sgpr_workgroup_id_z 0
		.amdhsa_system_sgpr_workgroup_info 0
		.amdhsa_system_vgpr_workitem_id 0
		.amdhsa_next_free_vgpr 184
		.amdhsa_next_free_sgpr 16
		.amdhsa_reserve_vcc 1
		.amdhsa_float_round_mode_32 0
		.amdhsa_float_round_mode_16_64 0
		.amdhsa_float_denorm_mode_32 3
		.amdhsa_float_denorm_mode_16_64 3
		.amdhsa_dx10_clamp 1
		.amdhsa_ieee_mode 1
		.amdhsa_fp16_overflow 0
		.amdhsa_workgroup_processor_mode 1
		.amdhsa_memory_ordered 1
		.amdhsa_forward_progress 0
		.amdhsa_shared_vgpr_count 0
		.amdhsa_exception_fp_ieee_invalid_op 0
		.amdhsa_exception_fp_denorm_src 0
		.amdhsa_exception_fp_ieee_div_zero 0
		.amdhsa_exception_fp_ieee_overflow 0
		.amdhsa_exception_fp_ieee_underflow 0
		.amdhsa_exception_fp_ieee_inexact 0
		.amdhsa_exception_int_div_zero 0
	.end_amdhsa_kernel
	.section	.text._ZN5aiter24topk_softplus_kernel_optIffLi384ELb1ELi1EEEvPKT_PKT0_PfPimiif,"axG",@progbits,_ZN5aiter24topk_softplus_kernel_optIffLi384ELb1ELi1EEEvPKT_PKT0_PfPimiif,comdat
.Lfunc_end7:
	.size	_ZN5aiter24topk_softplus_kernel_optIffLi384ELb1ELi1EEEvPKT_PKT0_PfPimiif, .Lfunc_end7-_ZN5aiter24topk_softplus_kernel_optIffLi384ELb1ELi1EEEvPKT_PKT0_PfPimiif
                                        ; -- End function
	.section	.AMDGPU.csdata,"",@progbits
; Kernel info:
; codeLenInByte = 27940
; NumSgprs: 18
; NumVgprs: 184
; ScratchSize: 196
; MemoryBound: 0
; FloatMode: 240
; IeeeMode: 1
; LDSByteSize: 0 bytes/workgroup (compile time only)
; SGPRBlocks: 2
; VGPRBlocks: 22
; NumSGPRsForWavesPerEU: 18
; NumVGPRsForWavesPerEU: 184
; Occupancy: 8
; WaveLimiterHint : 0
; COMPUTE_PGM_RSRC2:SCRATCH_EN: 1
; COMPUTE_PGM_RSRC2:USER_SGPR: 15
; COMPUTE_PGM_RSRC2:TRAP_HANDLER: 0
; COMPUTE_PGM_RSRC2:TGID_X_EN: 1
; COMPUTE_PGM_RSRC2:TGID_Y_EN: 0
; COMPUTE_PGM_RSRC2:TGID_Z_EN: 0
; COMPUTE_PGM_RSRC2:TIDIG_COMP_CNT: 0
	.section	.text._ZN5aiter24topk_softplus_kernel_optIffLi384ELb0ELi1EEEvPKT_PKT0_PfPimiif,"axG",@progbits,_ZN5aiter24topk_softplus_kernel_optIffLi384ELb0ELi1EEEvPKT_PKT0_PfPimiif,comdat
	.protected	_ZN5aiter24topk_softplus_kernel_optIffLi384ELb0ELi1EEEvPKT_PKT0_PfPimiif ; -- Begin function _ZN5aiter24topk_softplus_kernel_optIffLi384ELb0ELi1EEEvPKT_PKT0_PfPimiif
	.globl	_ZN5aiter24topk_softplus_kernel_optIffLi384ELb0ELi1EEEvPKT_PKT0_PfPimiif
	.p2align	8
	.type	_ZN5aiter24topk_softplus_kernel_optIffLi384ELb0ELi1EEEvPKT_PKT0_PfPimiif,@function
_ZN5aiter24topk_softplus_kernel_optIffLi384ELb0ELi1EEEvPKT_PKT0_PfPimiif: ; @_ZN5aiter24topk_softplus_kernel_optIffLi384ELb0ELi1EEEvPKT_PKT0_PfPimiif
; %bb.0:
	s_load_b128 s[4:7], s[0:1], 0x0
	s_mul_i32 s2, s15, 0x180
	v_lshlrev_b32_e32 v183, 2, v0
	s_ashr_i32 s3, s2, 31
	s_delay_alu instid0(SALU_CYCLE_1)
	s_lshl_b64 s[2:3], s[2:3], 2
	s_waitcnt lgkmcnt(0)
	s_add_u32 s4, s4, s2
	s_addc_u32 s5, s5, s3
	s_cmp_lg_u64 s[6:7], 0
	global_load_b32 v1, v183, s[4:5]
	s_cselect_b32 s2, -1, 0
	s_waitcnt vmcnt(0)
	v_mul_f32_e32 v2, 0xbfb8aa3b, v1
	s_delay_alu instid0(VALU_DEP_1) | instskip(SKIP_1) | instid1(VALU_DEP_1)
	v_cmp_gt_f32_e32 vcc_lo, 0xc2fc0000, v2
	v_cndmask_b32_e64 v2, 0, 0x42800000, vcc_lo
	v_fmac_f32_e32 v2, 0xbfb8aa3b, v1
	s_delay_alu instid0(VALU_DEP_1) | instskip(SKIP_4) | instid1(VALU_DEP_1)
	v_exp_f32_e32 v1, v2
	v_cndmask_b32_e64 v2, 1.0, 0x1f800000, vcc_lo
	s_and_b32 vcc_lo, exec_lo, s2
	s_waitcnt_depctr 0xfff
	v_fma_f32 v1, v1, v2, 1.0
	v_rcp_f32_e32 v37, v1
	v_add_co_u32 v1, s3, s4, v183
	s_delay_alu instid0(VALU_DEP_1)
	v_add_co_ci_u32_e64 v2, null, s5, 0, s3
	s_waitcnt_depctr 0xfff
	v_mov_b32_e32 v48, v37
	s_cbranch_vccz .LBB8_2
; %bb.1:
	global_load_b32 v3, v183, s[6:7]
	s_waitcnt vmcnt(0)
	v_add_f32_e32 v48, v37, v3
.LBB8_2:
	global_load_b32 v3, v[1:2], off offset:128
	s_waitcnt vmcnt(0)
	v_mul_f32_e32 v4, 0xbfb8aa3b, v3
	s_delay_alu instid0(VALU_DEP_1) | instskip(SKIP_3) | instid1(VALU_DEP_2)
	v_cmp_gt_f32_e32 vcc_lo, 0xc2fc0000, v4
	v_cndmask_b32_e64 v5, 0, 0x42800000, vcc_lo
	v_cndmask_b32_e64 v4, 1.0, 0x1f800000, vcc_lo
	s_and_not1_b32 vcc_lo, exec_lo, s2
	v_fmac_f32_e32 v5, 0xbfb8aa3b, v3
	s_delay_alu instid0(VALU_DEP_1) | instskip(SKIP_2) | instid1(VALU_DEP_1)
	v_exp_f32_e32 v3, v5
	s_waitcnt_depctr 0xfff
	v_fma_f32 v3, v3, v4, 1.0
	v_rcp_f32_e32 v14, v3
	v_cndmask_b32_e64 v3, 0, 1, s2
	s_waitcnt_depctr 0xfff
	v_mov_b32_e32 v49, v14
	s_cbranch_vccnz .LBB8_4
; %bb.3:
	global_load_b32 v4, v183, s[6:7] offset:128
	s_waitcnt vmcnt(0)
	v_add_f32_e32 v49, v14, v4
.LBB8_4:
	global_load_b32 v4, v[1:2], off offset:256
	s_waitcnt vmcnt(0)
	v_mul_f32_e32 v5, 0xbfb8aa3b, v4
	s_delay_alu instid0(VALU_DEP_1) | instskip(SKIP_3) | instid1(VALU_DEP_3)
	v_cmp_gt_f32_e32 vcc_lo, 0xc2fc0000, v5
	v_cndmask_b32_e64 v6, 0, 0x42800000, vcc_lo
	v_cndmask_b32_e64 v5, 1.0, 0x1f800000, vcc_lo
	v_cmp_ne_u32_e32 vcc_lo, 1, v3
	v_fmac_f32_e32 v6, 0xbfb8aa3b, v4
	s_and_b32 vcc_lo, exec_lo, vcc_lo
	s_delay_alu instid0(VALU_DEP_1) | instskip(SKIP_2) | instid1(VALU_DEP_1)
	v_exp_f32_e32 v4, v6
	s_waitcnt_depctr 0xfff
	v_fma_f32 v4, v4, v5, 1.0
	v_rcp_f32_e32 v15, v4
	s_waitcnt_depctr 0xfff
	v_mov_b32_e32 v50, v15
	s_cbranch_vccnz .LBB8_6
; %bb.5:
	global_load_b32 v4, v183, s[6:7] offset:256
	s_waitcnt vmcnt(0)
	v_add_f32_e32 v50, v15, v4
.LBB8_6:
	global_load_b32 v4, v[1:2], off offset:384
	s_waitcnt vmcnt(0)
	v_mul_f32_e32 v5, 0xbfb8aa3b, v4
	s_delay_alu instid0(VALU_DEP_1) | instskip(SKIP_3) | instid1(VALU_DEP_3)
	v_cmp_gt_f32_e32 vcc_lo, 0xc2fc0000, v5
	v_cndmask_b32_e64 v6, 0, 0x42800000, vcc_lo
	v_cndmask_b32_e64 v5, 1.0, 0x1f800000, vcc_lo
	v_cmp_ne_u32_e32 vcc_lo, 1, v3
	v_fmac_f32_e32 v6, 0xbfb8aa3b, v4
	s_and_b32 vcc_lo, exec_lo, vcc_lo
	s_delay_alu instid0(VALU_DEP_1) | instskip(SKIP_2) | instid1(VALU_DEP_1)
	v_exp_f32_e32 v4, v6
	s_waitcnt_depctr 0xfff
	v_fma_f32 v4, v4, v5, 1.0
	v_rcp_f32_e32 v16, v4
	;; [unrolled: 23-line block ×9, first 2 shown]
	s_waitcnt_depctr 0xfff
	v_mov_b32_e32 v58, v23
	s_cbranch_vccnz .LBB8_22
; %bb.21:
	global_load_b32 v4, v183, s[6:7] offset:1280
	s_waitcnt vmcnt(0)
	v_add_f32_e32 v58, v23, v4
.LBB8_22:
	global_load_b32 v1, v[1:2], off offset:1408
	s_waitcnt vmcnt(0)
	v_mul_f32_e32 v2, 0xbfb8aa3b, v1
	s_delay_alu instid0(VALU_DEP_1) | instskip(SKIP_3) | instid1(VALU_DEP_3)
	v_cmp_gt_f32_e32 vcc_lo, 0xc2fc0000, v2
	v_cndmask_b32_e64 v4, 0, 0x42800000, vcc_lo
	v_cndmask_b32_e64 v2, 1.0, 0x1f800000, vcc_lo
	v_cmp_ne_u32_e32 vcc_lo, 1, v3
	v_fmac_f32_e32 v4, 0xbfb8aa3b, v1
	s_delay_alu instid0(VALU_DEP_1) | instskip(SKIP_2) | instid1(VALU_DEP_1)
	v_exp_f32_e32 v1, v4
	s_waitcnt_depctr 0xfff
	v_fma_f32 v1, v1, v2, 1.0
	v_rcp_f32_e32 v24, v1
	s_cbranch_vccnz .LBB8_24
; %bb.23:
	global_load_b32 v1, v183, s[6:7] offset:1408
	s_waitcnt vmcnt(0)
	v_add_f32_e32 v59, v24, v1
	s_branch .LBB8_25
.LBB8_24:
	s_waitcnt_depctr 0xfff
	v_mov_b32_e32 v59, v24
.LBB8_25:
	v_dual_mov_b32 v1, v48 :: v_dual_add_nc_u32 v26, 32, v0
	v_dual_mov_b32 v2, v49 :: v_dual_add_nc_u32 v27, 64, v0
	;; [unrolled: 1-line block ×11, first 2 shown]
	v_dual_mov_b32 v12, v59 :: v_dual_mov_b32 v13, v37
	v_mov_b32_e32 v25, v0
	s_mov_b32 s2, exec_lo
	v_cmpx_lt_f32_e32 v48, v49
	s_xor_b32 s2, exec_lo, s2
; %bb.26:
	v_dual_mov_b32 v1, v49 :: v_dual_mov_b32 v2, v48
	v_dual_mov_b32 v3, v50 :: v_dual_mov_b32 v4, v51
	;; [unrolled: 1-line block ×6, first 2 shown]
	v_mov_b32_e32 v49, v48
	v_dual_mov_b32 v13, v14 :: v_dual_mov_b32 v14, v37
	v_dual_mov_b32 v25, v26 :: v_dual_mov_b32 v26, v0
; %bb.27:
	s_or_b32 exec_lo, exec_lo, s2
	v_dual_mov_b32 v122, v24 :: v_dual_mov_b32 v119, v21
	v_dual_mov_b32 v86, v24 :: v_dual_mov_b32 v85, v23
	;; [unrolled: 1-line block ×37, first 2 shown]
	s_clause 0x8
	scratch_store_b128 off, v[13:16], off
	scratch_store_b128 off, v[17:20], off offset:16
	scratch_store_b128 off, v[21:24], off offset:32
	;; [unrolled: 1-line block ×8, first 2 shown]
	v_dual_mov_b32 v72, v34 :: v_dual_mov_b32 v69, v31
	v_dual_mov_b32 v70, v32 :: v_dual_mov_b32 v67, v29
	;; [unrolled: 1-line block ×29, first 2 shown]
	v_mov_b32_e32 v160, v26
	s_clause 0x2
	scratch_store_b128 off, v[25:28], off offset:144
	scratch_store_b128 off, v[29:32], off offset:160
	;; [unrolled: 1-line block ×3, first 2 shown]
	s_mov_b32 s2, exec_lo
	v_dual_mov_b32 v182, v36 :: v_dual_mov_b32 v179, v33
	v_dual_mov_b32 v181, v35 :: v_dual_mov_b32 v180, v34
	;; [unrolled: 1-line block ×6, first 2 shown]
	v_cmpx_lt_f32_e32 v49, v3
	s_cbranch_execz .LBB8_29
; %bb.28:
	v_dual_mov_b32 v182, v36 :: v_dual_mov_b32 v179, v33
	v_dual_mov_b32 v174, v28 :: v_dual_mov_b32 v171, v25
	v_dual_mov_b32 v176, v30 :: v_dual_mov_b32 v173, v27
	v_mov_b32_e32 v172, v26
	v_dual_mov_b32 v62, v49 :: v_dual_mov_b32 v181, v35
	v_dual_mov_b32 v180, v34 :: v_dual_mov_b32 v177, v31
	;; [unrolled: 1-line block ×11, first 2 shown]
	v_mov_b32_e32 v125, v14
	v_dual_mov_b32 v162, v174 :: v_dual_mov_b32 v163, v175
	v_dual_mov_b32 v164, v176 :: v_dual_mov_b32 v165, v177
	;; [unrolled: 1-line block ×5, first 2 shown]
	v_mov_b32_e32 v162, v28
	v_dual_mov_b32 v170, v182 :: v_dual_mov_b32 v37, v159
	s_clause 0x2
	scratch_store_b128 off, v[123:126], off offset:96
	scratch_store_b128 off, v[127:130], off offset:112
	;; [unrolled: 1-line block ×3, first 2 shown]
	v_dual_mov_b32 v42, v164 :: v_dual_mov_b32 v47, v169
	v_dual_mov_b32 v126, v16 :: v_dual_mov_b32 v45, v167
	;; [unrolled: 1-line block ×5, first 2 shown]
	v_mov_b32_e32 v38, v160
	v_mov_b32_e32 v40, v162
	s_clause 0x2
	scratch_store_b128 off, v[37:40], off offset:144
	scratch_store_b128 off, v[41:44], off offset:160
	scratch_store_b128 off, v[45:48], off offset:176
	v_dual_mov_b32 v2, v3 :: v_dual_mov_b32 v3, v49
	v_mov_b32_e32 v147, v159
	v_mov_b32_e32 v127, v17
	;; [unrolled: 1-line block ×3, first 2 shown]
	v_dual_mov_b32 v151, v163 :: v_dual_mov_b32 v148, v160
	v_dual_mov_b32 v153, v165 :: v_dual_mov_b32 v152, v164
	;; [unrolled: 1-line block ×3, first 2 shown]
	v_mov_b32_e32 v158, v170
	v_dual_mov_b32 v150, v162 :: v_dual_mov_b32 v155, v167
	v_mov_b32_e32 v156, v168
	v_mov_b32_e32 v152, v30
	;; [unrolled: 1-line block ×3, first 2 shown]
	v_dual_mov_b32 v27, v26 :: v_dual_mov_b32 v42, v128
	v_mov_b32_e32 v37, v123
	v_dual_mov_b32 v43, v129 :: v_dual_mov_b32 v44, v130
	v_mov_b32_e32 v39, v125
	v_dual_mov_b32 v45, v131 :: v_dual_mov_b32 v46, v132
	v_dual_mov_b32 v47, v133 :: v_dual_mov_b32 v48, v134
	v_mov_b32_e32 v38, v124
	v_mov_b32_e32 v40, v126
	s_clause 0x2
	scratch_store_b128 off, v[37:40], off offset:48
	scratch_store_b128 off, v[41:44], off offset:64
	;; [unrolled: 1-line block ×3, first 2 shown]
	v_mov_b32_e32 v37, v123
	v_mov_b32_e32 v39, v125
	v_dual_mov_b32 v41, v127 :: v_dual_mov_b32 v38, v124
	v_mov_b32_e32 v99, v147
	v_mov_b32_e32 v105, v153
	v_dual_mov_b32 v105, v31 :: v_dual_mov_b32 v106, v154
	v_dual_mov_b32 v40, v126 :: v_dual_mov_b32 v101, v149
	;; [unrolled: 1-line block ×3, first 2 shown]
	v_mov_b32_e32 v110, v158
	v_mov_b32_e32 v50, v123
	v_dual_mov_b32 v100, v148 :: v_dual_mov_b32 v107, v155
	v_dual_mov_b32 v102, v150 :: v_dual_mov_b32 v109, v157
	;; [unrolled: 1-line block ×7, first 2 shown]
	v_mov_b32_e32 v58, v131
	v_mov_b32_e32 v56, v19
	s_clause 0x2
	scratch_store_b128 off, v[37:40], off
	scratch_store_b128 off, v[41:44], off offset:16
	scratch_store_b128 off, v[45:48], off offset:32
	v_dual_mov_b32 v60, v133 :: v_dual_mov_b32 v55, v128
	v_mov_b32_e32 v37, v99
	v_mov_b32_e32 v41, v103
	;; [unrolled: 1-line block ×3, first 2 shown]
	v_dual_mov_b32 v43, v105 :: v_dual_mov_b32 v48, v110
	v_dual_mov_b32 v38, v100 :: v_dual_mov_b32 v45, v107
	v_mov_b32_e32 v44, v106
	v_dual_mov_b32 v122, v61 :: v_dual_mov_b32 v113, v52
	v_dual_mov_b32 v40, v102 :: v_dual_mov_b32 v47, v109
	;; [unrolled: 1-line block ×7, first 2 shown]
	v_mov_b32_e32 v114, v53
	v_mov_b32_e32 v116, v55
	v_mov_b32_e32 v112, v51
	v_mov_b32_e32 v118, v20
	v_dual_mov_b32 v98, v48 :: v_dual_mov_b32 v95, v45
	v_mov_b32_e32 v95, v33
	v_mov_b32_e32 v93, v43
	v_mov_b32_e32 v91, v41
	v_mov_b32_e32 v89, v39
	v_dual_mov_b32 v87, v37 :: v_dual_mov_b32 v146, v122
	v_dual_mov_b32 v137, v113 :: v_dual_mov_b32 v96, v46
	;; [unrolled: 1-line block ×3, first 2 shown]
	v_mov_b32_e32 v135, v111
	v_dual_mov_b32 v97, v47 :: v_dual_mov_b32 v94, v44
	v_dual_mov_b32 v92, v42 :: v_dual_mov_b32 v143, v119
	;; [unrolled: 1-line block ×4, first 2 shown]
	v_mov_b32_e32 v138, v114
	v_dual_mov_b32 v142, v118 :: v_dual_mov_b32 v143, v21
	v_dual_mov_b32 v140, v116 :: v_dual_mov_b32 v63, v87
	;; [unrolled: 1-line block ×8, first 2 shown]
	v_mov_b32_e32 v86, v146
	v_dual_mov_b32 v64, v88 :: v_dual_mov_b32 v69, v93
	v_dual_mov_b32 v66, v90 :: v_dual_mov_b32 v71, v95
	;; [unrolled: 1-line block ×7, first 2 shown]
	v_mov_b32_e32 v82, v142
	v_mov_b32_e32 v84, v22
	;; [unrolled: 1-line block ×3, first 2 shown]
.LBB8_29:
	s_or_b32 exec_lo, exec_lo, s2
	v_mov_b32_e32 v13, v4
	s_mov_b32 s2, exec_lo
	v_cmpx_lt_f32_e32 v62, v4
	s_cbranch_execz .LBB8_31
; %bb.30:
	s_clause 0x2
	scratch_load_b128 v[37:40], off, off offset:96
	scratch_load_b128 v[41:44], off, off offset:112
	;; [unrolled: 1-line block ×3, first 2 shown]
	v_dual_mov_b32 v173, v28 :: v_dual_mov_b32 v28, v27
	v_mov_b32_e32 v3, v4
	s_waitcnt vmcnt(0)
	v_dual_mov_b32 v13, v62 :: v_dual_mov_b32 v134, v48
	v_dual_mov_b32 v133, v47 :: v_dual_mov_b32 v124, v38
	;; [unrolled: 1-line block ×3, first 2 shown]
	v_mov_b32_e32 v125, v16
	v_dual_mov_b32 v159, v171 :: v_dual_mov_b32 v160, v172
	s_delay_alu instid0(VALU_DEP_3) | instskip(NEXT) | instid1(VALU_DEP_3)
	v_dual_mov_b32 v162, v174 :: v_dual_mov_b32 v37, v123
	v_dual_mov_b32 v38, v124 :: v_dual_mov_b32 v39, v125
	v_dual_mov_b32 v127, v41 :: v_dual_mov_b32 v126, v40
	v_dual_mov_b32 v131, v45 :: v_dual_mov_b32 v130, v44
	v_dual_mov_b32 v129, v43 :: v_dual_mov_b32 v128, v42
	v_mov_b32_e32 v126, v15
	s_clause 0x2
	scratch_store_b128 off, v[37:40], off offset:96
	scratch_store_b128 off, v[41:44], off offset:112
	;; [unrolled: 1-line block ×3, first 2 shown]
	v_dual_mov_b32 v161, v173 :: v_dual_mov_b32 v164, v176
	v_dual_mov_b32 v167, v179 :: v_dual_mov_b32 v170, v182
	;; [unrolled: 1-line block ×5, first 2 shown]
	s_delay_alu instid0(VALU_DEP_2) | instskip(SKIP_2) | instid1(VALU_DEP_4)
	v_dual_mov_b32 v42, v164 :: v_dual_mov_b32 v43, v165
	v_dual_mov_b32 v48, v170 :: v_dual_mov_b32 v37, v159
	;; [unrolled: 1-line block ×6, first 2 shown]
	s_clause 0x2
	scratch_store_b128 off, v[37:40], off offset:144
	scratch_store_b128 off, v[41:44], off offset:160
	;; [unrolled: 1-line block ×3, first 2 shown]
	v_dual_mov_b32 v42, v128 :: v_dual_mov_b32 v43, v129
	v_dual_mov_b32 v48, v134 :: v_dual_mov_b32 v37, v123
	;; [unrolled: 1-line block ×6, first 2 shown]
	s_clause 0x2
	scratch_store_b128 off, v[37:40], off offset:48
	scratch_store_b128 off, v[41:44], off offset:64
	;; [unrolled: 1-line block ×3, first 2 shown]
	v_dual_mov_b32 v147, v159 :: v_dual_mov_b32 v148, v160
	v_dual_mov_b32 v151, v163 :: v_dual_mov_b32 v152, v164
	;; [unrolled: 1-line block ×10, first 2 shown]
	s_delay_alu instid0(VALU_DEP_4)
	v_dual_mov_b32 v106, v154 :: v_dual_mov_b32 v107, v155
	v_mov_b32_e32 v110, v158
	v_dual_mov_b32 v100, v148 :: v_dual_mov_b32 v101, v149
	v_dual_mov_b32 v104, v152 :: v_dual_mov_b32 v105, v153
	;; [unrolled: 1-line block ×5, first 2 shown]
	v_mov_b32_e32 v61, v134
	s_clause 0x2
	scratch_store_b128 off, v[37:40], off
	scratch_store_b128 off, v[41:44], off offset:16
	scratch_store_b128 off, v[45:48], off offset:32
	v_dual_mov_b32 v54, v127 :: v_dual_mov_b32 v55, v128
	v_dual_mov_b32 v56, v129 :: v_dual_mov_b32 v57, v130
	;; [unrolled: 1-line block ×8, first 2 shown]
	v_mov_b32_e32 v48, v110
	v_mov_b32_e32 v44, v32
	v_dual_mov_b32 v42, v104 :: v_dual_mov_b32 v43, v105
	v_dual_mov_b32 v46, v108 :: v_dual_mov_b32 v47, v109
	;; [unrolled: 1-line block ×9, first 2 shown]
	v_mov_b32_e32 v114, v53
	v_mov_b32_e32 v112, v51
	v_dual_mov_b32 v98, v48 :: v_dual_mov_b32 v91, v41
	v_dual_mov_b32 v94, v44 :: v_dual_mov_b32 v87, v37
	;; [unrolled: 1-line block ×3, first 2 shown]
	v_mov_b32_e32 v89, v39
	v_mov_b32_e32 v95, v45
	v_dual_mov_b32 v93, v43 :: v_dual_mov_b32 v146, v122
	v_dual_mov_b32 v143, v119 :: v_dual_mov_b32 v140, v116
	;; [unrolled: 1-line block ×15, first 2 shown]
	v_mov_b32_e32 v86, v146
	v_dual_mov_b32 v64, v88 :: v_dual_mov_b32 v65, v89
	v_dual_mov_b32 v66, v90 :: v_dual_mov_b32 v67, v91
	;; [unrolled: 1-line block ×8, first 2 shown]
	v_mov_b32_e32 v84, v22
	v_mov_b32_e32 v86, v24
.LBB8_31:
	s_or_b32 exec_lo, exec_lo, s2
	v_mov_b32_e32 v14, v5
	s_mov_b32 s2, exec_lo
	v_cmpx_lt_f32_e32 v13, v5
	s_cbranch_execz .LBB8_33
; %bb.32:
	s_clause 0x2
	scratch_load_b128 v[37:40], off, off offset:96
	scratch_load_b128 v[41:44], off, off offset:112
	;; [unrolled: 1-line block ×3, first 2 shown]
	v_mov_b32_e32 v174, v29
	v_mov_b32_e32 v14, v13
	;; [unrolled: 1-line block ×3, first 2 shown]
	v_dual_mov_b32 v17, v16 :: v_dual_mov_b32 v4, v5
	v_mov_b32_e32 v29, v28
	s_waitcnt vmcnt(0)
	v_dual_mov_b32 v73, v48 :: v_dual_mov_b32 v64, v39
	v_dual_mov_b32 v70, v45 :: v_dual_mov_b32 v69, v44
	;; [unrolled: 1-line block ×18, first 2 shown]
	v_mov_b32_e32 v127, v16
	v_dual_mov_b32 v147, v159 :: v_dual_mov_b32 v148, v160
	v_dual_mov_b32 v149, v161 :: v_dual_mov_b32 v152, v164
	;; [unrolled: 1-line block ×19, first 2 shown]
	v_mov_b32_e32 v61, v134
	s_clause 0x2
	scratch_store_b128 off, v[37:40], off
	scratch_store_b128 off, v[41:44], off offset:16
	scratch_store_b128 off, v[45:48], off offset:32
	v_dual_mov_b32 v53, v126 :: v_dual_mov_b32 v54, v127
	v_dual_mov_b32 v101, v149 :: v_dual_mov_b32 v102, v150
	;; [unrolled: 1-line block ×10, first 2 shown]
	v_mov_b32_e32 v46, v108
	v_dual_mov_b32 v122, v61 :: v_dual_mov_b32 v121, v60
	v_dual_mov_b32 v43, v105 :: v_dual_mov_b32 v44, v106
	;; [unrolled: 1-line block ×8, first 2 shown]
	v_mov_b32_e32 v112, v51
	v_mov_b32_e32 v118, v20
	v_dual_mov_b32 v98, v48 :: v_dual_mov_b32 v93, v43
	v_dual_mov_b32 v92, v42 :: v_dual_mov_b32 v87, v37
	v_mov_b32_e32 v97, v47
	v_dual_mov_b32 v95, v45 :: v_dual_mov_b32 v146, v122
	v_dual_mov_b32 v143, v119 :: v_dual_mov_b32 v138, v114
	;; [unrolled: 1-line block ×7, first 2 shown]
	v_mov_b32_e32 v89, v39
	s_clause 0x5
	scratch_store_b128 off, v[62:65], off offset:48
	scratch_store_b128 off, v[66:69], off offset:64
	;; [unrolled: 1-line block ×6, first 2 shown]
	v_dual_mov_b32 v142, v118 :: v_dual_mov_b32 v139, v115
	v_dual_mov_b32 v140, v116 :: v_dual_mov_b32 v137, v113
	;; [unrolled: 1-line block ×17, first 2 shown]
	v_mov_b32_e32 v84, v22
	v_mov_b32_e32 v86, v24
.LBB8_33:
	s_or_b32 exec_lo, exec_lo, s2
	v_mov_b32_e32 v13, v6
	s_mov_b32 s2, exec_lo
	v_cmpx_lt_f32_e32 v14, v6
	s_cbranch_execz .LBB8_35
; %bb.34:
	s_clause 0x2
	scratch_load_b128 v[37:40], off, off offset:144
	scratch_load_b128 v[41:44], off, off offset:160
	;; [unrolled: 1-line block ×3, first 2 shown]
	v_mov_b32_e32 v5, v6
	s_waitcnt vmcnt(0)
	v_dual_mov_b32 v13, v14 :: v_dual_mov_b32 v170, v48
	v_dual_mov_b32 v169, v47 :: v_dual_mov_b32 v162, v40
	;; [unrolled: 1-line block ×6, first 2 shown]
	s_clause 0x2
	scratch_load_b128 v[37:40], off, off offset:48
	scratch_load_b128 v[41:44], off, off offset:64
	;; [unrolled: 1-line block ×3, first 2 shown]
	v_dual_mov_b32 v163, v30 :: v_dual_mov_b32 v30, v29
	s_waitcnt vmcnt(0)
	v_dual_mov_b32 v73, v48 :: v_dual_mov_b32 v72, v47
	v_dual_mov_b32 v65, v40 :: v_dual_mov_b32 v62, v37
	v_mov_b32_e32 v63, v38
	v_dual_mov_b32 v67, v42 :: v_dual_mov_b32 v64, v39
	v_dual_mov_b32 v71, v46 :: v_dual_mov_b32 v70, v45
	;; [unrolled: 1-line block ×4, first 2 shown]
	v_mov_b32_e32 v148, v160
	v_dual_mov_b32 v134, v73 :: v_dual_mov_b32 v133, v72
	v_dual_mov_b32 v124, v63 :: v_dual_mov_b32 v123, v62
	;; [unrolled: 1-line block ×11, first 2 shown]
	v_mov_b32_e32 v128, v17
	v_mov_b32_e32 v152, v29
	v_dual_mov_b32 v50, v123 :: v_dual_mov_b32 v51, v124
	v_mov_b32_e32 v99, v147
	s_delay_alu instid0(VALU_DEP_3)
	v_dual_mov_b32 v53, v126 :: v_dual_mov_b32 v104, v152
	v_dual_mov_b32 v105, v153 :: v_dual_mov_b32 v100, v148
	;; [unrolled: 1-line block ×7, first 2 shown]
	v_mov_b32_e32 v57, v130
	v_dual_mov_b32 v102, v150 :: v_dual_mov_b32 v103, v151
	v_dual_mov_b32 v108, v156 :: v_dual_mov_b32 v109, v157
	;; [unrolled: 1-line block ×3, first 2 shown]
	v_mov_b32_e32 v58, v131
	v_mov_b32_e32 v56, v19
	v_dual_mov_b32 v37, v99 :: v_dual_mov_b32 v38, v100
	v_mov_b32_e32 v39, v101
	v_dual_mov_b32 v43, v105 :: v_dual_mov_b32 v48, v110
	s_delay_alu instid0(VALU_DEP_4)
	v_dual_mov_b32 v122, v61 :: v_dual_mov_b32 v117, v56
	v_dual_mov_b32 v42, v104 :: v_dual_mov_b32 v45, v107
	;; [unrolled: 1-line block ×9, first 2 shown]
	v_mov_b32_e32 v118, v20
	v_mov_b32_e32 v44, v32
	;; [unrolled: 1-line block ×3, first 2 shown]
	v_dual_mov_b32 v98, v48 :: v_dual_mov_b32 v95, v45
	v_dual_mov_b32 v146, v122 :: v_dual_mov_b32 v145, v121
	s_delay_alu instid0(VALU_DEP_4)
	v_dual_mov_b32 v94, v44 :: v_dual_mov_b32 v87, v37
	v_dual_mov_b32 v97, v47 :: v_dual_mov_b32 v144, v120
	;; [unrolled: 1-line block ×5, first 2 shown]
	v_mov_b32_e32 v93, v43
	v_dual_mov_b32 v91, v41 :: v_dual_mov_b32 v90, v40
	v_dual_mov_b32 v141, v117 :: v_dual_mov_b32 v88, v38
	;; [unrolled: 1-line block ×6, first 2 shown]
	s_clause 0x2
	scratch_store_b128 off, v[62:65], off
	scratch_store_b128 off, v[66:69], off offset:16
	scratch_store_b128 off, v[70:73], off offset:32
	v_dual_mov_b32 v63, v87 :: v_dual_mov_b32 v74, v98
	v_dual_mov_b32 v75, v135 :: v_dual_mov_b32 v72, v96
	;; [unrolled: 1-line block ×14, first 2 shown]
	v_mov_b32_e32 v84, v22
	v_mov_b32_e32 v86, v24
	;; [unrolled: 1-line block ×3, first 2 shown]
.LBB8_35:
	s_or_b32 exec_lo, exec_lo, s2
	v_mov_b32_e32 v14, v7
	s_mov_b32 s2, exec_lo
	v_cmpx_lt_f32_e32 v13, v7
	s_cbranch_execz .LBB8_37
; %bb.36:
	s_clause 0x2
	scratch_load_b128 v[37:40], off, off
	scratch_load_b128 v[41:44], off, off offset:16
	scratch_load_b128 v[45:48], off, off offset:32
	v_mov_b32_e32 v164, v31
	v_dual_mov_b32 v14, v13 :: v_dual_mov_b32 v31, v30
	s_waitcnt vmcnt(0)
	v_dual_mov_b32 v134, v48 :: v_dual_mov_b32 v133, v47
	v_dual_mov_b32 v130, v44 :: v_dual_mov_b32 v127, v41
	;; [unrolled: 1-line block ×5, first 2 shown]
	v_mov_b32_e32 v125, v39
	v_dual_mov_b32 v99, v159 :: v_dual_mov_b32 v100, v160
	v_dual_mov_b32 v128, v19 :: v_dual_mov_b32 v101, v161
	v_mov_b32_e32 v110, v170
	v_dual_mov_b32 v50, v123 :: v_dual_mov_b32 v53, v126
	v_dual_mov_b32 v106, v166 :: v_dual_mov_b32 v107, v167
	;; [unrolled: 1-line block ×19, first 2 shown]
	v_mov_b32_e32 v47, v109
	v_dual_mov_b32 v114, v53 :: v_dual_mov_b32 v111, v50
	v_mov_b32_e32 v118, v20
	v_dual_mov_b32 v120, v59 :: v_dual_mov_b32 v117, v56
	v_dual_mov_b32 v116, v55 :: v_dual_mov_b32 v113, v52
	v_mov_b32_e32 v44, v32
	v_mov_b32_e32 v112, v51
	v_dual_mov_b32 v98, v48 :: v_dual_mov_b32 v95, v45
	v_dual_mov_b32 v146, v122 :: v_dual_mov_b32 v145, v121
	;; [unrolled: 1-line block ×8, first 2 shown]
	v_mov_b32_e32 v89, v39
	v_dual_mov_b32 v93, v43 :: v_dual_mov_b32 v88, v38
	v_dual_mov_b32 v141, v117 :: v_dual_mov_b32 v140, v116
	v_mov_b32_e32 v95, v33
	v_dual_mov_b32 v139, v115 :: v_dual_mov_b32 v138, v114
	v_dual_mov_b32 v143, v21 :: v_dual_mov_b32 v136, v112
	;; [unrolled: 1-line block ×24, first 2 shown]
	v_mov_b32_e32 v158, v170
.LBB8_37:
	s_or_b32 exec_lo, exec_lo, s2
	v_mov_b32_e32 v13, v8
	s_mov_b32 s2, exec_lo
	v_cmpx_lt_f32_e32 v14, v8
	s_cbranch_execz .LBB8_39
; %bb.38:
	v_mov_b32_e32 v129, v20
	v_mov_b32_e32 v153, v32
	v_dual_mov_b32 v111, v123 :: v_dual_mov_b32 v114, v126
	v_dual_mov_b32 v37, v147 :: v_dual_mov_b32 v38, v148
	v_dual_mov_b32 v45, v155 :: v_dual_mov_b32 v48, v158
	v_dual_mov_b32 v40, v150 :: v_dual_mov_b32 v117, v129
	v_dual_mov_b32 v122, v134 :: v_dual_mov_b32 v41, v151
	v_dual_mov_b32 v44, v154 :: v_dual_mov_b32 v47, v157
	v_dual_mov_b32 v112, v124 :: v_dual_mov_b32 v113, v125
	v_dual_mov_b32 v118, v130 :: v_dual_mov_b32 v39, v149
	v_dual_mov_b32 v42, v152 :: v_dual_mov_b32 v43, v153
	v_dual_mov_b32 v46, v156 :: v_dual_mov_b32 v115, v127
	v_mov_b32_e32 v120, v132
	v_dual_mov_b32 v116, v128 :: v_dual_mov_b32 v121, v133
	v_mov_b32_e32 v44, v31
	v_dual_mov_b32 v119, v131 :: v_dual_mov_b32 v98, v48
	v_dual_mov_b32 v118, v19 :: v_dual_mov_b32 v95, v45
	;; [unrolled: 1-line block ×13, first 2 shown]
	v_mov_b32_e32 v95, v33
	v_dual_mov_b32 v7, v8 :: v_dual_mov_b32 v8, v14
	v_mov_b32_e32 v143, v21
	v_dual_mov_b32 v63, v87 :: v_dual_mov_b32 v68, v92
	v_dual_mov_b32 v64, v88 :: v_dual_mov_b32 v75, v135
	v_dual_mov_b32 v80, v140 :: v_dual_mov_b32 v67, v91
	v_dual_mov_b32 v72, v96 :: v_dual_mov_b32 v69, v93
	v_dual_mov_b32 v74, v98 :: v_dual_mov_b32 v73, v97
	v_dual_mov_b32 v78, v138 :: v_dual_mov_b32 v79, v139
	v_dual_mov_b32 v84, v144 :: v_dual_mov_b32 v81, v141
	v_dual_mov_b32 v86, v146 :: v_dual_mov_b32 v85, v145
	v_mov_b32_e32 v74, v36
	v_dual_mov_b32 v50, v123 :: v_dual_mov_b32 v51, v124
	v_dual_mov_b32 v99, v147 :: v_dual_mov_b32 v100, v148
	v_dual_mov_b32 v65, v89 :: v_dual_mov_b32 v70, v94
	v_dual_mov_b32 v66, v90 :: v_dual_mov_b32 v71, v95
	v_dual_mov_b32 v76, v136 :: v_dual_mov_b32 v77, v137
	v_dual_mov_b32 v82, v142 :: v_dual_mov_b32 v83, v143
	v_dual_mov_b32 v72, v34 :: v_dual_mov_b32 v73, v35
	;; [unrolled: 9-line block ×3, first 2 shown]
	v_dual_mov_b32 v105, v153 :: v_dual_mov_b32 v106, v154
	v_dual_mov_b32 v107, v155 :: v_dual_mov_b32 v108, v156
	;; [unrolled: 1-line block ×4, first 2 shown]
	v_mov_b32_e32 v32, v31
.LBB8_39:
	s_or_b32 exec_lo, exec_lo, s2
	v_mov_b32_e32 v14, v9
	s_mov_b32 s2, exec_lo
	v_cmpx_lt_f32_e32 v13, v9
	s_cbranch_execz .LBB8_41
; %bb.40:
	v_mov_b32_e32 v57, v21
	v_mov_b32_e32 v106, v33
	v_dual_mov_b32 v146, v61 :: v_dual_mov_b32 v145, v60
	v_dual_mov_b32 v87, v99 :: v_dual_mov_b32 v90, v102
	v_mov_b32_e32 v88, v100
	v_dual_mov_b32 v136, v51 :: v_dual_mov_b32 v135, v50
	v_dual_mov_b32 v91, v103 :: v_dual_mov_b32 v94, v106
	;; [unrolled: 1-line block ×7, first 2 shown]
	v_mov_b32_e32 v139, v54
	v_dual_mov_b32 v89, v101 :: v_dual_mov_b32 v92, v104
	v_dual_mov_b32 v138, v53 :: v_dual_mov_b32 v137, v52
	;; [unrolled: 1-line block ×3, first 2 shown]
	v_mov_b32_e32 v143, v20
	s_delay_alu instid0(VALU_DEP_4)
	v_dual_mov_b32 v63, v87 :: v_dual_mov_b32 v68, v92
	v_dual_mov_b32 v66, v90 :: v_dual_mov_b32 v75, v135
	;; [unrolled: 1-line block ×8, first 2 shown]
	v_mov_b32_e32 v74, v36
	v_dual_mov_b32 v122, v61 :: v_dual_mov_b32 v121, v60
	v_dual_mov_b32 v37, v99 :: v_dual_mov_b32 v38, v100
	;; [unrolled: 1-line block ×20, first 2 shown]
	v_mov_b32_e32 v33, v32
.LBB8_41:
	s_or_b32 exec_lo, exec_lo, s2
	v_mov_b32_e32 v15, v10
	s_mov_b32 s2, exec_lo
	v_cmpx_lt_f32_e32 v14, v10
	s_cbranch_execz .LBB8_43
; %bb.42:
	v_mov_b32_e32 v45, v34
	v_dual_mov_b32 v9, v10 :: v_dual_mov_b32 v74, v48
	v_mov_b32_e32 v72, v46
	v_mov_b32_e32 v72, v33
	s_delay_alu instid0(VALU_DEP_4) | instskip(SKIP_4) | instid1(VALU_DEP_4)
	v_mov_b32_e32 v71, v45
	v_dual_mov_b32 v119, v22 :: v_dual_mov_b32 v70, v44
	v_dual_mov_b32 v75, v111 :: v_dual_mov_b32 v78, v114
	;; [unrolled: 1-line block ×27, first 2 shown]
	v_mov_b32_e32 v34, v33
.LBB8_43:
	s_or_b32 exec_lo, exec_lo, s2
	v_mov_b32_e32 v13, v11
	s_mov_b32 s2, exec_lo
	v_cmpx_lt_f32_e32 v15, v11
	s_cbranch_execz .LBB8_45
; %bb.44:
	v_dual_mov_b32 v144, v23 :: v_dual_mov_b32 v145, v22
	v_dual_mov_b32 v96, v35 :: v_dual_mov_b32 v97, v34
	v_mov_b32_e32 v146, v24
	v_mov_b32_e32 v10, v11
	v_dual_mov_b32 v11, v15 :: v_dual_mov_b32 v98, v36
	v_dual_mov_b32 v75, v135 :: v_dual_mov_b32 v84, v144
	;; [unrolled: 1-line block ×3, first 2 shown]
	v_mov_b32_e32 v79, v139
	v_dual_mov_b32 v77, v137 :: v_dual_mov_b32 v78, v138
	v_dual_mov_b32 v81, v141 :: v_dual_mov_b32 v80, v140
	v_dual_mov_b32 v83, v143 :: v_dual_mov_b32 v82, v142
	v_dual_mov_b32 v85, v145 :: v_dual_mov_b32 v86, v146
	v_dual_mov_b32 v65, v89 :: v_dual_mov_b32 v64, v88
	v_dual_mov_b32 v67, v91 :: v_dual_mov_b32 v66, v90
	v_dual_mov_b32 v69, v93 :: v_dual_mov_b32 v68, v92
	v_dual_mov_b32 v71, v95 :: v_dual_mov_b32 v70, v94
	v_dual_mov_b32 v73, v97 :: v_dual_mov_b32 v72, v96
	v_dual_mov_b32 v13, v15 :: v_dual_mov_b32 v74, v98
.LBB8_45:
	s_or_b32 exec_lo, exec_lo, s2
	s_delay_alu instid0(VALU_DEP_1)
	v_cmp_lt_f32_e32 vcc_lo, v13, v12
	v_cmp_lt_f32_e64 s2, v1, v2
	v_dual_mov_b32 v40, v76 :: v_dual_mov_b32 v41, v77
	v_dual_mov_b32 v43, v79 :: v_dual_mov_b32 v44, v80
	v_dual_cndmask_b32 v23, v12, v13 :: v_dual_mov_b32 v42, v78
	v_dual_cndmask_b32 v11, v11, v12 :: v_dual_cndmask_b32 v62, v74, v73
	s_delay_alu instid0(VALU_DEP_2) | instskip(SKIP_3) | instid1(VALU_DEP_4)
	v_dual_cndmask_b32 v49, v85, v86 :: v_dual_mov_b32 v12, v23
	v_dual_cndmask_b32 v61, v73, v74 :: v_dual_cndmask_b32 v50, v86, v85
	v_mov_b32_e32 v39, v75
	v_dual_mov_b32 v45, v81 :: v_dual_mov_b32 v48, v84
	v_dual_mov_b32 v38, v12 :: v_dual_mov_b32 v37, v11
	;; [unrolled: 1-line block ×13, first 2 shown]
	s_and_saveexec_b32 s3, s2
	s_delay_alu instid0(SALU_CYCLE_1)
	s_xor_b32 s2, exec_lo, s3
	s_cbranch_execz .LBB8_47
; %bb.46:
	v_dual_mov_b32 v12, v2 :: v_dual_mov_b32 v13, v1
	v_dual_mov_b32 v14, v3 :: v_dual_mov_b32 v15, v4
	;; [unrolled: 1-line block ×6, first 2 shown]
	s_delay_alu instid0(VALU_DEP_2) | instskip(NEXT) | instid1(VALU_DEP_2)
	v_dual_mov_b32 v38, v23 :: v_dual_mov_b32 v35, v20
	v_dual_mov_b32 v36, v21 :: v_dual_mov_b32 v37, v22
	;; [unrolled: 1-line block ×15, first 2 shown]
	v_mov_b32_e32 v58, v70
	v_mov_b32_e32 v60, v72
.LBB8_47:
	s_or_b32 exec_lo, exec_lo, s2
	v_dual_mov_b32 v1, v29 :: v_dual_mov_b32 v122, v50
	v_dual_mov_b32 v15, v39 :: v_dual_mov_b32 v16, v40
	;; [unrolled: 1-line block ×30, first 2 shown]
	v_mov_b32_e32 v135, v39
	s_clause 0x2
	scratch_store_b128 off, v[39:42], off offset:48
	scratch_store_b128 off, v[43:46], off offset:64
	;; [unrolled: 1-line block ×3, first 2 shown]
	v_dual_mov_b32 v3, v51 :: v_dual_mov_b32 v6, v54
	v_dual_mov_b32 v13, v61 :: v_dual_mov_b32 v74, v62
	;; [unrolled: 1-line block ×34, first 2 shown]
	v_mov_b32_e32 v159, v51
	s_mov_b32 s2, exec_lo
	v_dual_mov_b32 v73, v61 :: v_dual_mov_b32 v72, v60
	v_mov_b32_e32 v4, v52
	s_clause 0x2
	scratch_store_b128 off, v[51:54], off
	scratch_store_b128 off, v[55:58], off offset:16
	scratch_store_b128 off, v[59:62], off offset:32
	v_dual_mov_b32 v182, v50 :: v_dual_mov_b32 v181, v49
	v_dual_mov_b32 v180, v48 :: v_dual_mov_b32 v179, v47
	;; [unrolled: 1-line block ×6, first 2 shown]
	v_cmpx_lt_f32_e32 v2, v29
	s_cbranch_execz .LBB8_49
; %bb.48:
	v_dual_mov_b32 v170, v62 :: v_dual_mov_b32 v169, v61
	v_dual_mov_b32 v162, v54 :: v_dual_mov_b32 v161, v53
	;; [unrolled: 1-line block ×7, first 2 shown]
	s_clause 0x2
	scratch_store_b128 off, v[159:162], off
	scratch_store_b128 off, v[163:166], off offset:16
	scratch_store_b128 off, v[167:170], off offset:32
	v_dual_mov_b32 v182, v50 :: v_dual_mov_b32 v181, v49
	v_dual_mov_b32 v172, v40 :: v_dual_mov_b32 v171, v39
	;; [unrolled: 1-line block ×8, first 2 shown]
	s_delay_alu instid0(VALU_DEP_3)
	v_dual_mov_b32 v140, v176 :: v_dual_mov_b32 v141, v177
	v_dual_mov_b32 v138, v174 :: v_dual_mov_b32 v139, v175
	;; [unrolled: 1-line block ×3, first 2 shown]
	v_mov_b32_e32 v146, v182
	v_dual_mov_b32 v136, v172 :: v_dual_mov_b32 v137, v173
	v_mov_b32_e32 v138, v42
	v_dual_mov_b32 v142, v178 :: v_dual_mov_b32 v143, v179
	v_mov_b32_e32 v53, v52
	v_mov_b32_e32 v139, v43
	;; [unrolled: 1-line block ×3, first 2 shown]
	v_dual_mov_b32 v147, v159 :: v_dual_mov_b32 v148, v160
	v_mov_b32_e32 v151, v163
	v_dual_mov_b32 v149, v161 :: v_dual_mov_b32 v150, v162
	v_dual_mov_b32 v153, v165 :: v_dual_mov_b32 v152, v164
	;; [unrolled: 1-line block ×16, first 2 shown]
	v_mov_b32_e32 v122, v146
	v_dual_mov_b32 v114, v138 :: v_dual_mov_b32 v117, v141
	v_dual_mov_b32 v116, v140 :: v_dual_mov_b32 v119, v143
	;; [unrolled: 1-line block ×14, first 2 shown]
	v_mov_b32_e32 v82, v118
	v_dual_mov_b32 v76, v112 :: v_dual_mov_b32 v81, v117
	v_dual_mov_b32 v80, v116 :: v_dual_mov_b32 v85, v121
	;; [unrolled: 1-line block ×6, first 2 shown]
	v_mov_b32_e32 v81, v45
	v_dual_mov_b32 v65, v89 :: v_dual_mov_b32 v72, v96
	v_mov_b32_e32 v29, v2
	s_delay_alu instid0(VALU_DEP_3)
	v_dual_mov_b32 v110, v86 :: v_dual_mov_b32 v105, v81
	v_dual_mov_b32 v70, v94 :: v_dual_mov_b32 v73, v97
	;; [unrolled: 1-line block ×11, first 2 shown]
	v_mov_b32_e32 v106, v46
	s_clause 0x2
	scratch_store_b128 off, v[3:6], off offset:48
	scratch_store_b128 off, v[7:10], off offset:64
	;; [unrolled: 1-line block ×3, first 2 shown]
	v_dual_mov_b32 v100, v76 :: v_dual_mov_b32 v3, v63
	v_dual_mov_b32 v12, v72 :: v_dual_mov_b32 v5, v65
	;; [unrolled: 1-line block ×16, first 2 shown]
	v_mov_b32_e32 v26, v50
.LBB8_49:
	s_or_b32 exec_lo, exec_lo, s2
	v_mov_b32_e32 v2, v30
	s_mov_b32 s2, exec_lo
	v_cmpx_lt_f32_e32 v1, v30
	s_cbranch_execz .LBB8_51
; %bb.50:
	s_clause 0x2
	scratch_load_b128 v[2:5], off, off
	scratch_load_b128 v[6:9], off, off offset:16
	scratch_load_b128 v[10:13], off, off offset:32
	v_dual_mov_b32 v29, v30 :: v_dual_mov_b32 v30, v1
	v_dual_mov_b32 v161, v54 :: v_dual_mov_b32 v54, v53
	s_waitcnt vmcnt(0)
	v_dual_mov_b32 v170, v13 :: v_dual_mov_b32 v169, v12
	v_mov_b32_e32 v160, v3
	v_dual_mov_b32 v162, v5 :: v_dual_mov_b32 v159, v2
	v_dual_mov_b32 v173, v42 :: v_dual_mov_b32 v168, v11
	;; [unrolled: 1-line block ×3, first 2 shown]
	s_delay_alu instid0(VALU_DEP_3)
	v_dual_mov_b32 v165, v8 :: v_dual_mov_b32 v2, v159
	v_dual_mov_b32 v3, v160 :: v_dual_mov_b32 v4, v161
	;; [unrolled: 1-line block ×3, first 2 shown]
	s_clause 0x2
	scratch_store_b128 off, v[2:5], off
	scratch_store_b128 off, v[6:9], off offset:16
	scratch_store_b128 off, v[10:13], off offset:32
	v_dual_mov_b32 v162, v53 :: v_dual_mov_b32 v135, v171
	v_dual_mov_b32 v140, v176 :: v_dual_mov_b32 v141, v177
	v_dual_mov_b32 v138, v174 :: v_dual_mov_b32 v139, v175
	v_dual_mov_b32 v146, v182 :: v_dual_mov_b32 v147, v159
	v_dual_mov_b32 v138, v41 :: v_dual_mov_b32 v151, v163
	v_dual_mov_b32 v148, v160 :: v_dual_mov_b32 v149, v161
	v_dual_mov_b32 v142, v178 :: v_dual_mov_b32 v143, v179
	v_dual_mov_b32 v144, v180 :: v_dual_mov_b32 v145, v181
	v_dual_mov_b32 v150, v162 :: v_dual_mov_b32 v153, v165
	v_dual_mov_b32 v152, v164 :: v_dual_mov_b32 v155, v167
	v_dual_mov_b32 v154, v166 :: v_dual_mov_b32 v157, v169
	v_dual_mov_b32 v156, v168 :: v_dual_mov_b32 v151, v55
	v_dual_mov_b32 v158, v170 :: v_dual_mov_b32 v7, v140
	v_dual_mov_b32 v139, v43 :: v_dual_mov_b32 v136, v172
	v_mov_b32_e32 v137, v173
	v_dual_mov_b32 v123, v147 :: v_dual_mov_b32 v126, v150
	v_dual_mov_b32 v124, v148 :: v_dual_mov_b32 v111, v135
	s_delay_alu instid0(VALU_DEP_4)
	v_dual_mov_b32 v112, v136 :: v_dual_mov_b32 v125, v149
	v_dual_mov_b32 v128, v152 :: v_dual_mov_b32 v115, v139
	;; [unrolled: 1-line block ×7, first 2 shown]
	v_mov_b32_e32 v128, v56
	v_dual_mov_b32 v116, v44 :: v_dual_mov_b32 v87, v123
	v_dual_mov_b32 v113, v137 :: v_dual_mov_b32 v114, v138
	;; [unrolled: 1-line block ×21, first 2 shown]
	v_mov_b32_e32 v81, v45
	v_dual_mov_b32 v63, v87 :: v_dual_mov_b32 v66, v90
	v_mov_b32_e32 v64, v88
	v_dual_mov_b32 v110, v86 :: v_dual_mov_b32 v109, v85
	v_dual_mov_b32 v65, v89 :: v_dual_mov_b32 v68, v92
	v_dual_mov_b32 v67, v91 :: v_dual_mov_b32 v70, v94
	v_dual_mov_b32 v71, v95 :: v_dual_mov_b32 v74, v98
	v_dual_mov_b32 v104, v80 :: v_dual_mov_b32 v99, v75
	v_dual_mov_b32 v69, v93 :: v_dual_mov_b32 v72, v96
	v_dual_mov_b32 v73, v97 :: v_dual_mov_b32 v70, v58
	v_dual_mov_b32 v108, v84 :: v_dual_mov_b32 v105, v81
	v_dual_mov_b32 v106, v82 :: v_dual_mov_b32 v101, v77
	v_mov_b32_e32 v102, v78
	v_dual_mov_b32 v42, v41 :: v_dual_mov_b32 v103, v79
	v_mov_b32_e32 v100, v76
	v_mov_b32_e32 v106, v46
	s_clause 0x2
	scratch_store_b128 off, v[2:5], off offset:48
	scratch_store_b128 off, v[6:9], off offset:64
	;; [unrolled: 1-line block ×3, first 2 shown]
	v_dual_mov_b32 v2, v1 :: v_dual_mov_b32 v107, v83
	v_mov_b32_e32 v3, v63
	v_mov_b32_e32 v5, v65
	v_dual_mov_b32 v7, v67 :: v_dual_mov_b32 v14, v74
	v_dual_mov_b32 v15, v99 :: v_dual_mov_b32 v6, v66
	;; [unrolled: 1-line block ×14, first 2 shown]
	v_mov_b32_e32 v24, v48
	v_mov_b32_e32 v26, v50
.LBB8_51:
	s_or_b32 exec_lo, exec_lo, s2
	v_mov_b32_e32 v1, v31
	s_mov_b32 s2, exec_lo
	v_cmpx_lt_f32_e32 v2, v31
	s_cbranch_execz .LBB8_53
; %bb.52:
	s_clause 0x2
	scratch_load_b128 v[3:6], off, off
	scratch_load_b128 v[7:10], off, off offset:16
	scratch_load_b128 v[11:14], off, off offset:32
	v_dual_mov_b32 v30, v31 :: v_dual_mov_b32 v31, v2
	v_mov_b32_e32 v1, v2
	s_waitcnt vmcnt(0)
	v_dual_mov_b32 v170, v14 :: v_dual_mov_b32 v169, v13
	v_dual_mov_b32 v161, v5 :: v_dual_mov_b32 v160, v4
	;; [unrolled: 1-line block ×5, first 2 shown]
	v_mov_b32_e32 v174, v43
	v_mov_b32_e32 v159, v3
	;; [unrolled: 1-line block ×3, first 2 shown]
	v_dual_mov_b32 v135, v171 :: v_dual_mov_b32 v136, v172
	v_mov_b32_e32 v137, v173
	s_delay_alu instid0(VALU_DEP_4) | instskip(NEXT) | instid1(VALU_DEP_4)
	v_dual_mov_b32 v147, v159 :: v_dual_mov_b32 v148, v160
	v_dual_mov_b32 v149, v161 :: v_dual_mov_b32 v150, v162
	;; [unrolled: 1-line block ×10, first 2 shown]
	v_mov_b32_e32 v139, v42
	v_mov_b32_e32 v151, v54
	v_dual_mov_b32 v146, v182 :: v_dual_mov_b32 v123, v147
	v_dual_mov_b32 v111, v135 :: v_dual_mov_b32 v112, v136
	;; [unrolled: 1-line block ×3, first 2 shown]
	s_delay_alu instid0(VALU_DEP_4)
	v_dual_mov_b32 v124, v148 :: v_dual_mov_b32 v127, v151
	v_dual_mov_b32 v128, v152 :: v_dual_mov_b32 v131, v155
	;; [unrolled: 1-line block ×9, first 2 shown]
	v_mov_b32_e32 v120, v144
	v_dual_mov_b32 v116, v44 :: v_dual_mov_b32 v87, v123
	v_mov_b32_e32 v114, v138
	v_dual_mov_b32 v98, v134 :: v_dual_mov_b32 v75, v111
	v_dual_mov_b32 v88, v124 :: v_dual_mov_b32 v89, v125
	;; [unrolled: 1-line block ×3, first 2 shown]
	v_mov_b32_e32 v86, v122
	v_dual_mov_b32 v90, v126 :: v_dual_mov_b32 v91, v127
	v_dual_mov_b32 v92, v128 :: v_dual_mov_b32 v93, v129
	;; [unrolled: 1-line block ×8, first 2 shown]
	v_mov_b32_e32 v79, v115
	v_mov_b32_e32 v81, v45
	v_dual_mov_b32 v63, v87 :: v_dual_mov_b32 v66, v90
	v_dual_mov_b32 v64, v88 :: v_dual_mov_b32 v73, v97
	;; [unrolled: 1-line block ×9, first 2 shown]
	v_mov_b32_e32 v108, v84
	v_dual_mov_b32 v106, v46 :: v_dual_mov_b32 v3, v63
	v_dual_mov_b32 v105, v81 :: v_dual_mov_b32 v104, v80
	;; [unrolled: 1-line block ×19, first 2 shown]
	v_mov_b32_e32 v26, v50
	v_mov_b32_e32 v43, v42
	;; [unrolled: 1-line block ×3, first 2 shown]
	s_clause 0x2
	scratch_store_b128 off, v[171:174], off offset:48
	scratch_store_b128 off, v[175:178], off offset:64
	;; [unrolled: 1-line block ×3, first 2 shown]
.LBB8_53:
	s_or_b32 exec_lo, exec_lo, s2
	v_mov_b32_e32 v2, v32
	s_mov_b32 s2, exec_lo
	v_cmpx_lt_f32_e32 v1, v32
	s_cbranch_execz .LBB8_55
; %bb.54:
	s_clause 0x2
	scratch_load_b128 v[2:5], off, off offset:48
	scratch_load_b128 v[6:9], off, off offset:64
	;; [unrolled: 1-line block ×3, first 2 shown]
	v_dual_mov_b32 v163, v56 :: v_dual_mov_b32 v56, v55
	s_waitcnt vmcnt(0)
	v_dual_mov_b32 v31, v32 :: v_dual_mov_b32 v146, v13
	v_dual_mov_b32 v138, v5 :: v_dual_mov_b32 v137, v4
	;; [unrolled: 1-line block ×6, first 2 shown]
	v_mov_b32_e32 v139, v44
	v_dual_mov_b32 v123, v159 :: v_dual_mov_b32 v124, v160
	v_dual_mov_b32 v125, v161 :: v_dual_mov_b32 v128, v164
	;; [unrolled: 1-line block ×12, first 2 shown]
	v_mov_b32_e32 v120, v144
	v_mov_b32_e32 v116, v43
	v_dual_mov_b32 v87, v123 :: v_dual_mov_b32 v88, v124
	v_dual_mov_b32 v89, v125 :: v_dual_mov_b32 v98, v134
	;; [unrolled: 1-line block ×12, first 2 shown]
	v_mov_b32_e32 v79, v115
	v_mov_b32_e32 v81, v45
	v_dual_mov_b32 v63, v87 :: v_dual_mov_b32 v66, v90
	v_dual_mov_b32 v64, v88 :: v_dual_mov_b32 v73, v97
	;; [unrolled: 1-line block ×8, first 2 shown]
	v_mov_b32_e32 v70, v58
	v_dual_mov_b32 v106, v46 :: v_dual_mov_b32 v65, v89
	v_dual_mov_b32 v68, v92 :: v_dual_mov_b32 v105, v81
	;; [unrolled: 1-line block ×4, first 2 shown]
	v_mov_b32_e32 v100, v76
	v_dual_mov_b32 v32, v1 :: v_dual_mov_b32 v3, v63
	v_dual_mov_b32 v14, v74 :: v_dual_mov_b32 v15, v99
	v_mov_b32_e32 v26, v110
	v_dual_mov_b32 v10, v70 :: v_dual_mov_b32 v11, v71
	v_dual_mov_b32 v12, v72 :: v_dual_mov_b32 v13, v73
	;; [unrolled: 1-line block ×20, first 2 shown]
	v_mov_b32_e32 v2, v1
	v_mov_b32_e32 v44, v43
.LBB8_55:
	s_or_b32 exec_lo, exec_lo, s2
	v_mov_b32_e32 v1, v33
	s_mov_b32 s2, exec_lo
	v_cmpx_lt_f32_e32 v2, v33
	s_cbranch_execz .LBB8_57
; %bb.56:
	v_mov_b32_e32 v140, v45
	v_dual_mov_b32 v152, v57 :: v_dual_mov_b32 v75, v135
	v_dual_mov_b32 v87, v147 :: v_dual_mov_b32 v90, v150
	;; [unrolled: 1-line block ×3, first 2 shown]
	s_delay_alu instid0(VALU_DEP_3)
	v_dual_mov_b32 v92, v152 :: v_dual_mov_b32 v93, v153
	v_dual_mov_b32 v76, v136 :: v_dual_mov_b32 v79, v139
	;; [unrolled: 1-line block ×6, first 2 shown]
	v_mov_b32_e32 v93, v56
	v_dual_mov_b32 v84, v144 :: v_dual_mov_b32 v63, v87
	v_dual_mov_b32 v78, v138 :: v_dual_mov_b32 v81, v141
	;; [unrolled: 1-line block ×5, first 2 shown]
	s_delay_alu instid0(VALU_DEP_3) | instskip(SKIP_1) | instid1(VALU_DEP_4)
	v_dual_mov_b32 v110, v86 :: v_dual_mov_b32 v109, v85
	v_dual_mov_b32 v100, v76 :: v_dual_mov_b32 v99, v75
	;; [unrolled: 1-line block ×11, first 2 shown]
	v_mov_b32_e32 v106, v46
	v_dual_mov_b32 v70, v58 :: v_dual_mov_b32 v15, v99
	v_dual_mov_b32 v3, v63 :: v_dual_mov_b32 v24, v108
	;; [unrolled: 1-line block ×3, first 2 shown]
	s_delay_alu instid0(VALU_DEP_3)
	v_dual_mov_b32 v10, v70 :: v_dual_mov_b32 v11, v71
	v_dual_mov_b32 v12, v72 :: v_dual_mov_b32 v13, v73
	;; [unrolled: 1-line block ×26, first 2 shown]
	v_mov_b32_e32 v1, v2
	v_dual_mov_b32 v134, v158 :: v_dual_mov_b32 v45, v44
	v_mov_b32_e32 v57, v56
.LBB8_57:
	s_or_b32 exec_lo, exec_lo, s2
	v_mov_b32_e32 v2, v34
	s_mov_b32 s2, exec_lo
	v_cmpx_lt_f32_e32 v1, v34
	s_cbranch_execz .LBB8_59
; %bb.58:
	v_mov_b32_e32 v129, v58
	v_dual_mov_b32 v63, v123 :: v_dual_mov_b32 v70, v130
	v_dual_mov_b32 v70, v57 :: v_dual_mov_b32 v71, v131
	v_dual_mov_b32 v117, v46 :: v_dual_mov_b32 v64, v124
	v_dual_mov_b32 v99, v111 :: v_dual_mov_b32 v102, v114
	v_dual_mov_b32 v65, v125 :: v_dual_mov_b32 v68, v128
	v_dual_mov_b32 v66, v126 :: v_dual_mov_b32 v67, v127
	v_dual_mov_b32 v72, v132 :: v_dual_mov_b32 v69, v129
	v_dual_mov_b32 v74, v134 :: v_dual_mov_b32 v73, v133
	v_dual_mov_b32 v100, v112 :: v_dual_mov_b32 v103, v115
	v_dual_mov_b32 v106, v118 :: v_dual_mov_b32 v105, v117
	v_dual_mov_b32 v108, v120 :: v_dual_mov_b32 v107, v119
	v_dual_mov_b32 v110, v122 :: v_dual_mov_b32 v109, v121
	v_dual_mov_b32 v101, v113 :: v_dual_mov_b32 v104, v116
	v_dual_mov_b32 v106, v45 :: v_dual_mov_b32 v3, v63
	v_dual_mov_b32 v4, v64 :: v_dual_mov_b32 v15, v99
	v_dual_mov_b32 v16, v100 :: v_dual_mov_b32 v11, v71
	v_dual_mov_b32 v12, v72 :: v_dual_mov_b32 v13, v73
	v_dual_mov_b32 v14, v74 :: v_dual_mov_b32 v23, v107
	v_dual_mov_b32 v24, v108 :: v_dual_mov_b32 v25, v109
	v_dual_mov_b32 v26, v110 :: v_dual_mov_b32 v75, v111
	v_dual_mov_b32 v76, v112 :: v_dual_mov_b32 v87, v123
	v_dual_mov_b32 v88, v124 :: v_dual_mov_b32 v33, v34
	v_mov_b32_e32 v34, v1
	v_dual_mov_b32 v5, v65 :: v_dual_mov_b32 v6, v66
	v_dual_mov_b32 v7, v67 :: v_dual_mov_b32 v8, v68
	;; [unrolled: 1-line block ×20, first 2 shown]
	v_mov_b32_e32 v2, v1
	v_mov_b32_e32 v46, v45
	v_mov_b32_e32 v58, v57
.LBB8_59:
	s_or_b32 exec_lo, exec_lo, s2
	v_mov_b32_e32 v1, v35
	s_mov_b32 s2, exec_lo
	v_cmpx_lt_f32_e32 v2, v35
	s_cbranch_execz .LBB8_61
; %bb.60:
	v_mov_b32_e32 v94, v59
	v_dual_mov_b32 v34, v35 :: v_dual_mov_b32 v35, v2
	v_mov_b32_e32 v82, v47
	v_dual_mov_b32 v3, v87 :: v_dual_mov_b32 v4, v88
	v_dual_mov_b32 v12, v96 :: v_dual_mov_b32 v9, v93
	;; [unrolled: 1-line block ×13, first 2 shown]
	v_mov_b32_e32 v7, v91
	v_mov_b32_e32 v11, v58
	v_dual_mov_b32 v14, v62 :: v_dual_mov_b32 v17, v77
	v_dual_mov_b32 v16, v76 :: v_dual_mov_b32 v19, v79
	v_dual_mov_b32 v18, v78 :: v_dual_mov_b32 v21, v81
	v_dual_mov_b32 v24, v48 :: v_dual_mov_b32 v109, v85
	v_dual_mov_b32 v26, v50 :: v_dual_mov_b32 v107, v83
	v_dual_mov_b32 v108, v84 :: v_dual_mov_b32 v103, v79
	v_dual_mov_b32 v106, v82 :: v_dual_mov_b32 v101, v77
	v_dual_mov_b32 v104, v80 :: v_dual_mov_b32 v99, v75
	v_dual_mov_b32 v100, v76 :: v_dual_mov_b32 v65, v89
	v_dual_mov_b32 v64, v88 :: v_dual_mov_b32 v67, v91
	v_dual_mov_b32 v66, v90 :: v_dual_mov_b32 v69, v93
	v_dual_mov_b32 v68, v92 :: v_dual_mov_b32 v71, v95
	v_dual_mov_b32 v70, v94 :: v_dual_mov_b32 v73, v97
	v_dual_mov_b32 v72, v96 :: v_dual_mov_b32 v1, v2
	v_mov_b32_e32 v47, v46
	v_mov_b32_e32 v59, v58
	;; [unrolled: 1-line block ×3, first 2 shown]
.LBB8_61:
	s_or_b32 exec_lo, exec_lo, s2
	v_mov_b32_e32 v39, v36
	s_mov_b32 s2, exec_lo
	v_cmpx_lt_f32_e32 v1, v36
	s_cbranch_execz .LBB8_63
; %bb.62:
	v_dual_mov_b32 v71, v60 :: v_dual_mov_b32 v72, v59
	v_dual_mov_b32 v73, v61 :: v_dual_mov_b32 v108, v47
	;; [unrolled: 1-line block ×17, first 2 shown]
	v_mov_b32_e32 v39, v1
.LBB8_63:
	s_or_b32 exec_lo, exec_lo, s2
	s_delay_alu instid0(VALU_DEP_1)
	v_cmp_lt_f32_e32 vcc_lo, v39, v37
	v_dual_mov_b32 v40, v28 :: v_dual_mov_b32 v43, v31
	v_dual_mov_b32 v42, v30 :: v_dual_mov_b32 v45, v33
	v_dual_cndmask_b32 v1, v25, v24 :: v_dual_cndmask_b32 v24, v24, v25
	v_cndmask_b32_e32 v2, v13, v12, vcc_lo
	v_dual_cndmask_b32 v12, v12, v13 :: v_dual_cndmask_b32 v49, v37, v39
	v_dual_cndmask_b32 v48, v36, v37 :: v_dual_mov_b32 v41, v29
	v_dual_mov_b32 v39, v27 :: v_dual_mov_b32 v44, v32
	v_dual_mov_b32 v47, v35 :: v_dual_mov_b32 v46, v34
	v_mov_b32_e32 v50, v38
	s_mov_b32 s2, exec_lo
	v_cmpx_lt_f32_e32 v27, v28
	s_cbranch_execz .LBB8_65
; %bb.64:
	v_dual_mov_b32 v28, v40 :: v_dual_mov_b32 v29, v39
	v_dual_mov_b32 v38, v49 :: v_dual_mov_b32 v39, v50
	;; [unrolled: 1-line block ×6, first 2 shown]
	v_mov_b32_e32 v50, v39
	v_mov_b32_e32 v13, v15
	v_dual_mov_b32 v25, v3 :: v_dual_mov_b32 v44, v33
	v_swap_b32 v15, v16
	v_swap_b32 v3, v4
	v_dual_mov_b32 v49, v38 :: v_dual_mov_b32 v46, v35
	v_dual_mov_b32 v48, v37 :: v_dual_mov_b32 v47, v36
	;; [unrolled: 1-line block ×4, first 2 shown]
	v_mov_b32_e32 v41, v30
	v_dual_mov_b32 v39, v28 :: v_dual_mov_b32 v28, v27
.LBB8_65:
	s_or_b32 exec_lo, exec_lo, s2
	v_mov_b32_e32 v13, v2
	v_dual_mov_b32 v25, v1 :: v_dual_mov_b32 v62, v14
	v_dual_mov_b32 v74, v26 :: v_dual_mov_b32 v63, v15
	v_mov_b32_e32 v86, v26
	v_dual_mov_b32 v72, v24 :: v_dual_mov_b32 v75, v15
	v_dual_mov_b32 v110, v26 :: v_dual_mov_b32 v53, v5
	v_dual_mov_b32 v98, v14 :: v_dual_mov_b32 v99, v15
	v_dual_mov_b32 v134, v26 :: v_dual_mov_b32 v89, v5
	v_dual_mov_b32 v122, v14 :: v_dual_mov_b32 v123, v15
	v_dual_mov_b32 v170, v26 :: v_dual_mov_b32 v113, v5
	v_dual_mov_b32 v146, v14 :: v_dual_mov_b32 v159, v15
	v_dual_mov_b32 v182, v26 :: v_dual_mov_b32 v137, v5
	v_dual_mov_b32 v158, v14 :: v_dual_mov_b32 v73, v25
	v_dual_mov_b32 v71, v23 :: v_dual_mov_b32 v70, v22
	v_dual_mov_b32 v69, v21 :: v_dual_mov_b32 v68, v20
	v_dual_mov_b32 v67, v19 :: v_dual_mov_b32 v66, v18
	v_dual_mov_b32 v65, v17 :: v_dual_mov_b32 v64, v16
	v_dual_mov_b32 v81, v21 :: v_dual_mov_b32 v80, v20
	v_dual_mov_b32 v79, v19 :: v_dual_mov_b32 v78, v18
	v_dual_mov_b32 v77, v17 :: v_dual_mov_b32 v76, v16
	v_dual_mov_b32 v109, v25 :: v_dual_mov_b32 v108, v24
	v_dual_mov_b32 v107, v23 :: v_dual_mov_b32 v106, v22
	v_dual_mov_b32 v105, v21 :: v_dual_mov_b32 v104, v20
	v_dual_mov_b32 v103, v19 :: v_dual_mov_b32 v102, v18
	v_dual_mov_b32 v101, v17 :: v_dual_mov_b32 v100, v16
	v_dual_mov_b32 v133, v25 :: v_dual_mov_b32 v132, v24
	v_dual_mov_b32 v131, v23 :: v_dual_mov_b32 v130, v22
	v_dual_mov_b32 v129, v21 :: v_dual_mov_b32 v128, v20
	v_dual_mov_b32 v127, v19 :: v_dual_mov_b32 v126, v18
	v_dual_mov_b32 v125, v17 :: v_dual_mov_b32 v124, v16
	v_dual_mov_b32 v169, v25 :: v_dual_mov_b32 v168, v24
	v_dual_mov_b32 v167, v23 :: v_dual_mov_b32 v166, v22
	v_dual_mov_b32 v165, v21 :: v_dual_mov_b32 v164, v20
	v_dual_mov_b32 v163, v19 :: v_dual_mov_b32 v162, v18
	v_dual_mov_b32 v161, v17 :: v_dual_mov_b32 v160, v16
	v_dual_mov_b32 v181, v25 :: v_dual_mov_b32 v180, v24
	v_dual_mov_b32 v179, v23 :: v_dual_mov_b32 v178, v22
	v_dual_mov_b32 v177, v21 :: v_dual_mov_b32 v176, v20
	v_dual_mov_b32 v175, v19 :: v_dual_mov_b32 v174, v18
	v_dual_mov_b32 v173, v17 :: v_dual_mov_b32 v172, v16
	v_dual_mov_b32 v171, v15 :: v_dual_mov_b32 v60, v12
	v_dual_mov_b32 v61, v13 :: v_dual_mov_b32 v58, v10
	v_dual_mov_b32 v59, v11 :: v_dual_mov_b32 v56, v8
	v_dual_mov_b32 v57, v9 :: v_dual_mov_b32 v54, v6
	v_dual_mov_b32 v55, v7 :: v_dual_mov_b32 v52, v4
	v_dual_mov_b32 v51, v3 :: v_dual_mov_b32 v96, v12
	v_dual_mov_b32 v97, v13 :: v_dual_mov_b32 v94, v10
	v_dual_mov_b32 v95, v11 :: v_dual_mov_b32 v92, v8
	v_dual_mov_b32 v93, v9 :: v_dual_mov_b32 v90, v6
	v_dual_mov_b32 v91, v7 :: v_dual_mov_b32 v88, v4
	v_dual_mov_b32 v87, v3 :: v_dual_mov_b32 v120, v12
	v_dual_mov_b32 v121, v13 :: v_dual_mov_b32 v118, v10
	v_dual_mov_b32 v119, v11 :: v_dual_mov_b32 v116, v8
	v_dual_mov_b32 v117, v9 :: v_dual_mov_b32 v114, v6
	v_dual_mov_b32 v115, v7 :: v_dual_mov_b32 v112, v4
	v_dual_mov_b32 v111, v3 :: v_dual_mov_b32 v144, v12
	v_dual_mov_b32 v145, v13 :: v_dual_mov_b32 v142, v10
	v_dual_mov_b32 v143, v11 :: v_dual_mov_b32 v140, v8
	v_dual_mov_b32 v141, v9 :: v_dual_mov_b32 v138, v6
	v_dual_mov_b32 v139, v7 :: v_dual_mov_b32 v136, v4
	v_dual_mov_b32 v135, v3 :: v_dual_mov_b32 v156, v12
	v_dual_mov_b32 v157, v13 :: v_dual_mov_b32 v154, v10
	v_dual_mov_b32 v155, v11 :: v_dual_mov_b32 v152, v8
	v_dual_mov_b32 v153, v9 :: v_dual_mov_b32 v150, v6
	v_dual_mov_b32 v151, v7 :: v_dual_mov_b32 v148, v4
	v_mov_b32_e32 v149, v5
	v_mov_b32_e32 v147, v3
	;; [unrolled: 1-line block ×3, first 2 shown]
	s_mov_b32 s2, exec_lo
	v_dual_mov_b32 v85, v25 :: v_dual_mov_b32 v84, v24
	v_dual_mov_b32 v83, v23 :: v_dual_mov_b32 v82, v22
	s_clause 0x2
	scratch_store_b128 off, v[3:6], off
	scratch_store_b128 off, v[7:10], off offset:16
	scratch_store_b128 off, v[11:14], off offset:32
	v_cmpx_lt_f32_e32 v28, v41
	s_cbranch_execz .LBB8_67
; %bb.66:
	v_dual_mov_b32 v158, v14 :: v_dual_mov_b32 v157, v13
	v_dual_mov_b32 v150, v6 :: v_dual_mov_b32 v149, v5
	;; [unrolled: 1-line block ×7, first 2 shown]
	s_clause 0x2
	scratch_store_b128 off, v[147:150], off
	scratch_store_b128 off, v[151:154], off offset:16
	scratch_store_b128 off, v[155:158], off offset:32
	v_dual_mov_b32 v182, v26 :: v_dual_mov_b32 v181, v25
	v_dual_mov_b32 v172, v16 :: v_dual_mov_b32 v171, v15
	;; [unrolled: 1-line block ×8, first 2 shown]
	s_delay_alu instid0(VALU_DEP_4) | instskip(SKIP_1) | instid1(VALU_DEP_4)
	v_dual_mov_b32 v160, v172 :: v_dual_mov_b32 v161, v173
	v_dual_mov_b32 v162, v174 :: v_dual_mov_b32 v163, v175
	;; [unrolled: 1-line block ×4, first 2 shown]
	v_mov_b32_e32 v170, v182
	v_dual_mov_b32 v166, v178 :: v_dual_mov_b32 v167, v179
	v_mov_b32_e32 v162, v18
	v_dual_mov_b32 v40, v41 :: v_dual_mov_b32 v41, v28
	v_mov_b32_e32 v5, v4
	v_mov_b32_e32 v17, v16
	;; [unrolled: 1-line block ×3, first 2 shown]
	v_dual_mov_b32 v137, v149 :: v_dual_mov_b32 v144, v156
	v_dual_mov_b32 v123, v159 :: v_dual_mov_b32 v136, v148
	;; [unrolled: 1-line block ×12, first 2 shown]
	v_mov_b32_e32 v133, v169
	v_dual_mov_b32 v111, v135 :: v_dual_mov_b32 v112, v136
	v_dual_mov_b32 v99, v123 :: v_dual_mov_b32 v100, v124
	;; [unrolled: 1-line block ×12, first 2 shown]
	v_mov_b32_e32 v104, v20
	v_dual_mov_b32 v116, v8 :: v_dual_mov_b32 v75, v99
	v_mov_b32_e32 v87, v111
	v_dual_mov_b32 v93, v117 :: v_dual_mov_b32 v78, v102
	s_delay_alu instid0(VALU_DEP_3)
	v_dual_mov_b32 v81, v105 :: v_dual_mov_b32 v92, v116
	v_dual_mov_b32 v90, v114 :: v_dual_mov_b32 v91, v115
	v_dual_mov_b32 v94, v118 :: v_dual_mov_b32 v95, v119
	v_dual_mov_b32 v96, v120 :: v_dual_mov_b32 v97, v121
	v_dual_mov_b32 v98, v122 :: v_dual_mov_b32 v77, v101
	v_dual_mov_b32 v76, v100 :: v_dual_mov_b32 v79, v103
	v_dual_mov_b32 v80, v104 :: v_dual_mov_b32 v83, v107
	v_dual_mov_b32 v82, v106 :: v_dual_mov_b32 v85, v109
	v_dual_mov_b32 v84, v108 :: v_dual_mov_b32 v93, v9
	v_dual_mov_b32 v86, v110 :: v_dual_mov_b32 v81, v21
	v_dual_mov_b32 v88, v112 :: v_dual_mov_b32 v89, v113
	v_mov_b32_e32 v51, v87
	v_dual_mov_b32 v63, v75 :: v_dual_mov_b32 v66, v78
	v_dual_mov_b32 v55, v91 :: v_dual_mov_b32 v58, v94
	;; [unrolled: 1-line block ×14, first 2 shown]
	v_mov_b32_e32 v72, v24
	v_dual_mov_b32 v62, v14 :: v_dual_mov_b32 v71, v23
	v_dual_mov_b32 v70, v22 :: v_dual_mov_b32 v73, v1
	v_mov_b32_e32 v74, v26
.LBB8_67:
	s_or_b32 exec_lo, exec_lo, s2
	v_mov_b32_e32 v3, v42
	v_cmp_lt_f32_e32 vcc_lo, v13, v42
	s_mov_b32 s2, exec_lo
	s_clause 0x2
	scratch_load_b128 v[27:30], off, off
	scratch_load_b128 v[31:34], off, off offset:16
	scratch_load_b128 v[35:38], off, off offset:32
	s_and_b32 s3, s2, vcc_lo
	s_delay_alu instid0(SALU_CYCLE_1)
	s_mov_b32 exec_lo, s3
	s_cbranch_execz .LBB8_69
; %bb.68:
	v_mov_b32_e32 v173, v18
	s_waitcnt vmcnt(2)
	v_mov_b32_e32 v29, v6
	v_dual_mov_b32 v159, v171 :: v_dual_mov_b32 v160, v172
	s_waitcnt vmcnt(0)
	v_dual_mov_b32 v158, v38 :: v_dual_mov_b32 v157, v37
	v_dual_mov_b32 v156, v36 :: v_dual_mov_b32 v147, v27
	;; [unrolled: 1-line block ×6, first 2 shown]
	v_mov_b32_e32 v168, v180
	v_dual_mov_b32 v164, v176 :: v_dual_mov_b32 v165, v177
	v_dual_mov_b32 v170, v182 :: v_dual_mov_b32 v155, v35
	;; [unrolled: 1-line block ×4, first 2 shown]
	v_mov_b32_e32 v150, v5
	v_mov_b32_e32 v169, v181
	v_dual_mov_b32 v162, v17 :: v_dual_mov_b32 v135, v147
	v_dual_mov_b32 v136, v148 :: v_dual_mov_b32 v123, v159
	;; [unrolled: 1-line block ×13, first 2 shown]
	v_mov_b32_e32 v139, v7
	v_dual_mov_b32 v99, v123 :: v_dual_mov_b32 v100, v124
	v_dual_mov_b32 v111, v135 :: v_dual_mov_b32 v114, v138
	;; [unrolled: 1-line block ×4, first 2 shown]
	v_mov_b32_e32 v120, v144
	v_dual_mov_b32 v104, v128 :: v_dual_mov_b32 v105, v129
	v_dual_mov_b32 v110, v134 :: v_dual_mov_b32 v115, v139
	;; [unrolled: 1-line block ×21, first 2 shown]
	v_mov_b32_e32 v93, v9
	v_dual_mov_b32 v63, v75 :: v_dual_mov_b32 v64, v76
	v_dual_mov_b32 v51, v87 :: v_dual_mov_b32 v54, v90
	;; [unrolled: 1-line block ×3, first 2 shown]
	s_delay_alu instid0(VALU_DEP_4)
	v_dual_mov_b32 v58, v94 :: v_dual_mov_b32 v57, v93
	v_dual_mov_b32 v60, v96 :: v_dual_mov_b32 v59, v95
	;; [unrolled: 1-line block ×9, first 2 shown]
	v_mov_b32_e32 v42, v13
	v_dual_mov_b32 v53, v89 :: v_dual_mov_b32 v56, v92
	v_dual_mov_b32 v68, v80 :: v_dual_mov_b32 v59, v11
	v_mov_b32_e32 v62, v14
	v_dual_mov_b32 v61, v2 :: v_dual_mov_b32 v72, v24
	v_dual_mov_b32 v70, v22 :: v_dual_mov_b32 v71, v23
	v_dual_mov_b32 v73, v1 :: v_dual_mov_b32 v74, v26
	v_mov_b32_e32 v3, v13
	v_mov_b32_e32 v18, v17
	v_mov_b32_e32 v6, v5
.LBB8_69:
	s_or_b32 exec_lo, exec_lo, s2
	v_mov_b32_e32 v4, v43
	s_mov_b32 s2, exec_lo
	v_cmpx_lt_f32_e32 v3, v43
	s_cbranch_execz .LBB8_71
; %bb.70:
	v_mov_b32_e32 v174, v19
	s_waitcnt vmcnt(2)
	v_mov_b32_e32 v30, v7
	v_mov_b32_e32 v123, v171
	s_waitcnt vmcnt(0)
	v_dual_mov_b32 v125, v173 :: v_dual_mov_b32 v146, v38
	s_delay_alu instid0(VALU_DEP_3)
	v_dual_mov_b32 v143, v35 :: v_dual_mov_b32 v138, v30
	v_mov_b32_e32 v135, v27
	v_dual_mov_b32 v145, v37 :: v_dual_mov_b32 v142, v34
	v_dual_mov_b32 v139, v31 :: v_dual_mov_b32 v136, v28
	;; [unrolled: 1-line block ×6, first 2 shown]
	v_mov_b32_e32 v139, v6
	v_dual_mov_b32 v127, v18 :: v_dual_mov_b32 v124, v172
	v_dual_mov_b32 v126, v174 :: v_dual_mov_b32 v129, v177
	;; [unrolled: 1-line block ×15, first 2 shown]
	v_mov_b32_e32 v110, v134
	v_mov_b32_e32 v104, v20
	v_dual_mov_b32 v116, v8 :: v_dual_mov_b32 v75, v99
	v_mov_b32_e32 v87, v111
	v_dual_mov_b32 v93, v117 :: v_dual_mov_b32 v78, v102
	s_delay_alu instid0(VALU_DEP_3)
	v_dual_mov_b32 v81, v105 :: v_dual_mov_b32 v92, v116
	v_dual_mov_b32 v80, v104 :: v_dual_mov_b32 v83, v107
	;; [unrolled: 1-line block ×11, first 2 shown]
	v_mov_b32_e32 v63, v75
	s_delay_alu instid0(VALU_DEP_3)
	v_dual_mov_b32 v51, v87 :: v_dual_mov_b32 v54, v90
	v_dual_mov_b32 v71, v83 :: v_dual_mov_b32 v72, v84
	;; [unrolled: 1-line block ×14, first 2 shown]
	v_mov_b32_e32 v68, v80
	v_dual_mov_b32 v58, v10 :: v_dual_mov_b32 v59, v11
	v_dual_mov_b32 v60, v12 :: v_dual_mov_b32 v61, v2
	;; [unrolled: 1-line block ×14, first 2 shown]
	v_mov_b32_e32 v150, v30
	v_dual_mov_b32 v148, v28 :: v_dual_mov_b32 v19, v18
	v_dual_mov_b32 v4, v3 :: v_dual_mov_b32 v7, v6
.LBB8_71:
	s_or_b32 exec_lo, exec_lo, s2
	v_mov_b32_e32 v3, v44
	s_mov_b32 s2, exec_lo
	s_delay_alu instid0(VALU_DEP_2)
	v_cmpx_lt_f32_e32 v4, v44
	s_cbranch_execz .LBB8_73
; %bb.72:
	v_mov_b32_e32 v163, v20
	v_mov_b32_e32 v151, v8
	v_dual_mov_b32 v99, v159 :: v_dual_mov_b32 v102, v162
	v_dual_mov_b32 v111, v147 :: v_dual_mov_b32 v112, v148
	;; [unrolled: 1-line block ×10, first 2 shown]
	v_mov_b32_e32 v108, v168
	v_dual_mov_b32 v104, v164 :: v_dual_mov_b32 v109, v169
	v_mov_b32_e32 v116, v7
	v_mov_b32_e32 v107, v167
	;; [unrolled: 1-line block ×3, first 2 shown]
	v_dual_mov_b32 v87, v111 :: v_dual_mov_b32 v90, v114
	v_dual_mov_b32 v88, v112 :: v_dual_mov_b32 v89, v113
	;; [unrolled: 1-line block ×12, first 2 shown]
	v_mov_b32_e32 v93, v9
	v_mov_b32_e32 v43, v44
	v_dual_mov_b32 v44, v4 :: v_dual_mov_b32 v81, v21
	v_dual_mov_b32 v51, v87 :: v_dual_mov_b32 v56, v92
	;; [unrolled: 1-line block ×15, first 2 shown]
	v_mov_b32_e32 v136, v148
	v_dual_mov_b32 v54, v90 :: v_dual_mov_b32 v59, v11
	v_mov_b32_e32 v62, v14
	v_dual_mov_b32 v61, v2 :: v_dual_mov_b32 v72, v24
	v_dual_mov_b32 v70, v22 :: v_dual_mov_b32 v71, v23
	;; [unrolled: 1-line block ×14, first 2 shown]
	v_mov_b32_e32 v8, v7
.LBB8_73:
	s_or_b32 exec_lo, exec_lo, s2
	v_mov_b32_e32 v4, v45
	s_mov_b32 s2, exec_lo
	v_cmpx_lt_f32_e32 v3, v45
	s_cbranch_execz .LBB8_75
; %bb.74:
	v_mov_b32_e32 v140, v9
	v_dual_mov_b32 v128, v21 :: v_dual_mov_b32 v87, v135
	v_mov_b32_e32 v93, v141
	v_dual_mov_b32 v93, v8 :: v_dual_mov_b32 v94, v142
	v_dual_mov_b32 v96, v144 :: v_dual_mov_b32 v97, v145
	v_mov_b32_e32 v98, v146
	v_dual_mov_b32 v44, v45 :: v_dual_mov_b32 v75, v123
	v_dual_mov_b32 v84, v132 :: v_dual_mov_b32 v85, v133
	;; [unrolled: 1-line block ×8, first 2 shown]
	v_mov_b32_e32 v81, v20
	v_dual_mov_b32 v51, v87 :: v_dual_mov_b32 v52, v88
	v_dual_mov_b32 v76, v124 :: v_dual_mov_b32 v77, v125
	;; [unrolled: 1-line block ×30, first 2 shown]
	v_mov_b32_e32 v120, v144
	v_dual_mov_b32 v122, v146 :: v_dual_mov_b32 v21, v20
	v_dual_mov_b32 v4, v3 :: v_dual_mov_b32 v9, v8
.LBB8_75:
	s_or_b32 exec_lo, exec_lo, s2
	v_mov_b32_e32 v3, v46
	s_mov_b32 s2, exec_lo
	s_delay_alu instid0(VALU_DEP_2)
	v_cmpx_lt_f32_e32 v4, v46
	s_cbranch_execz .LBB8_77
; %bb.76:
	v_mov_b32_e32 v117, v10
	v_dual_mov_b32 v45, v46 :: v_dual_mov_b32 v46, v4
	v_mov_b32_e32 v105, v22
	v_dual_mov_b32 v51, v111 :: v_dual_mov_b32 v54, v114
	v_dual_mov_b32 v56, v116 :: v_dual_mov_b32 v63, v99
	;; [unrolled: 1-line block ×6, first 2 shown]
	v_mov_b32_e32 v58, v9
	v_dual_mov_b32 v61, v121 :: v_dual_mov_b32 v60, v12
	v_dual_mov_b32 v67, v103 :: v_dual_mov_b32 v70, v106
	;; [unrolled: 1-line block ×8, first 2 shown]
	v_mov_b32_e32 v62, v14
	v_dual_mov_b32 v61, v2 :: v_dual_mov_b32 v64, v100
	v_dual_mov_b32 v65, v101 :: v_dual_mov_b32 v68, v104
	;; [unrolled: 1-line block ×15, first 2 shown]
	v_mov_b32_e32 v98, v122
.LBB8_77:
	s_or_b32 exec_lo, exec_lo, s2
	v_mov_b32_e32 v4, v47
	s_mov_b32 s2, exec_lo
	v_cmpx_lt_f32_e32 v3, v47
	s_cbranch_execz .LBB8_79
; %bb.78:
	v_dual_mov_b32 v84, v24 :: v_dual_mov_b32 v85, v1
	v_dual_mov_b32 v94, v11 :: v_dual_mov_b32 v95, v10
	;; [unrolled: 1-line block ×4, first 2 shown]
	v_mov_b32_e32 v86, v26
	v_mov_b32_e32 v46, v47
	v_dual_mov_b32 v47, v3 :: v_dual_mov_b32 v98, v14
	v_dual_mov_b32 v63, v75 :: v_dual_mov_b32 v72, v84
	v_dual_mov_b32 v51, v87 :: v_dual_mov_b32 v64, v76
	v_mov_b32_e32 v67, v79
	v_dual_mov_b32 v65, v77 :: v_dual_mov_b32 v66, v78
	v_dual_mov_b32 v69, v81 :: v_dual_mov_b32 v68, v80
	;; [unrolled: 1-line block ×9, first 2 shown]
	v_mov_b32_e32 v62, v98
	v_mov_b32_e32 v4, v3
.LBB8_79:
	s_or_b32 exec_lo, exec_lo, s2
	s_delay_alu instid0(VALU_DEP_1)
	v_cmp_lt_f32_e32 vcc_lo, v4, v48
	v_dual_mov_b32 v3, v41 :: v_dual_mov_b32 v8, v46
	v_dual_mov_b32 v5, v43 :: v_dual_mov_b32 v12, v50
	s_waitcnt vmcnt(0)
	v_cndmask_b32_e32 v37, v72, v71, vcc_lo
	v_dual_cndmask_b32 v71, v71, v72 :: v_dual_cndmask_b32 v38, v60, v59
	v_dual_cndmask_b32 v59, v59, v60 :: v_dual_mov_b32 v2, v40
	v_dual_cndmask_b32 v10, v48, v4 :: v_dual_mov_b32 v1, v39
	;; [unrolled: 1-line block ×3, first 2 shown]
	v_dual_mov_b32 v4, v42 :: v_dual_mov_b32 v7, v45
	v_mov_b32_e32 v11, v49
	s_mov_b32 s2, exec_lo
	v_cmpx_lt_f32_e32 v39, v40
	s_cbranch_execz .LBB8_81
; %bb.80:
	v_dual_mov_b32 v13, v2 :: v_dual_mov_b32 v14, v1
	v_dual_mov_b32 v15, v3 :: v_dual_mov_b32 v16, v4
	;; [unrolled: 1-line block ×6, first 2 shown]
	v_mov_b32_e32 v25, v63
	v_dual_mov_b32 v26, v51 :: v_dual_mov_b32 v1, v13
	v_swap_b32 v63, v64
	v_swap_b32 v51, v52
	v_dual_mov_b32 v2, v14 :: v_dual_mov_b32 v3, v15
	v_dual_mov_b32 v4, v16 :: v_dual_mov_b32 v5, v17
	;; [unrolled: 1-line block ×5, first 2 shown]
	v_mov_b32_e32 v12, v24
	v_mov_b32_e32 v40, v39
.LBB8_81:
	s_or_b32 exec_lo, exec_lo, s2
	v_mov_b32_e32 v60, v38
	v_dual_mov_b32 v72, v37 :: v_dual_mov_b32 v13, v51
	v_dual_mov_b32 v25, v63 :: v_dual_mov_b32 v98, v74
	;; [unrolled: 1-line block ×60, first 2 shown]
	s_mov_b32 s2, exec_lo
	v_dual_mov_b32 v96, v72 :: v_dual_mov_b32 v93, v69
	v_cmpx_lt_f32_e32 v40, v3
	s_cbranch_execz .LBB8_83
; %bb.82:
	v_dual_mov_b32 v134, v62 :: v_dual_mov_b32 v133, v61
	v_dual_mov_b32 v124, v52 :: v_dual_mov_b32 v123, v51
	v_mov_b32_e32 v124, v53
	v_dual_mov_b32 v128, v56 :: v_dual_mov_b32 v127, v55
	v_dual_mov_b32 v132, v60 :: v_dual_mov_b32 v131, v59
	;; [unrolled: 1-line block ×11, first 2 shown]
	v_mov_b32_e32 v141, v69
	v_dual_mov_b32 v136, v65 :: v_dual_mov_b32 v137, v64
	v_dual_mov_b32 v160, v124 :: v_dual_mov_b32 v159, v123
	v_dual_mov_b32 v164, v128 :: v_dual_mov_b32 v163, v127
	v_dual_mov_b32 v168, v132 :: v_dual_mov_b32 v167, v131
	v_dual_mov_b32 v158, v146 :: v_dual_mov_b32 v155, v143
	v_dual_mov_b32 v162, v126 :: v_dual_mov_b32 v161, v125
	v_dual_mov_b32 v150, v138 :: v_dual_mov_b32 v147, v135
	v_dual_mov_b32 v152, v140 :: v_dual_mov_b32 v149, v137
	v_dual_mov_b32 v166, v130 :: v_dual_mov_b32 v165, v129
	v_dual_mov_b32 v162, v54 :: v_dual_mov_b32 v157, v145
	v_dual_mov_b32 v156, v144 :: v_dual_mov_b32 v153, v141
	v_dual_mov_b32 v154, v142 :: v_dual_mov_b32 v151, v139
	v_dual_mov_b32 v148, v136 :: v_dual_mov_b32 v111, v159
	v_dual_mov_b32 v150, v66 :: v_dual_mov_b32 v113, v161
	v_dual_mov_b32 v112, v160 :: v_dual_mov_b32 v115, v163
	v_dual_mov_b32 v116, v164 :: v_dual_mov_b32 v119, v167
	v_dual_mov_b32 v120, v168 :: v_dual_mov_b32 v115, v55
	v_dual_mov_b32 v122, v170 :: v_dual_mov_b32 v99, v147
	v_dual_mov_b32 v104, v152 :: v_dual_mov_b32 v105, v153
	v_dual_mov_b32 v114, v162 :: v_dual_mov_b32 v117, v165
	v_dual_mov_b32 v118, v166 :: v_dual_mov_b32 v121, v169
	v_dual_mov_b32 v102, v150 :: v_dual_mov_b32 v103, v151
	v_dual_mov_b32 v106, v154 :: v_dual_mov_b32 v107, v155
	v_dual_mov_b32 v108, v156 :: v_dual_mov_b32 v109, v157
	v_dual_mov_b32 v110, v158 :: v_dual_mov_b32 v103, v67
	v_dual_mov_b32 v100, v148 :: v_dual_mov_b32 v101, v149
	v_dual_mov_b32 v75, v111 :: v_dual_mov_b32 v76, v112
	v_dual_mov_b32 v79, v115 :: v_dual_mov_b32 v80, v116
	v_dual_mov_b32 v83, v119 :: v_dual_mov_b32 v84, v120
	v_dual_mov_b32 v80, v56 :: v_dual_mov_b32 v87, v99
	v_dual_mov_b32 v77, v113 :: v_dual_mov_b32 v78, v114
	v_dual_mov_b32 v92, v104 :: v_dual_mov_b32 v93, v105
	v_dual_mov_b32 v81, v117 :: v_dual_mov_b32 v82, v118
	v_dual_mov_b32 v85, v121 :: v_dual_mov_b32 v86, v122
	v_dual_mov_b32 v90, v102 :: v_dual_mov_b32 v91, v103
	v_dual_mov_b32 v94, v106 :: v_dual_mov_b32 v95, v107
	v_dual_mov_b32 v96, v108 :: v_dual_mov_b32 v97, v109
	v_dual_mov_b32 v98, v110 :: v_dual_mov_b32 v13, v75
	v_dual_mov_b32 v92, v68 :: v_dual_mov_b32 v15, v77
	v_dual_mov_b32 v88, v100 :: v_dual_mov_b32 v89, v101
	v_mov_b32_e32 v22, v84
	v_dual_mov_b32 v22, v38 :: v_dual_mov_b32 v25, v87
	v_dual_mov_b32 v16, v78 :: v_dual_mov_b32 v19, v81
	;; [unrolled: 1-line block ×16, first 2 shown]
	v_mov_b32_e32 v35, v73
	v_dual_mov_b32 v34, v37 :: v_dual_mov_b32 v39, v40
	v_dual_mov_b32 v36, v74 :: v_dual_mov_b32 v65, v64
	v_mov_b32_e32 v53, v52
.LBB8_83:
	s_or_b32 exec_lo, exec_lo, s2
	v_mov_b32_e32 v40, v4
	s_mov_b32 s2, exec_lo
	v_cmpx_lt_f32_e32 v39, v4
	s_cbranch_execz .LBB8_85
; %bb.84:
	v_mov_b32_e32 v137, v66
	v_mov_b32_e32 v125, v54
	;; [unrolled: 1-line block ×4, first 2 shown]
	v_dual_mov_b32 v170, v134 :: v_dual_mov_b32 v169, v133
	v_dual_mov_b32 v168, v132 :: v_dual_mov_b32 v159, v123
	;; [unrolled: 1-line block ×9, first 2 shown]
	v_mov_b32_e32 v157, v145
	v_dual_mov_b32 v155, v143 :: v_dual_mov_b32 v152, v140
	v_mov_b32_e32 v162, v53
	v_mov_b32_e32 v149, v137
	v_dual_mov_b32 v150, v65 :: v_dual_mov_b32 v111, v159
	v_dual_mov_b32 v112, v160 :: v_dual_mov_b32 v99, v147
	;; [unrolled: 1-line block ×13, first 2 shown]
	v_mov_b32_e32 v115, v55
	v_dual_mov_b32 v87, v99 :: v_dual_mov_b32 v88, v100
	v_dual_mov_b32 v75, v111 :: v_dual_mov_b32 v78, v114
	v_dual_mov_b32 v76, v112 :: v_dual_mov_b32 v77, v113
	s_delay_alu instid0(VALU_DEP_4)
	v_dual_mov_b32 v80, v116 :: v_dual_mov_b32 v79, v115
	v_dual_mov_b32 v82, v118 :: v_dual_mov_b32 v81, v117
	;; [unrolled: 1-line block ×6, first 2 shown]
	v_mov_b32_e32 v96, v108
	v_dual_mov_b32 v92, v104 :: v_dual_mov_b32 v93, v105
	v_dual_mov_b32 v98, v110 :: v_dual_mov_b32 v95, v107
	;; [unrolled: 1-line block ×21, first 2 shown]
	v_mov_b32_e32 v34, v37
	v_dual_mov_b32 v35, v73 :: v_dual_mov_b32 v36, v74
	v_mov_b32_e32 v40, v39
	v_mov_b32_e32 v66, v65
	v_mov_b32_e32 v54, v53
.LBB8_85:
	s_or_b32 exec_lo, exec_lo, s2
	v_mov_b32_e32 v39, v5
	s_mov_b32 s2, exec_lo
	v_cmpx_lt_f32_e32 v40, v5
	s_cbranch_execz .LBB8_87
; %bb.86:
	v_mov_b32_e32 v126, v55
	v_mov_b32_e32 v111, v123
	;; [unrolled: 1-line block ×3, first 2 shown]
	v_dual_mov_b32 v115, v54 :: v_dual_mov_b32 v116, v128
	v_dual_mov_b32 v138, v67 :: v_dual_mov_b32 v113, v125
	v_mov_b32_e32 v112, v124
	v_dual_mov_b32 v118, v130 :: v_dual_mov_b32 v119, v131
	v_dual_mov_b32 v120, v132 :: v_dual_mov_b32 v121, v133
	;; [unrolled: 1-line block ×24, first 2 shown]
	v_mov_b32_e32 v22, v84
	v_dual_mov_b32 v22, v38 :: v_dual_mov_b32 v25, v87
	v_dual_mov_b32 v16, v78 :: v_dual_mov_b32 v19, v81
	;; [unrolled: 1-line block ×18, first 2 shown]
	v_mov_b32_e32 v35, v73
	v_dual_mov_b32 v34, v37 :: v_dual_mov_b32 v155, v143
	v_dual_mov_b32 v36, v74 :: v_dual_mov_b32 v157, v145
	;; [unrolled: 1-line block ×12, first 2 shown]
	v_mov_b32_e32 v55, v54
.LBB8_87:
	s_or_b32 exec_lo, exec_lo, s2
	v_mov_b32_e32 v40, v6
	s_mov_b32 s2, exec_lo
	v_cmpx_lt_f32_e32 v39, v6
	s_cbranch_execz .LBB8_89
; %bb.88:
	v_mov_b32_e32 v163, v56
	v_dual_mov_b32 v75, v159 :: v_dual_mov_b32 v80, v164
	v_dual_mov_b32 v80, v55 :: v_dual_mov_b32 v81, v165
	;; [unrolled: 1-line block ×7, first 2 shown]
	v_mov_b32_e32 v85, v169
	v_dual_mov_b32 v89, v149 :: v_dual_mov_b32 v92, v152
	v_dual_mov_b32 v91, v151 :: v_dual_mov_b32 v94, v154
	;; [unrolled: 1-line block ×6, first 2 shown]
	v_mov_b32_e32 v88, v148
	v_mov_b32_e32 v6, v39
	s_delay_alu instid0(VALU_DEP_3) | instskip(NEXT) | instid1(VALU_DEP_3)
	v_dual_mov_b32 v13, v75 :: v_dual_mov_b32 v14, v76
	v_dual_mov_b32 v25, v87 :: v_dual_mov_b32 v26, v88
	;; [unrolled: 1-line block ×30, first 2 shown]
	v_mov_b32_e32 v40, v39
	v_mov_b32_e32 v68, v67
	;; [unrolled: 1-line block ×3, first 2 shown]
.LBB8_89:
	s_or_b32 exec_lo, exec_lo, s2
	v_mov_b32_e32 v39, v7
	s_mov_b32 s2, exec_lo
	v_cmpx_lt_f32_e32 v40, v7
	s_cbranch_execz .LBB8_91
; %bb.90:
	v_mov_b32_e32 v116, v57
	v_dual_mov_b32 v6, v7 :: v_dual_mov_b32 v7, v40
	v_dual_mov_b32 v104, v69 :: v_dual_mov_b32 v13, v111
	v_mov_b32_e32 v22, v120
	v_dual_mov_b32 v22, v38 :: v_dual_mov_b32 v25, v99
	v_mov_b32_e32 v34, v108
	v_dual_mov_b32 v34, v37 :: v_dual_mov_b32 v87, v99
	v_dual_mov_b32 v16, v114 :: v_dual_mov_b32 v19, v117
	;; [unrolled: 1-line block ×12, first 2 shown]
	v_mov_b32_e32 v23, v61
	v_dual_mov_b32 v21, v59 :: v_dual_mov_b32 v24, v62
	v_dual_mov_b32 v27, v101 :: v_dual_mov_b32 v26, v100
	;; [unrolled: 1-line block ×3, first 2 shown]
	v_mov_b32_e32 v35, v73
	v_dual_mov_b32 v33, v71 :: v_dual_mov_b32 v36, v74
	v_dual_mov_b32 v89, v101 :: v_dual_mov_b32 v88, v100
	v_dual_mov_b32 v91, v103 :: v_dual_mov_b32 v90, v102
	v_dual_mov_b32 v93, v105 :: v_dual_mov_b32 v92, v104
	v_dual_mov_b32 v95, v107 :: v_dual_mov_b32 v98, v110
	v_dual_mov_b32 v77, v113 :: v_dual_mov_b32 v76, v112
	v_dual_mov_b32 v79, v115 :: v_dual_mov_b32 v78, v114
	v_dual_mov_b32 v81, v117 :: v_dual_mov_b32 v80, v116
	v_dual_mov_b32 v83, v119 :: v_dual_mov_b32 v86, v122
	v_mov_b32_e32 v39, v40
	v_mov_b32_e32 v69, v68
	v_dual_mov_b32 v57, v56 :: v_dual_mov_b32 v94, v106
	v_dual_mov_b32 v97, v109 :: v_dual_mov_b32 v82, v118
	;; [unrolled: 1-line block ×3, first 2 shown]
.LBB8_91:
	s_or_b32 exec_lo, exec_lo, s2
	v_mov_b32_e32 v40, v8
	s_mov_b32 s2, exec_lo
	v_cmpx_lt_f32_e32 v39, v8
	s_cbranch_execz .LBB8_93
; %bb.92:
	v_dual_mov_b32 v81, v58 :: v_dual_mov_b32 v82, v57
	v_dual_mov_b32 v83, v59 :: v_dual_mov_b32 v84, v38
	v_dual_mov_b32 v85, v61 :: v_dual_mov_b32 v98, v74
	v_dual_mov_b32 v93, v70 :: v_dual_mov_b32 v94, v69
	v_dual_mov_b32 v95, v71 :: v_dual_mov_b32 v96, v37
	v_dual_mov_b32 v97, v73 :: v_dual_mov_b32 v86, v62
	v_dual_mov_b32 v25, v87 :: v_dual_mov_b32 v26, v88
	v_dual_mov_b32 v13, v75 :: v_dual_mov_b32 v14, v76
	v_dual_mov_b32 v7, v8 :: v_dual_mov_b32 v8, v39
	v_dual_mov_b32 v27, v89 :: v_dual_mov_b32 v28, v90
	v_dual_mov_b32 v29, v91 :: v_dual_mov_b32 v30, v92
	v_dual_mov_b32 v31, v93 :: v_dual_mov_b32 v32, v94
	v_dual_mov_b32 v33, v95 :: v_dual_mov_b32 v34, v96
	v_dual_mov_b32 v35, v97 :: v_dual_mov_b32 v36, v98
	v_dual_mov_b32 v15, v77 :: v_dual_mov_b32 v16, v78
	v_dual_mov_b32 v17, v79 :: v_dual_mov_b32 v18, v80
	v_dual_mov_b32 v19, v81 :: v_dual_mov_b32 v20, v82
	v_dual_mov_b32 v21, v83 :: v_dual_mov_b32 v22, v84
	v_dual_mov_b32 v23, v85 :: v_dual_mov_b32 v24, v86
	v_mov_b32_e32 v40, v39
.LBB8_93:
	s_or_b32 exec_lo, exec_lo, s2
	s_delay_alu instid0(VALU_DEP_1)
	v_cmp_lt_f32_e32 vcc_lo, v40, v9
	v_dual_mov_b32 v38, v2 :: v_dual_mov_b32 v41, v5
	v_dual_mov_b32 v42, v6 :: v_dual_mov_b32 v47, v11
	v_dual_cndmask_b32 v145, v33, v32 :: v_dual_cndmask_b32 v32, v32, v33
	v_dual_cndmask_b32 v146, v21, v20 :: v_dual_mov_b32 v39, v3
	v_dual_cndmask_b32 v20, v20, v21 :: v_dual_cndmask_b32 v45, v9, v40
	v_dual_cndmask_b32 v44, v8, v9 :: v_dual_mov_b32 v37, v1
	v_dual_mov_b32 v40, v4 :: v_dual_mov_b32 v43, v7
	v_mov_b32_e32 v46, v10
	v_mov_b32_e32 v48, v12
	s_mov_b32 s2, exec_lo
	v_cmpx_lt_f32_e32 v1, v2
	s_cbranch_execz .LBB8_95
; %bb.94:
	v_dual_mov_b32 v49, v38 :: v_dual_mov_b32 v50, v37
	v_dual_mov_b32 v51, v39 :: v_dual_mov_b32 v52, v40
	;; [unrolled: 1-line block ×6, first 2 shown]
	v_mov_b32_e32 v3, v25
	v_mov_b32_e32 v4, v13
	v_dual_mov_b32 v37, v49 :: v_dual_mov_b32 v40, v52
	v_swap_b32 v25, v26
	v_swap_b32 v13, v14
	v_dual_mov_b32 v38, v50 :: v_dual_mov_b32 v39, v51
	v_dual_mov_b32 v41, v53 :: v_dual_mov_b32 v42, v54
	v_dual_mov_b32 v43, v55 :: v_dual_mov_b32 v44, v56
	v_dual_mov_b32 v45, v57 :: v_dual_mov_b32 v46, v58
	v_dual_mov_b32 v47, v59 :: v_dual_mov_b32 v48, v60
	v_mov_b32_e32 v2, v1
.LBB8_95:
	s_or_b32 exec_lo, exec_lo, s2
	v_mov_b32_e32 v21, v146
	v_dual_mov_b32 v33, v145 :: v_dual_mov_b32 v60, v24
	v_dual_mov_b32 v72, v36 :: v_dual_mov_b32 v61, v25
	;; [unrolled: 1-line block ×43, first 2 shown]
	v_mov_b32_e32 v97, v13
	v_mov_b32_e32 v1, v39
	s_mov_b32 s2, exec_lo
	v_dual_mov_b32 v95, v35 :: v_dual_mov_b32 v94, v34
	v_dual_mov_b32 v93, v33 :: v_dual_mov_b32 v92, v32
	;; [unrolled: 1-line block ×5, first 2 shown]
	v_cmpx_lt_f32_e32 v2, v39
	s_cbranch_execz .LBB8_97
; %bb.96:
	v_dual_mov_b32 v108, v24 :: v_dual_mov_b32 v107, v23
	v_dual_mov_b32 v98, v14 :: v_dual_mov_b32 v97, v13
	v_mov_b32_e32 v98, v15
	v_dual_mov_b32 v104, v20 :: v_dual_mov_b32 v103, v19
	v_dual_mov_b32 v100, v16 :: v_dual_mov_b32 v99, v15
	;; [unrolled: 1-line block ×26, first 2 shown]
	v_mov_b32_e32 v84, v144
	v_dual_mov_b32 v74, v134 :: v_dual_mov_b32 v77, v137
	v_mov_b32_e32 v75, v135
	v_dual_mov_b32 v38, v39 :: v_dual_mov_b32 v85, v121
	v_dual_mov_b32 v76, v136 :: v_dual_mov_b32 v79, v139
	v_dual_mov_b32 v78, v138 :: v_dual_mov_b32 v81, v141
	v_dual_mov_b32 v82, v142 :: v_dual_mov_b32 v77, v17
	v_dual_mov_b32 v88, v124 :: v_dual_mov_b32 v89, v125
	v_dual_mov_b32 v90, v126 :: v_dual_mov_b32 v91, v127
	v_dual_mov_b32 v92, v128 :: v_dual_mov_b32 v93, v129
	v_dual_mov_b32 v94, v130 :: v_dual_mov_b32 v95, v131
	v_dual_mov_b32 v96, v132 :: v_dual_mov_b32 v89, v29
	v_dual_mov_b32 v86, v122 :: v_dual_mov_b32 v87, v123
	v_mov_b32_e32 v39, v2
	v_dual_mov_b32 v49, v73 :: v_dual_mov_b32 v50, v74
	v_dual_mov_b32 v59, v83 :: v_dual_mov_b32 v60, v84
	;; [unrolled: 1-line block ×18, first 2 shown]
	v_mov_b32_e32 v70, v34
	v_dual_mov_b32 v72, v36 :: v_dual_mov_b32 v1, v2
	v_mov_b32_e32 v27, v26
	v_mov_b32_e32 v15, v14
.LBB8_97:
	s_or_b32 exec_lo, exec_lo, s2
	v_mov_b32_e32 v2, v40
	s_mov_b32 s2, exec_lo
	v_cmpx_lt_f32_e32 v1, v40
	s_cbranch_execz .LBB8_99
; %bb.98:
	v_mov_b32_e32 v99, v16
	v_mov_b32_e32 v144, v108
	;; [unrolled: 1-line block ×3, first 2 shown]
	v_dual_mov_b32 v136, v15 :: v_dual_mov_b32 v111, v28
	v_dual_mov_b32 v142, v106 :: v_dual_mov_b32 v133, v97
	v_dual_mov_b32 v132, v120 :: v_dual_mov_b32 v121, v109
	v_dual_mov_b32 v137, v101 :: v_dual_mov_b32 v134, v98
	v_mov_b32_e32 v135, v99
	v_dual_mov_b32 v125, v113 :: v_dual_mov_b32 v124, v112
	v_mov_b32_e32 v143, v107
	v_dual_mov_b32 v141, v105 :: v_dual_mov_b32 v140, v104
	v_dual_mov_b32 v139, v103 :: v_dual_mov_b32 v138, v102
	;; [unrolled: 1-line block ×18, first 2 shown]
	v_mov_b32_e32 v95, v131
	v_dual_mov_b32 v89, v29 :: v_dual_mov_b32 v88, v124
	v_dual_mov_b32 v49, v73 :: v_dual_mov_b32 v54, v78
	v_mov_b32_e32 v50, v74
	v_dual_mov_b32 v52, v76 :: v_dual_mov_b32 v61, v85
	s_delay_alu instid0(VALU_DEP_4)
	v_dual_mov_b32 v64, v88 :: v_dual_mov_b32 v51, v75
	v_dual_mov_b32 v56, v80 :: v_dual_mov_b32 v53, v77
	;; [unrolled: 1-line block ×12, first 2 shown]
	v_mov_b32_e32 v58, v22
	v_dual_mov_b32 v57, v146 :: v_dual_mov_b32 v60, v24
	v_dual_mov_b32 v59, v23 :: v_dual_mov_b32 v62, v86
	;; [unrolled: 1-line block ×5, first 2 shown]
	v_mov_b32_e32 v2, v1
	v_mov_b32_e32 v28, v27
	v_mov_b32_e32 v16, v15
.LBB8_99:
	s_or_b32 exec_lo, exec_lo, s2
	v_mov_b32_e32 v1, v41
	s_mov_b32 s2, exec_lo
	v_cmpx_lt_f32_e32 v2, v41
	s_cbranch_execz .LBB8_101
; %bb.100:
	v_mov_b32_e32 v100, v17
	v_mov_b32_e32 v73, v97
	;; [unrolled: 1-line block ×3, first 2 shown]
	v_dual_mov_b32 v77, v16 :: v_dual_mov_b32 v78, v102
	v_dual_mov_b32 v112, v29 :: v_dual_mov_b32 v75, v99
	;; [unrolled: 1-line block ×3, first 2 shown]
	v_mov_b32_e32 v84, v108
	v_dual_mov_b32 v74, v98 :: v_dual_mov_b32 v85, v109
	v_mov_b32_e32 v86, v110
	v_dual_mov_b32 v76, v100 :: v_dual_mov_b32 v79, v103
	v_dual_mov_b32 v80, v104 :: v_dual_mov_b32 v81, v105
	;; [unrolled: 1-line block ×8, first 2 shown]
	v_mov_b32_e32 v49, v73
	v_dual_mov_b32 v89, v28 :: v_dual_mov_b32 v50, v74
	v_dual_mov_b32 v59, v83 :: v_dual_mov_b32 v60, v84
	;; [unrolled: 1-line block ×32, first 2 shown]
	v_mov_b32_e32 v17, v16
.LBB8_101:
	s_or_b32 exec_lo, exec_lo, s2
	v_mov_b32_e32 v2, v42
	s_mov_b32 s2, exec_lo
	v_cmpx_lt_f32_e32 v1, v42
	s_cbranch_execz .LBB8_103
; %bb.102:
	v_mov_b32_e32 v137, v18
	v_mov_b32_e32 v125, v30
	v_dual_mov_b32 v41, v42 :: v_dual_mov_b32 v42, v1
	v_dual_mov_b32 v49, v133 :: v_dual_mov_b32 v50, v134
	;; [unrolled: 1-line block ×13, first 2 shown]
	v_mov_b32_e32 v66, v29
	v_dual_mov_b32 v85, v121 :: v_dual_mov_b32 v86, v122
	v_dual_mov_b32 v73, v133 :: v_dual_mov_b32 v74, v134
	;; [unrolled: 1-line block ×4, first 2 shown]
	v_mov_b32_e32 v64, v124
	v_dual_mov_b32 v58, v22 :: v_dual_mov_b32 v59, v23
	v_dual_mov_b32 v67, v31 :: v_dual_mov_b32 v68, v32
	;; [unrolled: 1-line block ×8, first 2 shown]
	v_mov_b32_e32 v2, v1
	v_mov_b32_e32 v30, v29
	v_dual_mov_b32 v18, v17 :: v_dual_mov_b32 v91, v127
	v_dual_mov_b32 v92, v128 :: v_dual_mov_b32 v93, v129
	;; [unrolled: 1-line block ×6, first 2 shown]
	v_mov_b32_e32 v84, v144
.LBB8_103:
	s_or_b32 exec_lo, exec_lo, s2
	v_mov_b32_e32 v1, v43
	s_mov_b32 s2, exec_lo
	v_cmpx_lt_f32_e32 v2, v43
	s_cbranch_execz .LBB8_105
; %bb.104:
	v_dual_mov_b32 v94, v34 :: v_dual_mov_b32 v95, v35
	v_dual_mov_b32 v78, v19 :: v_dual_mov_b32 v79, v18
	v_dual_mov_b32 v80, v20 :: v_dual_mov_b32 v81, v146
	v_dual_mov_b32 v82, v22 :: v_dual_mov_b32 v83, v23
	v_dual_mov_b32 v90, v31 :: v_dual_mov_b32 v91, v30
	v_dual_mov_b32 v92, v32 :: v_dual_mov_b32 v93, v145
	v_mov_b32_e32 v96, v36
	v_dual_mov_b32 v42, v43 :: v_dual_mov_b32 v43, v2
	v_dual_mov_b32 v84, v24 :: v_dual_mov_b32 v61, v85
	;; [unrolled: 1-line block ×14, first 2 shown]
.LBB8_105:
	s_or_b32 exec_lo, exec_lo, s2
	s_delay_alu instid0(VALU_DEP_1)
	v_cmp_lt_f32_e32 vcc_lo, v1, v44
	v_dual_mov_b32 v3, v39 :: v_dual_mov_b32 v10, v46
	v_dual_mov_b32 v5, v41 :: v_dual_mov_b32 v12, v48
	v_dual_cndmask_b32 v121, v68, v67 :: v_dual_mov_b32 v2, v38
	v_dual_cndmask_b32 v67, v67, v68 :: v_dual_cndmask_b32 v122, v56, v55
	v_dual_cndmask_b32 v55, v55, v56 :: v_dual_cndmask_b32 v8, v44, v1
	v_dual_cndmask_b32 v7, v43, v44 :: v_dual_mov_b32 v4, v40
	v_dual_mov_b32 v1, v37 :: v_dual_mov_b32 v6, v42
	v_mov_b32_e32 v9, v45
	v_mov_b32_e32 v11, v47
	s_mov_b32 s2, exec_lo
	v_cmpx_lt_f32_e32 v37, v38
	s_cbranch_execz .LBB8_107
; %bb.106:
	v_dual_mov_b32 v13, v2 :: v_dual_mov_b32 v14, v1
	v_dual_mov_b32 v15, v3 :: v_dual_mov_b32 v16, v4
	v_dual_mov_b32 v17, v5 :: v_dual_mov_b32 v18, v6
	v_dual_mov_b32 v19, v7 :: v_dual_mov_b32 v20, v8
	v_dual_mov_b32 v21, v9 :: v_dual_mov_b32 v22, v10
	v_dual_mov_b32 v23, v11 :: v_dual_mov_b32 v24, v12
	v_mov_b32_e32 v25, v61
	v_mov_b32_e32 v26, v49
	v_dual_mov_b32 v1, v13 :: v_dual_mov_b32 v4, v16
	v_swap_b32 v61, v62
	v_swap_b32 v49, v50
	v_dual_mov_b32 v2, v14 :: v_dual_mov_b32 v3, v15
	v_dual_mov_b32 v5, v17 :: v_dual_mov_b32 v6, v18
	;; [unrolled: 1-line block ×5, first 2 shown]
	v_mov_b32_e32 v38, v37
.LBB8_107:
	s_or_b32 exec_lo, exec_lo, s2
	v_mov_b32_e32 v56, v122
	v_mov_b32_e32 v68, v121
	;; [unrolled: 1-line block ×3, first 2 shown]
	v_dual_mov_b32 v27, v51 :: v_dual_mov_b32 v84, v72
	v_mov_b32_e32 v81, v69
	v_dual_mov_b32 v83, v71 :: v_dual_mov_b32 v96, v60
	v_dual_mov_b32 v91, v55 :: v_dual_mov_b32 v120, v72
	v_dual_mov_b32 v117, v69 :: v_dual_mov_b32 v108, v72
	v_dual_mov_b32 v105, v69 :: v_dual_mov_b32 v88, v52
	v_dual_mov_b32 v13, v49 :: v_dual_mov_b32 v82, v70
	v_dual_mov_b32 v79, v67 :: v_dual_mov_b32 v80, v68
	v_dual_mov_b32 v77, v65 :: v_dual_mov_b32 v78, v66
	v_dual_mov_b32 v75, v63 :: v_dual_mov_b32 v76, v64
	v_dual_mov_b32 v73, v61 :: v_dual_mov_b32 v74, v62
	v_dual_mov_b32 v119, v71 :: v_dual_mov_b32 v114, v66
	v_dual_mov_b32 v111, v63 :: v_dual_mov_b32 v112, v64
	v_dual_mov_b32 v109, v61 :: v_dual_mov_b32 v110, v62
	v_dual_mov_b32 v107, v71 :: v_dual_mov_b32 v106, v70
	v_dual_mov_b32 v103, v67 :: v_dual_mov_b32 v104, v68
	v_dual_mov_b32 v101, v65 :: v_dual_mov_b32 v102, v66
	v_dual_mov_b32 v99, v63 :: v_dual_mov_b32 v100, v64
	v_dual_mov_b32 v97, v61 :: v_dual_mov_b32 v98, v62
	v_dual_mov_b32 v29, v53 :: v_dual_mov_b32 v26, v50
	v_dual_mov_b32 v28, v52 :: v_dual_mov_b32 v31, v55
	v_dual_mov_b32 v30, v54 :: v_dual_mov_b32 v33, v57
	v_dual_mov_b32 v32, v56 :: v_dual_mov_b32 v35, v59
	v_dual_mov_b32 v34, v58 :: v_dual_mov_b32 v95, v59
	v_dual_mov_b32 v36, v60 :: v_dual_mov_b32 v93, v57
	v_dual_mov_b32 v92, v56 :: v_dual_mov_b32 v87, v51
	v_dual_mov_b32 v90, v54 :: v_dual_mov_b32 v85, v49
	v_dual_mov_b32 v86, v50 :: v_dual_mov_b32 v15, v51
	v_dual_mov_b32 v14, v50 :: v_dual_mov_b32 v17, v53
	v_dual_mov_b32 v16, v52 :: v_dual_mov_b32 v19, v55
	v_dual_mov_b32 v18, v54 :: v_dual_mov_b32 v21, v57
	v_dual_mov_b32 v20, v56 :: v_dual_mov_b32 v23, v59
	v_dual_mov_b32 v22, v58 :: v_dual_mov_b32 v37, v3
	v_mov_b32_e32 v24, v60
	s_mov_b32 s2, exec_lo
	v_dual_mov_b32 v118, v70 :: v_dual_mov_b32 v115, v67
	v_dual_mov_b32 v116, v68 :: v_dual_mov_b32 v113, v65
	;; [unrolled: 1-line block ×3, first 2 shown]
	v_cmpx_lt_f32_e32 v38, v3
	s_cbranch_execz .LBB8_109
; %bb.108:
	v_dual_mov_b32 v13, v49 :: v_dual_mov_b32 v14, v50
	v_dual_mov_b32 v23, v59 :: v_dual_mov_b32 v24, v60
	;; [unrolled: 1-line block ×30, first 2 shown]
	v_mov_b32_e32 v112, v64
	v_dual_mov_b32 v34, v94 :: v_dual_mov_b32 v35, v95
	v_dual_mov_b32 v35, v59 :: v_dual_mov_b32 v34, v58
	;; [unrolled: 1-line block ×15, first 2 shown]
	v_mov_b32_e32 v81, v69
	v_dual_mov_b32 v80, v121 :: v_dual_mov_b32 v83, v71
	v_mov_b32_e32 v82, v70
	v_dual_mov_b32 v84, v72 :: v_dual_mov_b32 v37, v38
	v_mov_b32_e32 v63, v62
	v_mov_b32_e32 v51, v50
.LBB8_109:
	s_or_b32 exec_lo, exec_lo, s2
	v_mov_b32_e32 v38, v4
	s_mov_b32 s2, exec_lo
	v_cmpx_lt_f32_e32 v37, v4
	s_cbranch_execz .LBB8_111
; %bb.110:
	v_mov_b32_e32 v15, v52
	v_mov_b32_e32 v96, v24
	;; [unrolled: 1-line block ×3, first 2 shown]
	v_dual_mov_b32 v88, v51 :: v_dual_mov_b32 v99, v64
	v_dual_mov_b32 v94, v22 :: v_dual_mov_b32 v85, v13
	;; [unrolled: 1-line block ×3, first 2 shown]
	v_mov_b32_e32 v95, v23
	v_dual_mov_b32 v93, v21 :: v_dual_mov_b32 v92, v20
	v_dual_mov_b32 v91, v19 :: v_dual_mov_b32 v90, v18
	;; [unrolled: 1-line block ×7, first 2 shown]
	v_mov_b32_e32 v87, v15
	v_dual_mov_b32 v111, v99 :: v_dual_mov_b32 v110, v98
	v_dual_mov_b32 v112, v63 :: v_dual_mov_b32 v25, v85
	;; [unrolled: 1-line block ×3, first 2 shown]
	s_delay_alu instid0(VALU_DEP_3)
	v_dual_mov_b32 v74, v110 :: v_dual_mov_b32 v29, v89
	v_dual_mov_b32 v30, v90 :: v_dual_mov_b32 v31, v91
	;; [unrolled: 1-line block ×8, first 2 shown]
	v_mov_b32_e32 v84, v120
	v_dual_mov_b32 v3, v4 :: v_dual_mov_b32 v4, v37
	v_dual_mov_b32 v27, v87 :: v_dual_mov_b32 v28, v88
	;; [unrolled: 1-line block ×11, first 2 shown]
	v_mov_b32_e32 v38, v37
	v_mov_b32_e32 v64, v63
	;; [unrolled: 1-line block ×3, first 2 shown]
.LBB8_111:
	s_or_b32 exec_lo, exec_lo, s2
	v_mov_b32_e32 v16, v5
	s_mov_b32 s2, exec_lo
	v_cmpx_lt_f32_e32 v38, v5
	s_cbranch_execz .LBB8_113
; %bb.112:
	v_mov_b32_e32 v100, v65
	v_mov_b32_e32 v16, v53
	v_dual_mov_b32 v4, v5 :: v_dual_mov_b32 v5, v38
	v_dual_mov_b32 v36, v24 :: v_dual_mov_b32 v33, v21
	;; [unrolled: 1-line block ×3, first 2 shown]
	v_mov_b32_e32 v31, v19
	v_dual_mov_b32 v35, v59 :: v_dual_mov_b32 v34, v58
	v_dual_mov_b32 v73, v97 :: v_dual_mov_b32 v32, v20
	;; [unrolled: 1-line block ×8, first 2 shown]
	v_mov_b32_e32 v77, v64
	v_dual_mov_b32 v84, v108 :: v_dual_mov_b32 v79, v67
	v_dual_mov_b32 v120, v108 :: v_dual_mov_b32 v115, v103
	;; [unrolled: 1-line block ×19, first 2 shown]
	v_mov_b32_e32 v88, v16
	v_dual_mov_b32 v86, v14 :: v_dual_mov_b32 v65, v64
	v_dual_mov_b32 v16, v38 :: v_dual_mov_b32 v53, v52
	;; [unrolled: 1-line block ×3, first 2 shown]
.LBB8_113:
	s_or_b32 exec_lo, exec_lo, s2
	v_mov_b32_e32 v13, v6
	s_mov_b32 s2, exec_lo
	v_cmpx_lt_f32_e32 v16, v6
	s_cbranch_execz .LBB8_115
; %bb.114:
	v_dual_mov_b32 v89, v54 :: v_dual_mov_b32 v90, v53
	v_dual_mov_b32 v91, v55 :: v_dual_mov_b32 v92, v122
	;; [unrolled: 1-line block ×21, first 2 shown]
	v_mov_b32_e32 v13, v16
.LBB8_115:
	s_or_b32 exec_lo, exec_lo, s2
	s_delay_alu instid0(VALU_DEP_1)
	v_cmp_lt_f32_e32 vcc_lo, v13, v7
	v_dual_mov_b32 v14, v2 :: v_dual_mov_b32 v17, v5
	v_dual_mov_b32 v16, v4 :: v_dual_mov_b32 v21, v9
	v_dual_cndmask_b32 v37, v79, v78 :: v_dual_cndmask_b32 v78, v78, v79
	v_cndmask_b32_e32 v38, v31, v30, vcc_lo
	v_dual_cndmask_b32 v30, v30, v31 :: v_dual_cndmask_b32 v19, v7, v13
	v_dual_cndmask_b32 v18, v6, v7 :: v_dual_mov_b32 v15, v3
	v_dual_mov_b32 v13, v1 :: v_dual_mov_b32 v20, v8
	v_dual_mov_b32 v23, v11 :: v_dual_mov_b32 v22, v10
	v_mov_b32_e32 v24, v12
	s_mov_b32 s2, exec_lo
	v_cmpx_lt_f32_e32 v1, v2
	s_cbranch_execz .LBB8_117
; %bb.116:
	v_dual_mov_b32 v2, v14 :: v_dual_mov_b32 v3, v13
	v_dual_mov_b32 v12, v23 :: v_dual_mov_b32 v13, v24
	;; [unrolled: 1-line block ×6, first 2 shown]
	v_mov_b32_e32 v24, v13
	v_mov_b32_e32 v31, v73
	v_dual_mov_b32 v39, v25 :: v_dual_mov_b32 v18, v7
	v_swap_b32 v73, v74
	v_swap_b32 v25, v26
	v_dual_mov_b32 v23, v12 :: v_dual_mov_b32 v20, v9
	v_dual_mov_b32 v22, v11 :: v_dual_mov_b32 v21, v10
	;; [unrolled: 1-line block ×4, first 2 shown]
	v_mov_b32_e32 v15, v4
	v_dual_mov_b32 v13, v2 :: v_dual_mov_b32 v2, v1
.LBB8_117:
	s_or_b32 exec_lo, exec_lo, s2
	v_mov_b32_e32 v31, v38
	v_dual_mov_b32 v79, v37 :: v_dual_mov_b32 v50, v36
	v_dual_mov_b32 v51, v73 :: v_dual_mov_b32 v52, v74
	;; [unrolled: 1-line block ×24, first 2 shown]
	v_mov_b32_e32 v85, v25
	v_mov_b32_e32 v1, v15
	s_mov_b32 s2, exec_lo
	v_cmpx_lt_f32_e32 v2, v15
	s_cbranch_execz .LBB8_119
; %bb.118:
	v_dual_mov_b32 v96, v36 :: v_dual_mov_b32 v95, v35
	v_dual_mov_b32 v86, v26 :: v_dual_mov_b32 v85, v25
	;; [unrolled: 1-line block ×8, first 2 shown]
	v_mov_b32_e32 v105, v81
	v_dual_mov_b32 v43, v89 :: v_dual_mov_b32 v44, v90
	v_dual_mov_b32 v100, v76 :: v_dual_mov_b32 v97, v73
	;; [unrolled: 1-line block ×6, first 2 shown]
	v_mov_b32_e32 v98, v74
	v_dual_mov_b32 v98, v75 :: v_dual_mov_b32 v99, v74
	v_dual_mov_b32 v49, v95 :: v_dual_mov_b32 v50, v96
	;; [unrolled: 1-line block ×12, first 2 shown]
	v_mov_b32_e32 v40, v86
	v_dual_mov_b32 v42, v28 :: v_dual_mov_b32 v43, v29
	v_dual_mov_b32 v45, v38 :: v_dual_mov_b32 v46, v32
	;; [unrolled: 1-line block ×9, first 2 shown]
	v_mov_b32_e32 v75, v74
	v_mov_b32_e32 v27, v26
.LBB8_119:
	s_or_b32 exec_lo, exec_lo, s2
	v_mov_b32_e32 v2, v16
	s_mov_b32 s2, exec_lo
	v_cmpx_lt_f32_e32 v1, v16
	s_cbranch_execz .LBB8_121
; %bb.120:
	v_mov_b32_e32 v87, v28
	v_mov_b32_e32 v99, v76
	v_dual_mov_b32 v15, v16 :: v_dual_mov_b32 v16, v1
	v_dual_mov_b32 v39, v85 :: v_dual_mov_b32 v42, v88
	;; [unrolled: 1-line block ×13, first 2 shown]
	v_mov_b32_e32 v56, v78
	v_mov_b32_e32 v40, v86
	v_dual_mov_b32 v42, v27 :: v_dual_mov_b32 v43, v29
	v_dual_mov_b32 v45, v38 :: v_dual_mov_b32 v46, v32
	;; [unrolled: 1-line block ×8, first 2 shown]
	v_mov_b32_e32 v2, v1
	v_mov_b32_e32 v76, v75
	v_mov_b32_e32 v28, v27
.LBB8_121:
	s_or_b32 exec_lo, exec_lo, s2
	v_mov_b32_e32 v1, v17
	s_mov_b32 s2, exec_lo
	v_cmpx_lt_f32_e32 v2, v17
	s_cbranch_execz .LBB8_123
; %bb.122:
	v_dual_mov_b32 v106, v82 :: v_dual_mov_b32 v107, v83
	v_dual_mov_b32 v88, v29 :: v_dual_mov_b32 v89, v28
	;; [unrolled: 1-line block ×8, first 2 shown]
	v_mov_b32_e32 v108, v84
	v_dual_mov_b32 v16, v17 :: v_dual_mov_b32 v17, v2
	v_dual_mov_b32 v96, v36 :: v_dual_mov_b32 v51, v97
	;; [unrolled: 1-line block ×14, first 2 shown]
.LBB8_123:
	s_or_b32 exec_lo, exec_lo, s2
	s_delay_alu instid0(VALU_DEP_1)
	v_cmp_lt_f32_e32 vcc_lo, v1, v18
	v_dual_mov_b32 v27, v13 :: v_dual_mov_b32 v34, v20
	v_dual_mov_b32 v29, v15 :: v_dual_mov_b32 v36, v22
	v_dual_cndmask_b32 v63, v56, v55 :: v_dual_cndmask_b32 v32, v18, v1
	v_dual_cndmask_b32 v55, v55, v56 :: v_dual_cndmask_b32 v64, v44, v43
	v_dual_cndmask_b32 v43, v43, v44 :: v_dual_mov_b32 v28, v14
	v_dual_cndmask_b32 v31, v17, v18 :: v_dual_mov_b32 v30, v16
	v_dual_mov_b32 v33, v19 :: v_dual_mov_b32 v38, v24
	v_mov_b32_e32 v35, v21
	v_mov_b32_e32 v37, v23
	s_mov_b32 s2, exec_lo
	v_cmpx_lt_f32_e32 v13, v14
	s_cbranch_execz .LBB8_125
; %bb.124:
	s_delay_alu instid0(VALU_DEP_2)
	v_dual_mov_b32 v11, v37 :: v_dual_mov_b32 v12, v38
	v_dual_mov_b32 v1, v28 :: v_dual_mov_b32 v2, v27
	;; [unrolled: 1-line block ×7, first 2 shown]
	s_delay_alu instid0(VALU_DEP_2)
	v_dual_mov_b32 v16, v39 :: v_dual_mov_b32 v35, v9
	v_swap_b32 v51, v52
	v_swap_b32 v39, v40
	v_dual_mov_b32 v37, v11 :: v_dual_mov_b32 v36, v10
	v_dual_mov_b32 v34, v8 :: v_dual_mov_b32 v33, v7
	v_dual_mov_b32 v32, v6 :: v_dual_mov_b32 v31, v5
	v_dual_mov_b32 v30, v4 :: v_dual_mov_b32 v29, v3
	v_dual_mov_b32 v28, v2 :: v_dual_mov_b32 v27, v1
	v_mov_b32_e32 v14, v13
.LBB8_125:
	s_or_b32 exec_lo, exec_lo, s2
	v_mov_b32_e32 v44, v64
	v_mov_b32_e32 v56, v63
	;; [unrolled: 1-line block ×4, first 2 shown]
	v_dual_mov_b32 v15, v51 :: v_dual_mov_b32 v2, v40
	v_dual_mov_b32 v16, v52 :: v_dual_mov_b32 v17, v53
	;; [unrolled: 1-line block ×11, first 2 shown]
	v_mov_b32_e32 v12, v50
	s_mov_b32 s2, exec_lo
	v_cmpx_lt_f32_e32 v14, v29
	s_cbranch_execz .LBB8_127
; %bb.126:
	v_dual_mov_b32 v1, v39 :: v_dual_mov_b32 v2, v40
	v_dual_mov_b32 v11, v49 :: v_dual_mov_b32 v12, v50
	v_dual_mov_b32 v12, v50 :: v_dual_mov_b32 v15, v51
	v_dual_mov_b32 v3, v41 :: v_dual_mov_b32 v4, v42
	v_dual_mov_b32 v5, v43 :: v_dual_mov_b32 v6, v44
	v_dual_mov_b32 v7, v45 :: v_dual_mov_b32 v8, v46
	v_dual_mov_b32 v9, v47 :: v_dual_mov_b32 v10, v48
	v_dual_mov_b32 v16, v52 :: v_dual_mov_b32 v17, v53
	v_dual_mov_b32 v18, v54 :: v_dual_mov_b32 v19, v55
	v_dual_mov_b32 v20, v56 :: v_dual_mov_b32 v21, v57
	v_dual_mov_b32 v22, v58 :: v_dual_mov_b32 v23, v59
	v_dual_mov_b32 v24, v60 :: v_dual_mov_b32 v25, v61
	v_dual_mov_b32 v26, v62 :: v_dual_mov_b32 v17, v52
	v_dual_mov_b32 v28, v29 :: v_dual_mov_b32 v29, v14
	v_dual_mov_b32 v2, v41 :: v_dual_mov_b32 v3, v40
	v_dual_mov_b32 v4, v42 :: v_dual_mov_b32 v5, v43
	v_dual_mov_b32 v6, v64 :: v_dual_mov_b32 v7, v45
	v_dual_mov_b32 v8, v46 :: v_dual_mov_b32 v9, v47
	v_dual_mov_b32 v10, v48 :: v_dual_mov_b32 v11, v49
	v_dual_mov_b32 v16, v53 :: v_dual_mov_b32 v19, v55
	v_dual_mov_b32 v18, v54 :: v_dual_mov_b32 v21, v57
	v_dual_mov_b32 v20, v63 :: v_dual_mov_b32 v25, v61
	v_dual_mov_b32 v22, v58 :: v_dual_mov_b32 v23, v59
	v_dual_mov_b32 v24, v60 :: v_dual_mov_b32 v13, v14
	v_dual_mov_b32 v26, v62 :: v_dual_mov_b32 v53, v52
	v_mov_b32_e32 v41, v40
.LBB8_127:
	s_or_b32 exec_lo, exec_lo, s2
	v_mov_b32_e32 v39, v30
	s_mov_b32 s2, exec_lo
	v_cmpx_lt_f32_e32 v13, v30
	s_cbranch_execz .LBB8_129
; %bb.128:
	v_dual_mov_b32 v29, v30 :: v_dual_mov_b32 v30, v13
	v_dual_mov_b32 v3, v42 :: v_dual_mov_b32 v4, v41
	;; [unrolled: 1-line block ×11, first 2 shown]
	v_mov_b32_e32 v39, v13
.LBB8_129:
	s_or_b32 exec_lo, exec_lo, s2
	s_delay_alu instid0(VALU_DEP_1)
	v_cmp_lt_f32_e32 vcc_lo, v39, v31
	v_dual_mov_b32 v40, v28 :: v_dual_mov_b32 v45, v33
	v_dual_mov_b32 v44, v32 :: v_dual_mov_b32 v47, v35
	v_dual_cndmask_b32 v13, v19, v18 :: v_dual_cndmask_b32 v18, v18, v19
	v_dual_cndmask_b32 v14, v5, v4 :: v_dual_cndmask_b32 v43, v31, v39
	v_dual_cndmask_b32 v4, v4, v5 :: v_dual_mov_b32 v39, v27
	v_dual_cndmask_b32 v42, v30, v31 :: v_dual_mov_b32 v41, v29
	v_dual_mov_b32 v46, v34 :: v_dual_mov_b32 v49, v37
	v_mov_b32_e32 v48, v36
	v_mov_b32_e32 v50, v38
	s_mov_b32 s2, exec_lo
	v_cmpx_lt_f32_e32 v27, v28
	s_cbranch_execz .LBB8_131
; %bb.130:
	v_dual_mov_b32 v28, v40 :: v_dual_mov_b32 v29, v39
	v_dual_mov_b32 v38, v49 :: v_dual_mov_b32 v39, v50
	;; [unrolled: 1-line block ×7, first 2 shown]
	v_mov_b32_e32 v5, v15
	v_swap_b32 v15, v16
	s_delay_alu instid0(VALU_DEP_4)
	v_mov_b32_e32 v48, v37
	v_swap_b32 v1, v2
	v_dual_mov_b32 v49, v38 :: v_dual_mov_b32 v46, v35
	v_dual_mov_b32 v47, v36 :: v_dual_mov_b32 v44, v33
	;; [unrolled: 1-line block ×4, first 2 shown]
	v_mov_b32_e32 v41, v30
	v_dual_mov_b32 v39, v28 :: v_dual_mov_b32 v28, v27
.LBB8_131:
	s_or_b32 exec_lo, exec_lo, s2
	v_mov_b32_e32 v5, v14
	v_mov_b32_e32 v19, v13
	;; [unrolled: 1-line block ×3, first 2 shown]
	s_mov_b32 s2, exec_lo
	v_cmpx_lt_f32_e32 v28, v41
	s_cbranch_execz .LBB8_133
; %bb.132:
	v_dual_mov_b32 v74, v26 :: v_dual_mov_b32 v73, v25
	v_dual_mov_b32 v62, v12 :: v_dual_mov_b32 v61, v11
	v_dual_mov_b32 v72, v24 :: v_dual_mov_b32 v71, v23
	v_dual_mov_b32 v64, v16 :: v_dual_mov_b32 v63, v15
	v_dual_mov_b32 v60, v10 :: v_dual_mov_b32 v59, v9
	v_dual_mov_b32 v58, v8 :: v_dual_mov_b32 v57, v7
	v_dual_mov_b32 v56, v6 :: v_dual_mov_b32 v55, v5
	v_dual_mov_b32 v54, v4 :: v_dual_mov_b32 v53, v3
	v_dual_mov_b32 v52, v2 :: v_dual_mov_b32 v51, v1
	v_dual_mov_b32 v70, v22 :: v_dual_mov_b32 v69, v21
	v_dual_mov_b32 v68, v20 :: v_dual_mov_b32 v67, v19
	v_dual_mov_b32 v66, v18 :: v_dual_mov_b32 v65, v17
	v_dual_mov_b32 v72, v24 :: v_dual_mov_b32 v73, v25
	v_dual_mov_b32 v52, v3 :: v_dual_mov_b32 v53, v2
	v_dual_mov_b32 v54, v4 :: v_dual_mov_b32 v55, v14
	v_dual_mov_b32 v56, v6 :: v_dual_mov_b32 v57, v7
	v_dual_mov_b32 v58, v8 :: v_dual_mov_b32 v59, v9
	v_dual_mov_b32 v60, v10 :: v_dual_mov_b32 v61, v11
	v_dual_mov_b32 v64, v17 :: v_dual_mov_b32 v65, v16
	v_dual_mov_b32 v66, v18 :: v_dual_mov_b32 v67, v13
	v_dual_mov_b32 v68, v20 :: v_dual_mov_b32 v69, v21
	v_dual_mov_b32 v70, v22 :: v_dual_mov_b32 v71, v23
	v_mov_b32_e32 v74, v26
	v_dual_mov_b32 v40, v41 :: v_dual_mov_b32 v41, v28
	v_dual_mov_b32 v62, v12 :: v_dual_mov_b32 v15, v63
	;; [unrolled: 1-line block ×14, first 2 shown]
.LBB8_133:
	s_or_b32 exec_lo, exec_lo, s2
	s_delay_alu instid0(VALU_DEP_1)
	v_cmp_lt_f32_e32 vcc_lo, v27, v42
	v_dual_mov_b32 v28, v23 :: v_dual_mov_b32 v29, v24
	v_dual_mov_b32 v30, v25 :: v_dual_mov_b32 v31, v26
	v_dual_cndmask_b32 v13, v18, v17 :: v_dual_cndmask_b32 v14, v4, v3
	v_dual_cndmask_b32 v51, v17, v18 :: v_dual_cndmask_b32 v56, v3, v4
	;; [unrolled: 1-line block ×3, first 2 shown]
	v_cmp_lt_f32_e32 vcc_lo, v39, v40
	v_dual_mov_b32 v4, v19 :: v_dual_mov_b32 v17, v20
	v_dual_mov_b32 v18, v21 :: v_dual_mov_b32 v27, v22
	;; [unrolled: 1-line block ×10, first 2 shown]
	v_mov_b32_e32 v59, v50
	s_and_saveexec_b32 s2, vcc_lo
	s_cbranch_execz .LBB8_135
; %bb.134:
	v_dual_mov_b32 v42, v40 :: v_dual_mov_b32 v27, v22
	v_dual_mov_b32 v4, v15 :: v_dual_mov_b32 v17, v20
	;; [unrolled: 1-line block ×3, first 2 shown]
	v_swap_b32 v15, v16
	v_swap_b32 v1, v2
	v_dual_mov_b32 v40, v39 :: v_dual_mov_b32 v29, v24
	v_dual_mov_b32 v4, v19 :: v_dual_mov_b32 v31, v26
	;; [unrolled: 1-line block ×11, first 2 shown]
	v_mov_b32_e32 v54, v46
	v_mov_b32_e32 v58, v49
.LBB8_135:
	s_or_b32 exec_lo, exec_lo, s2
	s_clause 0x1
	s_load_b32 s8, s[0:1], 0x28
	s_load_b128 s[4:7], s[0:1], 0x10
	s_waitcnt lgkmcnt(0)
	s_cmp_lt_i32 s8, 1
	s_cbranch_scc1 .LBB8_141
; %bb.136:
	v_cmp_lt_f32_e32 vcc_lo, v40, v60
	v_dual_mov_b32 v7, 0 :: v_dual_mov_b32 v6, 0
	s_mov_b32 s9, 0x76543210
	s_mov_b32 s10, s8
	v_dual_cndmask_b32 v5, v56, v2 :: v_dual_cndmask_b32 v12, v61, v60
	v_dual_cndmask_b32 v10, v2, v56 :: v_dual_cndmask_b32 v19, v16, v51
	v_cndmask_b32_e32 v2, v60, v40, vcc_lo
	v_cndmask_b32_e32 v8, v51, v16, vcc_lo
	s_delay_alu instid0(VALU_DEP_4) | instskip(NEXT) | instid1(VALU_DEP_1)
	v_cmp_lt_f32_e64 s2, v39, v12
	v_cndmask_b32_e64 v9, v10, v1, s2
	v_cndmask_b32_e64 v10, v1, v10, s2
	;; [unrolled: 1-line block ×6, first 2 shown]
	v_mov_b32_e32 v19, v0
	v_mov_b32_e32 v1, 0
.LBB8_137:                              ; =>This Inner Loop Header: Depth=1
	v_cmp_eq_u32_e32 vcc_lo, 1, v7
	v_cmp_eq_u32_e64 s2, 2, v7
	v_cmp_gt_u32_e64 s3, 12, v7
	v_dual_cndmask_b32 v20, v12, v11 :: v_dual_cndmask_b32 v21, v10, v9
	s_delay_alu instid0(VALU_DEP_1) | instskip(NEXT) | instid1(VALU_DEP_2)
	v_cndmask_b32_e64 v20, v20, v2, s2
	v_cndmask_b32_e64 v21, v21, v5, s2
	v_cndmask_b32_e32 v22, v15, v16, vcc_lo
	v_cmp_eq_u32_e32 vcc_lo, 3, v7
	s_delay_alu instid0(VALU_DEP_3) | instskip(NEXT) | instid1(VALU_DEP_3)
	v_cndmask_b32_e32 v21, v21, v14, vcc_lo
	v_cndmask_b32_e64 v22, v22, v8, s2
	v_cmp_eq_u32_e64 s2, 4, v7
	s_delay_alu instid0(VALU_DEP_2) | instskip(NEXT) | instid1(VALU_DEP_2)
	v_cndmask_b32_e32 v22, v22, v13, vcc_lo
	v_cndmask_b32_e64 v21, v21, v32, s2
	v_cndmask_b32_e32 v20, v20, v3, vcc_lo
	v_cmp_eq_u32_e32 vcc_lo, 5, v7
	s_delay_alu instid0(VALU_DEP_4) | instskip(NEXT) | instid1(VALU_DEP_4)
	v_cndmask_b32_e64 v22, v22, v4, s2
	v_cndmask_b32_e32 v21, v21, v33, vcc_lo
	s_delay_alu instid0(VALU_DEP_4) | instskip(SKIP_1) | instid1(VALU_DEP_4)
	v_cndmask_b32_e64 v20, v20, v42, s2
	v_cmp_eq_u32_e64 s2, 6, v7
	v_cndmask_b32_e32 v22, v22, v17, vcc_lo
	s_delay_alu instid0(VALU_DEP_3) | instskip(SKIP_1) | instid1(VALU_DEP_4)
	v_cndmask_b32_e32 v20, v20, v52, vcc_lo
	v_cmp_eq_u32_e32 vcc_lo, 7, v7
	v_cndmask_b32_e64 v21, v21, v34, s2
	s_delay_alu instid0(VALU_DEP_4) | instskip(NEXT) | instid1(VALU_DEP_4)
	v_cndmask_b32_e64 v22, v22, v18, s2
	v_cndmask_b32_e64 v20, v20, v53, s2
	v_cmp_eq_u32_e64 s2, 8, v7
	s_delay_alu instid0(VALU_DEP_4) | instskip(NEXT) | instid1(VALU_DEP_4)
	v_cndmask_b32_e32 v21, v21, v35, vcc_lo
	v_cndmask_b32_e32 v22, v22, v27, vcc_lo
	s_delay_alu instid0(VALU_DEP_4) | instskip(SKIP_1) | instid1(VALU_DEP_4)
	v_cndmask_b32_e32 v20, v20, v54, vcc_lo
	v_cmp_eq_u32_e32 vcc_lo, 9, v7
	v_cndmask_b32_e64 v21, v21, v36, s2
	s_delay_alu instid0(VALU_DEP_4) | instskip(NEXT) | instid1(VALU_DEP_4)
	v_cndmask_b32_e64 v22, v22, v28, s2
	v_cndmask_b32_e64 v20, v20, v55, s2
	v_cmp_eq_u32_e64 s2, 10, v7
	s_delay_alu instid0(VALU_DEP_4) | instskip(NEXT) | instid1(VALU_DEP_4)
	v_cndmask_b32_e32 v21, v21, v37, vcc_lo
	v_cndmask_b32_e32 v22, v22, v29, vcc_lo
	s_delay_alu instid0(VALU_DEP_4) | instskip(SKIP_1) | instid1(VALU_DEP_4)
	v_cndmask_b32_e32 v20, v20, v57, vcc_lo
	v_cmp_eq_u32_e32 vcc_lo, 11, v7
	v_cndmask_b32_e64 v21, v21, v38, s2
	s_delay_alu instid0(VALU_DEP_3) | instskip(NEXT) | instid1(VALU_DEP_1)
	v_cndmask_b32_e64 v20, v20, v58, s2
	v_dual_cndmask_b32 v21, v21, v41 :: v_dual_cndmask_b32 v20, v20, v59
	s_delay_alu instid0(VALU_DEP_1)
	v_cndmask_b32_e64 v20, 0xff800000, v20, s3
	;;#ASMSTART
	v_max_f32 v23, v20, v20 quad_perm:[1,0,3,2] row_mask:0xf bank_mask:0xf bound_ctrl:1
	;;#ASMEND
	;;#ASMSTART
	v_max_f32 v24, v23, v23 quad_perm:[2,3,0,1] row_mask:0xf bank_mask:0xf bound_ctrl:1
	;;#ASMEND
	;;#ASMSTART
	v_max_f32 v23, v24, v24 row_half_mirror row_mask:0xf bank_mask:0xf bound_ctrl:1
	;;#ASMEND
	;;#ASMSTART
	v_max_f32 v24, v23, v23 row_mirror row_mask:0xf bank_mask:0xf bound_ctrl:1
	;;#ASMEND
	v_permlanex16_b32 v23, v24, s9, 0xfedcba98 op_sel:[1,1]
	s_delay_alu instid0(VALU_DEP_1) | instskip(NEXT) | instid1(VALU_DEP_1)
	v_dual_max_f32 v24, v24, v24 :: v_dual_max_f32 v23, v23, v23
	v_max_f32_e32 v23, v24, v23
	v_cndmask_b32_e64 v22, v22, v30, s2
	s_delay_alu instid0(VALU_DEP_2) | instskip(SKIP_1) | instid1(VALU_DEP_2)
	v_cmp_eq_f32_e64 s2, v20, v23
	v_cndmask_b32_e64 v20, 0, v21, s3
	s_ctz_i32_b32 s11, s2
	s_cmp_lg_u32 s2, 0
	s_cselect_b32 s2, s11, 0
	s_add_i32 s10, s10, -1
	v_readlane_b32 s11, v20, s2
	v_cndmask_b32_e32 v20, v22, v31, vcc_lo
	s_delay_alu instid0(VALU_DEP_2)
	v_cmp_eq_u32_e32 vcc_lo, s11, v21
	s_and_b32 s2, s11, 31
	s_and_b32 vcc_lo, s3, vcc_lo
	s_cmp_eq_u32 s10, 0
	v_cndmask_b32_e32 v20, 0, v20, vcc_lo
	v_add_co_ci_u32_e32 v7, vcc_lo, 0, v7, vcc_lo
	s_delay_alu instid0(VALU_DEP_2) | instskip(SKIP_2) | instid1(VALU_DEP_2)
	v_readlane_b32 s3, v20, s2
	v_cmp_eq_u32_e64 s2, 0, v19
	v_add_nc_u32_e32 v19, -1, v19
	v_cndmask_b32_e64 v6, v6, s3, s2
	v_cndmask_b32_e64 v1, v1, s11, s2
	s_cbranch_scc0 .LBB8_137
; %bb.138:
	s_mov_b32 s2, exec_lo
	v_cmpx_gt_i32_e64 s8, v0
	s_cbranch_execz .LBB8_140
.LBB8_139:
	s_clause 0x1
	s_load_b64 s[2:3], s[0:1], 0x20
	s_load_b32 s8, s[0:1], 0x30
	s_ashr_i32 s0, s15, 31
	s_waitcnt lgkmcnt(0)
	s_mul_i32 s1, s15, s3
	s_mul_hi_u32 s3, s15, s2
	s_mul_i32 s0, s0, s2
	s_add_i32 s1, s3, s1
	v_mul_f32_e32 v0, s8, v6
	s_add_i32 s1, s1, s0
	s_mul_i32 s0, s15, s2
	s_delay_alu instid0(SALU_CYCLE_1) | instskip(NEXT) | instid1(SALU_CYCLE_1)
	s_lshl_b64 s[0:1], s[0:1], 2
	s_add_u32 s2, s4, s0
	s_addc_u32 s3, s5, s1
	s_add_u32 s0, s6, s0
	s_addc_u32 s1, s7, s1
	s_clause 0x1
	global_store_b32 v183, v0, s[2:3]
	global_store_b32 v183, v1, s[0:1]
.LBB8_140:
	s_endpgm
.LBB8_141:
	v_dual_mov_b32 v1, 0 :: v_dual_mov_b32 v6, 0
	s_mov_b32 s2, exec_lo
	v_cmpx_gt_i32_e64 s8, v0
	s_cbranch_execnz .LBB8_139
	s_branch .LBB8_140
	.section	.rodata,"a",@progbits
	.p2align	6, 0x0
	.amdhsa_kernel _ZN5aiter24topk_softplus_kernel_optIffLi384ELb0ELi1EEEvPKT_PKT0_PfPimiif
		.amdhsa_group_segment_fixed_size 0
		.amdhsa_private_segment_fixed_size 196
		.amdhsa_kernarg_size 52
		.amdhsa_user_sgpr_count 15
		.amdhsa_user_sgpr_dispatch_ptr 0
		.amdhsa_user_sgpr_queue_ptr 0
		.amdhsa_user_sgpr_kernarg_segment_ptr 1
		.amdhsa_user_sgpr_dispatch_id 0
		.amdhsa_user_sgpr_private_segment_size 0
		.amdhsa_wavefront_size32 1
		.amdhsa_uses_dynamic_stack 0
		.amdhsa_enable_private_segment 1
		.amdhsa_system_sgpr_workgroup_id_x 1
		.amdhsa_system_sgpr_workgroup_id_y 0
		.amdhsa_system_sgpr_workgroup_id_z 0
		.amdhsa_system_sgpr_workgroup_info 0
		.amdhsa_system_vgpr_workitem_id 0
		.amdhsa_next_free_vgpr 184
		.amdhsa_next_free_sgpr 16
		.amdhsa_reserve_vcc 1
		.amdhsa_float_round_mode_32 0
		.amdhsa_float_round_mode_16_64 0
		.amdhsa_float_denorm_mode_32 3
		.amdhsa_float_denorm_mode_16_64 3
		.amdhsa_dx10_clamp 1
		.amdhsa_ieee_mode 1
		.amdhsa_fp16_overflow 0
		.amdhsa_workgroup_processor_mode 1
		.amdhsa_memory_ordered 1
		.amdhsa_forward_progress 0
		.amdhsa_shared_vgpr_count 0
		.amdhsa_exception_fp_ieee_invalid_op 0
		.amdhsa_exception_fp_denorm_src 0
		.amdhsa_exception_fp_ieee_div_zero 0
		.amdhsa_exception_fp_ieee_overflow 0
		.amdhsa_exception_fp_ieee_underflow 0
		.amdhsa_exception_fp_ieee_inexact 0
		.amdhsa_exception_int_div_zero 0
	.end_amdhsa_kernel
	.section	.text._ZN5aiter24topk_softplus_kernel_optIffLi384ELb0ELi1EEEvPKT_PKT0_PfPimiif,"axG",@progbits,_ZN5aiter24topk_softplus_kernel_optIffLi384ELb0ELi1EEEvPKT_PKT0_PfPimiif,comdat
.Lfunc_end8:
	.size	_ZN5aiter24topk_softplus_kernel_optIffLi384ELb0ELi1EEEvPKT_PKT0_PfPimiif, .Lfunc_end8-_ZN5aiter24topk_softplus_kernel_optIffLi384ELb0ELi1EEEvPKT_PKT0_PfPimiif
                                        ; -- End function
	.section	.AMDGPU.csdata,"",@progbits
; Kernel info:
; codeLenInByte = 27816
; NumSgprs: 18
; NumVgprs: 184
; ScratchSize: 196
; MemoryBound: 0
; FloatMode: 240
; IeeeMode: 1
; LDSByteSize: 0 bytes/workgroup (compile time only)
; SGPRBlocks: 2
; VGPRBlocks: 22
; NumSGPRsForWavesPerEU: 18
; NumVGPRsForWavesPerEU: 184
; Occupancy: 8
; WaveLimiterHint : 0
; COMPUTE_PGM_RSRC2:SCRATCH_EN: 1
; COMPUTE_PGM_RSRC2:USER_SGPR: 15
; COMPUTE_PGM_RSRC2:TRAP_HANDLER: 0
; COMPUTE_PGM_RSRC2:TGID_X_EN: 1
; COMPUTE_PGM_RSRC2:TGID_Y_EN: 0
; COMPUTE_PGM_RSRC2:TGID_Z_EN: 0
; COMPUTE_PGM_RSRC2:TIDIG_COMP_CNT: 0
	.section	.text._ZN5aiter20topk_softplus_kernelIffDv4_fLb1ELi1EEEvPKT_PKT0_PfPimiiif,"axG",@progbits,_ZN5aiter20topk_softplus_kernelIffDv4_fLb1ELi1EEEvPKT_PKT0_PfPimiiif,comdat
	.protected	_ZN5aiter20topk_softplus_kernelIffDv4_fLb1ELi1EEEvPKT_PKT0_PfPimiiif ; -- Begin function _ZN5aiter20topk_softplus_kernelIffDv4_fLb1ELi1EEEvPKT_PKT0_PfPimiiif
	.globl	_ZN5aiter20topk_softplus_kernelIffDv4_fLb1ELi1EEEvPKT_PKT0_PfPimiiif
	.p2align	8
	.type	_ZN5aiter20topk_softplus_kernelIffDv4_fLb1ELi1EEEvPKT_PKT0_PfPimiiif,@function
_ZN5aiter20topk_softplus_kernelIffDv4_fLb1ELi1EEEvPKT_PKT0_PfPimiiif: ; @_ZN5aiter20topk_softplus_kernelIffDv4_fLb1ELi1EEEvPKT_PKT0_PfPimiiif
; %bb.0:
	s_clause 0x1
	s_load_b64 s[12:13], s[0:1], 0x28
	s_load_b256 s[4:11], s[0:1], 0x0
	v_lshlrev_b32_e32 v11, 2, v0
	s_waitcnt lgkmcnt(0)
	s_ashr_i32 s2, s12, 31
	s_mul_i32 s16, s15, s12
	s_lshr_b32 s2, s2, 30
	s_ashr_i32 s17, s16, 31
	s_add_i32 s2, s12, s2
	s_delay_alu instid0(SALU_CYCLE_1) | instskip(NEXT) | instid1(SALU_CYCLE_1)
	s_ashr_i32 s14, s2, 2
	v_cmp_gt_i32_e64 s2, s14, v0
	s_delay_alu instid0(VALU_DEP_1)
	s_and_saveexec_b32 s18, s2
	s_cbranch_execz .LBB9_11
; %bb.1:
	s_load_b32 s3, s[0:1], 0x44
	s_cmp_lg_u64 s[6:7], 0
	v_dual_mov_b32 v6, 0 :: v_dual_lshlrev_b32 v1, 4, v0
	s_cselect_b32 s19, -1, 0
	v_lshlrev_b32_e32 v5, 2, v0
	s_delay_alu instid0(VALU_DEP_2)
	v_dual_mov_b32 v13, v0 :: v_dual_add_nc_u32 v12, 0, v1
	s_waitcnt lgkmcnt(0)
	s_and_b32 s20, s3, 0xffff
	s_add_u32 s21, s6, 4
	s_addc_u32 s22, s7, 0
	s_add_u32 s23, s6, 8
	s_addc_u32 s24, s7, 0
	;; [unrolled: 2-line block ×3, first 2 shown]
	s_lshl_b64 s[28:29], s[16:17], 2
	s_delay_alu instid0(SALU_CYCLE_1) | instskip(SKIP_2) | instid1(VALU_DEP_1)
	s_add_u32 s3, s4, s28
	s_addc_u32 s27, s5, s29
	v_add_co_u32 v7, s3, s3, v1
	v_add_co_ci_u32_e64 v8, null, s27, 0, s3
	s_mov_b32 s27, 0
	s_lshl_b32 s28, s20, 4
	s_lshl_b32 s29, s20, 2
	s_branch .LBB9_3
.LBB9_2:                                ;   in Loop: Header=BB9_3 Depth=1
	v_add_nc_u32_e32 v13, s20, v13
	v_add_co_u32 v7, s3, v7, s28
	ds_store_b128 v12, v[1:4]
	v_add_co_ci_u32_e64 v8, s3, 0, v8, s3
	v_cmp_le_i32_e32 vcc_lo, s14, v13
	v_add_nc_u32_e32 v5, s29, v5
	v_add_nc_u32_e32 v12, s28, v12
	s_or_b32 s27, vcc_lo, s27
	s_delay_alu instid0(SALU_CYCLE_1)
	s_and_not1_b32 exec_lo, exec_lo, s27
	s_cbranch_execz .LBB9_11
.LBB9_3:                                ; =>This Inner Loop Header: Depth=1
	global_load_b128 v[1:4], v[7:8], off
	s_waitcnt vmcnt(0)
	v_mul_f32_e32 v9, 0xbfb8aa3b, v1
	s_delay_alu instid0(VALU_DEP_1) | instskip(SKIP_3) | instid1(VALU_DEP_2)
	v_cmp_gt_f32_e32 vcc_lo, 0xc2fc0000, v9
	v_cndmask_b32_e64 v10, 0, 0x42800000, vcc_lo
	v_cndmask_b32_e64 v9, 1.0, 0x1f800000, vcc_lo
	s_and_not1_b32 vcc_lo, exec_lo, s19
	v_fmac_f32_e32 v10, 0xbfb8aa3b, v1
	s_delay_alu instid0(VALU_DEP_1) | instskip(SKIP_3) | instid1(VALU_DEP_2)
	v_exp_f32_e32 v1, v10
	s_waitcnt_depctr 0xfff
	v_fma_f32 v1, v1, v9, 1.0
	v_lshlrev_b64 v[9:10], 2, v[5:6]
	v_rcp_f32_e32 v1, v1
	s_cbranch_vccnz .LBB9_5
; %bb.4:                                ;   in Loop: Header=BB9_3 Depth=1
	s_delay_alu instid0(VALU_DEP_1) | instskip(NEXT) | instid1(VALU_DEP_2)
	v_add_co_u32 v14, vcc_lo, s6, v9
	v_add_co_ci_u32_e32 v15, vcc_lo, s7, v10, vcc_lo
	global_load_b32 v14, v[14:15], off
	s_waitcnt vmcnt(0)
	v_add_f32_e32 v1, v1, v14
.LBB9_5:                                ;   in Loop: Header=BB9_3 Depth=1
	v_mul_f32_e32 v14, 0xbfb8aa3b, v2
	s_delay_alu instid0(VALU_DEP_1) | instskip(SKIP_3) | instid1(VALU_DEP_2)
	v_cmp_gt_f32_e32 vcc_lo, 0xc2fc0000, v14
	v_cndmask_b32_e64 v15, 0, 0x42800000, vcc_lo
	v_cndmask_b32_e64 v14, 1.0, 0x1f800000, vcc_lo
	s_and_not1_b32 vcc_lo, exec_lo, s19
	v_fmac_f32_e32 v15, 0xbfb8aa3b, v2
	s_delay_alu instid0(VALU_DEP_1) | instskip(SKIP_2) | instid1(VALU_DEP_1)
	v_exp_f32_e32 v2, v15
	s_waitcnt_depctr 0xfff
	v_fma_f32 v2, v2, v14, 1.0
	v_rcp_f32_e32 v2, v2
	s_cbranch_vccnz .LBB9_7
; %bb.6:                                ;   in Loop: Header=BB9_3 Depth=1
	v_add_co_u32 v14, vcc_lo, s21, v9
	v_add_co_ci_u32_e32 v15, vcc_lo, s22, v10, vcc_lo
	global_load_b32 v14, v[14:15], off
	s_waitcnt vmcnt(0)
	v_add_f32_e32 v2, v2, v14
.LBB9_7:                                ;   in Loop: Header=BB9_3 Depth=1
	v_mul_f32_e32 v14, 0xbfb8aa3b, v3
	s_delay_alu instid0(VALU_DEP_1) | instskip(SKIP_3) | instid1(VALU_DEP_2)
	v_cmp_gt_f32_e32 vcc_lo, 0xc2fc0000, v14
	v_cndmask_b32_e64 v15, 0, 0x42800000, vcc_lo
	v_cndmask_b32_e64 v14, 1.0, 0x1f800000, vcc_lo
	s_and_not1_b32 vcc_lo, exec_lo, s19
	v_fmac_f32_e32 v15, 0xbfb8aa3b, v3
	s_delay_alu instid0(VALU_DEP_1) | instskip(SKIP_2) | instid1(VALU_DEP_1)
	v_exp_f32_e32 v3, v15
	s_waitcnt_depctr 0xfff
	v_fma_f32 v3, v3, v14, 1.0
	v_rcp_f32_e32 v3, v3
	s_cbranch_vccnz .LBB9_9
; %bb.8:                                ;   in Loop: Header=BB9_3 Depth=1
	v_add_co_u32 v14, vcc_lo, s23, v9
	v_add_co_ci_u32_e32 v15, vcc_lo, s24, v10, vcc_lo
	global_load_b32 v14, v[14:15], off
	s_waitcnt vmcnt(0)
	v_add_f32_e32 v3, v3, v14
.LBB9_9:                                ;   in Loop: Header=BB9_3 Depth=1
	v_mul_f32_e32 v14, 0xbfb8aa3b, v4
	s_delay_alu instid0(VALU_DEP_1) | instskip(SKIP_3) | instid1(VALU_DEP_2)
	v_cmp_gt_f32_e32 vcc_lo, 0xc2fc0000, v14
	v_cndmask_b32_e64 v15, 0, 0x42800000, vcc_lo
	v_cndmask_b32_e64 v14, 1.0, 0x1f800000, vcc_lo
	s_and_not1_b32 vcc_lo, exec_lo, s19
	v_fmac_f32_e32 v15, 0xbfb8aa3b, v4
	s_delay_alu instid0(VALU_DEP_1) | instskip(SKIP_2) | instid1(VALU_DEP_1)
	v_exp_f32_e32 v4, v15
	s_waitcnt_depctr 0xfff
	v_fma_f32 v4, v4, v14, 1.0
	v_rcp_f32_e32 v4, v4
	s_cbranch_vccnz .LBB9_2
; %bb.10:                               ;   in Loop: Header=BB9_3 Depth=1
	v_add_co_u32 v9, vcc_lo, s25, v9
	v_add_co_ci_u32_e32 v10, vcc_lo, s26, v10, vcc_lo
	global_load_b32 v9, v[9:10], off
	s_waitcnt vmcnt(0)
	v_add_f32_e32 v4, v4, v9
	s_branch .LBB9_2
.LBB9_11:
	s_or_b32 exec_lo, exec_lo, s18
	v_lshl_add_u32 v1, s14, 2, v0
	s_mov_b32 s3, exec_lo
	s_delay_alu instid0(VALU_DEP_1)
	v_cmpx_gt_i32_e64 s12, v1
	s_cbranch_execz .LBB9_16
; %bb.12:
	s_load_b32 s18, s[0:1], 0x44
	s_lshl_b64 s[16:17], s[16:17], 2
	v_lshlrev_b32_e32 v2, 2, v0
	s_add_u32 s4, s4, s16
	s_addc_u32 s5, s5, s17
	s_cmp_lg_u64 s[6:7], 0
	s_cselect_b32 s16, -1, 0
	s_lshl_b32 s17, s14, 4
	s_delay_alu instid0(SALU_CYCLE_1)
	v_add3_u32 v4, 0, s17, v2
	s_waitcnt lgkmcnt(0)
	s_and_b32 s17, s18, 0xffff
	s_mov_b32 s18, 0
	s_lshl_b32 s19, s17, 2
	s_set_inst_prefetch_distance 0x1
	s_branch .LBB9_14
	.p2align	6
.LBB9_13:                               ;   in Loop: Header=BB9_14 Depth=1
	v_add_nc_u32_e32 v1, s17, v1
	v_add_nc_u32_e32 v4, s19, v4
	s_delay_alu instid0(VALU_DEP_2) | instskip(SKIP_1) | instid1(SALU_CYCLE_1)
	v_cmp_le_i32_e32 vcc_lo, s12, v1
	s_or_b32 s18, vcc_lo, s18
	s_and_not1_b32 exec_lo, exec_lo, s18
	s_cbranch_execz .LBB9_16
.LBB9_14:                               ; =>This Inner Loop Header: Depth=1
	v_ashrrev_i32_e32 v2, 31, v1
	s_delay_alu instid0(VALU_DEP_1) | instskip(NEXT) | instid1(VALU_DEP_1)
	v_lshlrev_b64 v[2:3], 2, v[1:2]
	v_add_co_u32 v5, vcc_lo, s4, v2
	s_delay_alu instid0(VALU_DEP_2) | instskip(SKIP_3) | instid1(VALU_DEP_1)
	v_add_co_ci_u32_e32 v6, vcc_lo, s5, v3, vcc_lo
	global_load_b32 v5, v[5:6], off
	s_waitcnt vmcnt(0)
	v_mul_f32_e32 v6, 0xbfb8aa3b, v5
	v_cmp_gt_f32_e32 vcc_lo, 0xc2fc0000, v6
	v_cndmask_b32_e64 v6, 0, 0x42800000, vcc_lo
	s_delay_alu instid0(VALU_DEP_1) | instskip(NEXT) | instid1(VALU_DEP_1)
	v_fmac_f32_e32 v6, 0xbfb8aa3b, v5
	v_exp_f32_e32 v5, v6
	v_cndmask_b32_e64 v6, 1.0, 0x1f800000, vcc_lo
	s_and_not1_b32 vcc_lo, exec_lo, s16
	s_waitcnt_depctr 0xfff
	v_fma_f32 v5, v5, v6, 1.0
	s_delay_alu instid0(VALU_DEP_1)
	v_rcp_f32_e32 v5, v5
	ds_store_b32 v4, v5
	s_cbranch_vccnz .LBB9_13
; %bb.15:                               ;   in Loop: Header=BB9_14 Depth=1
	v_add_co_u32 v2, vcc_lo, s6, v2
	v_add_co_ci_u32_e32 v3, vcc_lo, s7, v3, vcc_lo
	global_load_b32 v2, v[2:3], off
	s_waitcnt vmcnt(0)
	v_add_f32_e32 v2, v5, v2
	ds_store_b32 v4, v2
	s_branch .LBB9_13
.LBB9_16:
	s_set_inst_prefetch_distance 0x2
	s_or_b32 exec_lo, exec_lo, s3
	v_mov_b32_e32 v2, 0
	s_cmp_lt_i32 s13, 1
	s_waitcnt lgkmcnt(0)
	s_barrier
	buffer_gl0_inv
	s_cbranch_scc1 .LBB9_25
; %bb.17:
	s_add_u32 s4, s0, 56
	s_addc_u32 s5, s1, 0
	v_lshl_add_u32 v4, v0, 4, 0
	v_dual_mov_b32 v2, 0 :: v_dual_mov_b32 v5, 0xff800000
	v_mov_b32_e32 v1, 0
	v_mov_b32_e32 v3, 0
	s_cmp_lg_u64 s[6:7], 0
	s_mov_b32 s18, 0
	s_cselect_b32 s12, -1, 0
	s_mov_b32 s19, 0x76543210
	s_branch .LBB9_19
.LBB9_18:                               ;   in Loop: Header=BB9_19 Depth=1
	v_cmp_eq_u32_e32 vcc_lo, s18, v0
	s_delay_alu instid0(VALU_DEP_2)
	s_lshl_b32 s3, s16, 2
	s_add_i32 s18, s18, 1
	s_add_i32 s3, s3, 0
	v_add_f32_e32 v3, v3, v8
	v_cndmask_b32_e64 v1, v1, s16, vcc_lo
	v_mov_b32_e32 v6, s3
	v_cndmask_b32_e32 v2, v2, v8, vcc_lo
	s_cmp_eq_u32 s18, s13
	ds_store_b32 v6, v5
	s_cbranch_scc1 .LBB9_26
.LBB9_19:                               ; =>This Loop Header: Depth=1
                                        ;     Child Loop BB9_21 Depth 2
	v_dual_mov_b32 v6, s18 :: v_dual_mov_b32 v7, 0xff800000
	s_and_saveexec_b32 s16, s2
	s_cbranch_execz .LBB9_23
; %bb.20:                               ;   in Loop: Header=BB9_19 Depth=1
	s_load_b32 s3, s[4:5], 0xc
	v_dual_mov_b32 v6, s18 :: v_dual_mov_b32 v7, 0xff800000
	v_dual_mov_b32 v8, v4 :: v_dual_mov_b32 v9, v11
	v_mov_b32_e32 v10, v0
	s_mov_b32 s21, 0
	s_waitcnt lgkmcnt(0)
	s_and_b32 s17, s3, 0xffff
	s_delay_alu instid0(SALU_CYCLE_1)
	s_lshl_b32 s20, s17, 2
	s_lshl_b32 s22, s17, 4
	.p2align	6
.LBB9_21:                               ;   Parent Loop BB9_19 Depth=1
                                        ; =>  This Inner Loop Header: Depth=2
	ds_load_b128 v[12:15], v8
	v_add_nc_u32_e32 v8, s22, v8
	s_waitcnt lgkmcnt(0)
	v_cmp_gt_f32_e32 vcc_lo, v12, v7
	v_dual_cndmask_b32 v7, v7, v12 :: v_dual_add_nc_u32 v12, 1, v9
	v_cndmask_b32_e32 v6, v6, v9, vcc_lo
	s_delay_alu instid0(VALU_DEP_2) | instskip(NEXT) | instid1(VALU_DEP_2)
	v_cmp_gt_f32_e32 vcc_lo, v13, v7
	v_dual_cndmask_b32 v7, v7, v13 :: v_dual_cndmask_b32 v6, v6, v12
	v_add_nc_u32_e32 v12, 3, v9
	v_add_nc_u32_e32 v13, 2, v9
	;; [unrolled: 1-line block ×3, first 2 shown]
	s_delay_alu instid0(VALU_DEP_4) | instskip(NEXT) | instid1(VALU_DEP_3)
	v_cmp_gt_f32_e32 vcc_lo, v14, v7
	v_dual_cndmask_b32 v7, v7, v14 :: v_dual_cndmask_b32 v6, v6, v13
	s_delay_alu instid0(VALU_DEP_1) | instskip(SKIP_1) | instid1(VALU_DEP_1)
	v_cmp_gt_f32_e32 vcc_lo, v15, v7
	v_dual_cndmask_b32 v7, v7, v15 :: v_dual_add_nc_u32 v10, s17, v10
	v_cmp_le_i32_e64 s3, s14, v10
	s_delay_alu instid0(VALU_DEP_4) | instskip(NEXT) | instid1(VALU_DEP_2)
	v_cndmask_b32_e32 v6, v6, v12, vcc_lo
	s_or_b32 s21, s3, s21
	s_delay_alu instid0(SALU_CYCLE_1)
	s_and_not1_b32 exec_lo, exec_lo, s21
	s_cbranch_execnz .LBB9_21
; %bb.22:                               ;   in Loop: Header=BB9_19 Depth=1
	s_or_b32 exec_lo, exec_lo, s21
.LBB9_23:                               ;   in Loop: Header=BB9_19 Depth=1
	s_delay_alu instid0(SALU_CYCLE_1)
	s_or_b32 exec_lo, exec_lo, s16
	;;#ASMSTART
	v_max_f32 v8, v7, v7 quad_perm:[1,0,3,2] row_mask:0xf bank_mask:0xf bound_ctrl:1
	;;#ASMEND
	;;#ASMSTART
	v_max_f32 v9, v8, v8 quad_perm:[2,3,0,1] row_mask:0xf bank_mask:0xf bound_ctrl:1
	;;#ASMEND
	;;#ASMSTART
	v_max_f32 v8, v9, v9 row_half_mirror row_mask:0xf bank_mask:0xf bound_ctrl:1
	;;#ASMEND
	;;#ASMSTART
	v_max_f32 v9, v8, v8 row_mirror row_mask:0xf bank_mask:0xf bound_ctrl:1
	;;#ASMEND
	v_permlanex16_b32 v8, v9, s19, 0xfedcba98 op_sel:[1,1]
	s_delay_alu instid0(VALU_DEP_1) | instskip(NEXT) | instid1(VALU_DEP_1)
	v_dual_max_f32 v9, v9, v9 :: v_dual_max_f32 v8, v8, v8
	v_max_f32_e32 v8, v9, v8
	s_delay_alu instid0(VALU_DEP_1)
	v_cmp_eq_f32_e32 vcc_lo, v7, v8
	s_ctz_i32_b32 s3, vcc_lo
	s_cmp_lg_u32 vcc_lo, 0
	s_cselect_b32 s3, s3, 0
	s_and_b32 vcc_lo, exec_lo, s12
	v_readlane_b32 s16, v6, s3
	s_cbranch_vccz .LBB9_18
; %bb.24:                               ;   in Loop: Header=BB9_19 Depth=1
	s_delay_alu instid0(VALU_DEP_1) | instskip(NEXT) | instid1(SALU_CYCLE_1)
	s_ashr_i32 s17, s16, 31
	s_lshl_b64 s[20:21], s[16:17], 2
	s_delay_alu instid0(SALU_CYCLE_1)
	s_add_u32 s20, s6, s20
	s_addc_u32 s21, s7, s21
	s_load_b32 s3, s[20:21], 0x0
	s_waitcnt lgkmcnt(0)
	v_subrev_f32_e32 v8, s3, v8
	s_branch .LBB9_18
.LBB9_25:
	v_mov_b32_e32 v1, 0
	v_mov_b32_e32 v3, 0
.LBB9_26:
	s_mov_b32 s2, exec_lo
	v_cmpx_gt_i32_e64 s13, v0
	s_cbranch_execz .LBB9_29
; %bb.27:
	s_clause 0x1
	s_load_b32 s2, s[0:1], 0x34
	s_load_b32 s3, s[0:1], 0x44
	v_max_f32_e32 v3, v3, v3
	s_load_b64 s[0:1], s[0:1], 0x20
	s_ashr_i32 s4, s15, 31
	s_delay_alu instid0(VALU_DEP_1) | instskip(SKIP_1) | instid1(VALU_DEP_1)
	v_max_f32_e32 v3, 0x1e3ce508, v3
	s_waitcnt lgkmcnt(0)
	v_div_scale_f32 v4, null, v3, v3, s2
	v_div_scale_f32 v7, vcc_lo, s2, v3, s2
	s_mul_i32 s1, s15, s1
	s_delay_alu instid0(VALU_DEP_2) | instskip(SKIP_4) | instid1(VALU_DEP_1)
	v_rcp_f32_e32 v5, v4
	s_mul_i32 s4, s4, s0
	s_and_b32 s3, s3, 0xffff
	s_waitcnt_depctr 0xfff
	v_fma_f32 v6, -v4, v5, 1.0
	v_fmac_f32_e32 v5, v6, v5
	s_delay_alu instid0(VALU_DEP_1) | instskip(NEXT) | instid1(VALU_DEP_1)
	v_mul_f32_e32 v6, v7, v5
	v_fma_f32 v8, -v4, v6, v7
	s_delay_alu instid0(VALU_DEP_1) | instskip(NEXT) | instid1(VALU_DEP_1)
	v_fmac_f32_e32 v6, v8, v5
	v_fma_f32 v4, -v4, v6, v7
	s_delay_alu instid0(VALU_DEP_1) | instskip(NEXT) | instid1(VALU_DEP_1)
	v_div_fmas_f32 v4, v4, v5, v6
	v_div_fixup_f32 v3, v4, v3, s2
	s_mul_hi_u32 s2, s15, s0
	s_delay_alu instid0(SALU_CYCLE_1) | instskip(SKIP_1) | instid1(VALU_DEP_1)
	s_add_i32 s1, s2, s1
	s_mul_i32 s2, s15, s0
	v_mul_f32_e32 v2, v2, v3
	s_add_i32 s1, s1, s4
	s_mov_b32 s4, 0
	.p2align	6
.LBB9_28:                               ; =>This Inner Loop Header: Depth=1
	v_ashrrev_i32_e32 v4, 31, v0
	v_add_co_u32 v3, vcc_lo, s2, v0
	v_add_nc_u32_e32 v0, s3, v0
	s_delay_alu instid0(VALU_DEP_3) | instskip(NEXT) | instid1(VALU_DEP_2)
	v_add_co_ci_u32_e32 v4, vcc_lo, s1, v4, vcc_lo
	v_cmp_le_i32_e32 vcc_lo, s13, v0
	s_delay_alu instid0(VALU_DEP_2) | instskip(SKIP_1) | instid1(VALU_DEP_1)
	v_lshlrev_b64 v[3:4], 2, v[3:4]
	s_or_b32 s4, vcc_lo, s4
	v_add_co_u32 v5, s0, s8, v3
	s_delay_alu instid0(VALU_DEP_1) | instskip(SKIP_1) | instid1(VALU_DEP_1)
	v_add_co_ci_u32_e64 v6, s0, s9, v4, s0
	v_add_co_u32 v3, s0, s10, v3
	v_add_co_ci_u32_e64 v4, s0, s11, v4, s0
	global_store_b32 v[5:6], v2, off
	global_store_b32 v[3:4], v1, off
	s_and_not1_b32 exec_lo, exec_lo, s4
	s_cbranch_execnz .LBB9_28
.LBB9_29:
	s_nop 0
	s_sendmsg sendmsg(MSG_DEALLOC_VGPRS)
	s_endpgm
	.section	.rodata,"a",@progbits
	.p2align	6, 0x0
	.amdhsa_kernel _ZN5aiter20topk_softplus_kernelIffDv4_fLb1ELi1EEEvPKT_PKT0_PfPimiiif
		.amdhsa_group_segment_fixed_size 0
		.amdhsa_private_segment_fixed_size 0
		.amdhsa_kernarg_size 312
		.amdhsa_user_sgpr_count 15
		.amdhsa_user_sgpr_dispatch_ptr 0
		.amdhsa_user_sgpr_queue_ptr 0
		.amdhsa_user_sgpr_kernarg_segment_ptr 1
		.amdhsa_user_sgpr_dispatch_id 0
		.amdhsa_user_sgpr_private_segment_size 0
		.amdhsa_wavefront_size32 1
		.amdhsa_uses_dynamic_stack 0
		.amdhsa_enable_private_segment 0
		.amdhsa_system_sgpr_workgroup_id_x 1
		.amdhsa_system_sgpr_workgroup_id_y 0
		.amdhsa_system_sgpr_workgroup_id_z 0
		.amdhsa_system_sgpr_workgroup_info 0
		.amdhsa_system_vgpr_workitem_id 0
		.amdhsa_next_free_vgpr 16
		.amdhsa_next_free_sgpr 30
		.amdhsa_reserve_vcc 1
		.amdhsa_float_round_mode_32 0
		.amdhsa_float_round_mode_16_64 0
		.amdhsa_float_denorm_mode_32 3
		.amdhsa_float_denorm_mode_16_64 3
		.amdhsa_dx10_clamp 1
		.amdhsa_ieee_mode 1
		.amdhsa_fp16_overflow 0
		.amdhsa_workgroup_processor_mode 1
		.amdhsa_memory_ordered 1
		.amdhsa_forward_progress 0
		.amdhsa_shared_vgpr_count 0
		.amdhsa_exception_fp_ieee_invalid_op 0
		.amdhsa_exception_fp_denorm_src 0
		.amdhsa_exception_fp_ieee_div_zero 0
		.amdhsa_exception_fp_ieee_overflow 0
		.amdhsa_exception_fp_ieee_underflow 0
		.amdhsa_exception_fp_ieee_inexact 0
		.amdhsa_exception_int_div_zero 0
	.end_amdhsa_kernel
	.section	.text._ZN5aiter20topk_softplus_kernelIffDv4_fLb1ELi1EEEvPKT_PKT0_PfPimiiif,"axG",@progbits,_ZN5aiter20topk_softplus_kernelIffDv4_fLb1ELi1EEEvPKT_PKT0_PfPimiiif,comdat
.Lfunc_end9:
	.size	_ZN5aiter20topk_softplus_kernelIffDv4_fLb1ELi1EEEvPKT_PKT0_PfPimiiif, .Lfunc_end9-_ZN5aiter20topk_softplus_kernelIffDv4_fLb1ELi1EEEvPKT_PKT0_PfPimiiif
                                        ; -- End function
	.section	.AMDGPU.csdata,"",@progbits
; Kernel info:
; codeLenInByte = 1928
; NumSgprs: 32
; NumVgprs: 16
; ScratchSize: 0
; MemoryBound: 0
; FloatMode: 240
; IeeeMode: 1
; LDSByteSize: 0 bytes/workgroup (compile time only)
; SGPRBlocks: 3
; VGPRBlocks: 1
; NumSGPRsForWavesPerEU: 32
; NumVGPRsForWavesPerEU: 16
; Occupancy: 16
; WaveLimiterHint : 0
; COMPUTE_PGM_RSRC2:SCRATCH_EN: 0
; COMPUTE_PGM_RSRC2:USER_SGPR: 15
; COMPUTE_PGM_RSRC2:TRAP_HANDLER: 0
; COMPUTE_PGM_RSRC2:TGID_X_EN: 1
; COMPUTE_PGM_RSRC2:TGID_Y_EN: 0
; COMPUTE_PGM_RSRC2:TGID_Z_EN: 0
; COMPUTE_PGM_RSRC2:TIDIG_COMP_CNT: 0
	.section	.text._ZN5aiter20topk_softplus_kernelIffDv4_fLb0ELi1EEEvPKT_PKT0_PfPimiiif,"axG",@progbits,_ZN5aiter20topk_softplus_kernelIffDv4_fLb0ELi1EEEvPKT_PKT0_PfPimiiif,comdat
	.protected	_ZN5aiter20topk_softplus_kernelIffDv4_fLb0ELi1EEEvPKT_PKT0_PfPimiiif ; -- Begin function _ZN5aiter20topk_softplus_kernelIffDv4_fLb0ELi1EEEvPKT_PKT0_PfPimiiif
	.globl	_ZN5aiter20topk_softplus_kernelIffDv4_fLb0ELi1EEEvPKT_PKT0_PfPimiiif
	.p2align	8
	.type	_ZN5aiter20topk_softplus_kernelIffDv4_fLb0ELi1EEEvPKT_PKT0_PfPimiiif,@function
_ZN5aiter20topk_softplus_kernelIffDv4_fLb0ELi1EEEvPKT_PKT0_PfPimiiif: ; @_ZN5aiter20topk_softplus_kernelIffDv4_fLb0ELi1EEEvPKT_PKT0_PfPimiiif
; %bb.0:
	s_clause 0x1
	s_load_b64 s[12:13], s[0:1], 0x28
	s_load_b256 s[4:11], s[0:1], 0x0
	v_lshlrev_b32_e32 v11, 2, v0
	s_waitcnt lgkmcnt(0)
	s_ashr_i32 s2, s12, 31
	s_mul_i32 s16, s15, s12
	s_lshr_b32 s2, s2, 30
	s_ashr_i32 s17, s16, 31
	s_add_i32 s2, s12, s2
	s_delay_alu instid0(SALU_CYCLE_1) | instskip(NEXT) | instid1(SALU_CYCLE_1)
	s_ashr_i32 s14, s2, 2
	v_cmp_gt_i32_e64 s2, s14, v0
	s_delay_alu instid0(VALU_DEP_1)
	s_and_saveexec_b32 s18, s2
	s_cbranch_execz .LBB10_11
; %bb.1:
	s_load_b32 s3, s[0:1], 0x44
	s_cmp_lg_u64 s[6:7], 0
	v_dual_mov_b32 v6, 0 :: v_dual_lshlrev_b32 v1, 4, v0
	s_cselect_b32 s19, -1, 0
	v_lshlrev_b32_e32 v5, 2, v0
	s_delay_alu instid0(VALU_DEP_2)
	v_dual_mov_b32 v13, v0 :: v_dual_add_nc_u32 v12, 0, v1
	s_waitcnt lgkmcnt(0)
	s_and_b32 s20, s3, 0xffff
	s_add_u32 s21, s6, 4
	s_addc_u32 s22, s7, 0
	s_add_u32 s23, s6, 8
	s_addc_u32 s24, s7, 0
	;; [unrolled: 2-line block ×3, first 2 shown]
	s_lshl_b64 s[28:29], s[16:17], 2
	s_delay_alu instid0(SALU_CYCLE_1) | instskip(SKIP_2) | instid1(VALU_DEP_1)
	s_add_u32 s3, s4, s28
	s_addc_u32 s27, s5, s29
	v_add_co_u32 v7, s3, s3, v1
	v_add_co_ci_u32_e64 v8, null, s27, 0, s3
	s_mov_b32 s27, 0
	s_lshl_b32 s28, s20, 4
	s_lshl_b32 s29, s20, 2
	s_branch .LBB10_3
.LBB10_2:                               ;   in Loop: Header=BB10_3 Depth=1
	v_add_nc_u32_e32 v13, s20, v13
	v_add_co_u32 v7, s3, v7, s28
	ds_store_b128 v12, v[1:4]
	v_add_co_ci_u32_e64 v8, s3, 0, v8, s3
	v_cmp_le_i32_e32 vcc_lo, s14, v13
	v_add_nc_u32_e32 v5, s29, v5
	v_add_nc_u32_e32 v12, s28, v12
	s_or_b32 s27, vcc_lo, s27
	s_delay_alu instid0(SALU_CYCLE_1)
	s_and_not1_b32 exec_lo, exec_lo, s27
	s_cbranch_execz .LBB10_11
.LBB10_3:                               ; =>This Inner Loop Header: Depth=1
	global_load_b128 v[1:4], v[7:8], off
	s_waitcnt vmcnt(0)
	v_mul_f32_e32 v9, 0xbfb8aa3b, v1
	s_delay_alu instid0(VALU_DEP_1) | instskip(SKIP_3) | instid1(VALU_DEP_2)
	v_cmp_gt_f32_e32 vcc_lo, 0xc2fc0000, v9
	v_cndmask_b32_e64 v10, 0, 0x42800000, vcc_lo
	v_cndmask_b32_e64 v9, 1.0, 0x1f800000, vcc_lo
	s_and_not1_b32 vcc_lo, exec_lo, s19
	v_fmac_f32_e32 v10, 0xbfb8aa3b, v1
	s_delay_alu instid0(VALU_DEP_1) | instskip(SKIP_3) | instid1(VALU_DEP_2)
	v_exp_f32_e32 v1, v10
	s_waitcnt_depctr 0xfff
	v_fma_f32 v1, v1, v9, 1.0
	v_lshlrev_b64 v[9:10], 2, v[5:6]
	v_rcp_f32_e32 v1, v1
	s_cbranch_vccnz .LBB10_5
; %bb.4:                                ;   in Loop: Header=BB10_3 Depth=1
	s_delay_alu instid0(VALU_DEP_1) | instskip(NEXT) | instid1(VALU_DEP_2)
	v_add_co_u32 v14, vcc_lo, s6, v9
	v_add_co_ci_u32_e32 v15, vcc_lo, s7, v10, vcc_lo
	global_load_b32 v14, v[14:15], off
	s_waitcnt vmcnt(0)
	v_add_f32_e32 v1, v1, v14
.LBB10_5:                               ;   in Loop: Header=BB10_3 Depth=1
	v_mul_f32_e32 v14, 0xbfb8aa3b, v2
	s_delay_alu instid0(VALU_DEP_1) | instskip(SKIP_3) | instid1(VALU_DEP_2)
	v_cmp_gt_f32_e32 vcc_lo, 0xc2fc0000, v14
	v_cndmask_b32_e64 v15, 0, 0x42800000, vcc_lo
	v_cndmask_b32_e64 v14, 1.0, 0x1f800000, vcc_lo
	s_and_not1_b32 vcc_lo, exec_lo, s19
	v_fmac_f32_e32 v15, 0xbfb8aa3b, v2
	s_delay_alu instid0(VALU_DEP_1) | instskip(SKIP_2) | instid1(VALU_DEP_1)
	v_exp_f32_e32 v2, v15
	s_waitcnt_depctr 0xfff
	v_fma_f32 v2, v2, v14, 1.0
	v_rcp_f32_e32 v2, v2
	s_cbranch_vccnz .LBB10_7
; %bb.6:                                ;   in Loop: Header=BB10_3 Depth=1
	v_add_co_u32 v14, vcc_lo, s21, v9
	v_add_co_ci_u32_e32 v15, vcc_lo, s22, v10, vcc_lo
	global_load_b32 v14, v[14:15], off
	s_waitcnt vmcnt(0)
	v_add_f32_e32 v2, v2, v14
.LBB10_7:                               ;   in Loop: Header=BB10_3 Depth=1
	v_mul_f32_e32 v14, 0xbfb8aa3b, v3
	s_delay_alu instid0(VALU_DEP_1) | instskip(SKIP_3) | instid1(VALU_DEP_2)
	v_cmp_gt_f32_e32 vcc_lo, 0xc2fc0000, v14
	v_cndmask_b32_e64 v15, 0, 0x42800000, vcc_lo
	v_cndmask_b32_e64 v14, 1.0, 0x1f800000, vcc_lo
	s_and_not1_b32 vcc_lo, exec_lo, s19
	v_fmac_f32_e32 v15, 0xbfb8aa3b, v3
	s_delay_alu instid0(VALU_DEP_1) | instskip(SKIP_2) | instid1(VALU_DEP_1)
	v_exp_f32_e32 v3, v15
	s_waitcnt_depctr 0xfff
	v_fma_f32 v3, v3, v14, 1.0
	v_rcp_f32_e32 v3, v3
	s_cbranch_vccnz .LBB10_9
; %bb.8:                                ;   in Loop: Header=BB10_3 Depth=1
	v_add_co_u32 v14, vcc_lo, s23, v9
	v_add_co_ci_u32_e32 v15, vcc_lo, s24, v10, vcc_lo
	global_load_b32 v14, v[14:15], off
	s_waitcnt vmcnt(0)
	v_add_f32_e32 v3, v3, v14
.LBB10_9:                               ;   in Loop: Header=BB10_3 Depth=1
	v_mul_f32_e32 v14, 0xbfb8aa3b, v4
	s_delay_alu instid0(VALU_DEP_1) | instskip(SKIP_3) | instid1(VALU_DEP_2)
	v_cmp_gt_f32_e32 vcc_lo, 0xc2fc0000, v14
	v_cndmask_b32_e64 v15, 0, 0x42800000, vcc_lo
	v_cndmask_b32_e64 v14, 1.0, 0x1f800000, vcc_lo
	s_and_not1_b32 vcc_lo, exec_lo, s19
	v_fmac_f32_e32 v15, 0xbfb8aa3b, v4
	s_delay_alu instid0(VALU_DEP_1) | instskip(SKIP_2) | instid1(VALU_DEP_1)
	v_exp_f32_e32 v4, v15
	s_waitcnt_depctr 0xfff
	v_fma_f32 v4, v4, v14, 1.0
	v_rcp_f32_e32 v4, v4
	s_cbranch_vccnz .LBB10_2
; %bb.10:                               ;   in Loop: Header=BB10_3 Depth=1
	v_add_co_u32 v9, vcc_lo, s25, v9
	v_add_co_ci_u32_e32 v10, vcc_lo, s26, v10, vcc_lo
	global_load_b32 v9, v[9:10], off
	s_waitcnt vmcnt(0)
	v_add_f32_e32 v4, v4, v9
	s_branch .LBB10_2
.LBB10_11:
	s_or_b32 exec_lo, exec_lo, s18
	v_lshl_add_u32 v1, s14, 2, v0
	s_mov_b32 s3, exec_lo
	s_delay_alu instid0(VALU_DEP_1)
	v_cmpx_gt_i32_e64 s12, v1
	s_cbranch_execz .LBB10_16
; %bb.12:
	s_load_b32 s18, s[0:1], 0x44
	s_lshl_b64 s[16:17], s[16:17], 2
	v_lshlrev_b32_e32 v2, 2, v0
	s_add_u32 s4, s4, s16
	s_addc_u32 s5, s5, s17
	s_cmp_lg_u64 s[6:7], 0
	s_cselect_b32 s16, -1, 0
	s_lshl_b32 s17, s14, 4
	s_delay_alu instid0(SALU_CYCLE_1)
	v_add3_u32 v4, 0, s17, v2
	s_waitcnt lgkmcnt(0)
	s_and_b32 s17, s18, 0xffff
	s_mov_b32 s18, 0
	s_lshl_b32 s19, s17, 2
	s_set_inst_prefetch_distance 0x1
	s_branch .LBB10_14
	.p2align	6
.LBB10_13:                              ;   in Loop: Header=BB10_14 Depth=1
	v_add_nc_u32_e32 v1, s17, v1
	v_add_nc_u32_e32 v4, s19, v4
	s_delay_alu instid0(VALU_DEP_2) | instskip(SKIP_1) | instid1(SALU_CYCLE_1)
	v_cmp_le_i32_e32 vcc_lo, s12, v1
	s_or_b32 s18, vcc_lo, s18
	s_and_not1_b32 exec_lo, exec_lo, s18
	s_cbranch_execz .LBB10_16
.LBB10_14:                              ; =>This Inner Loop Header: Depth=1
	v_ashrrev_i32_e32 v2, 31, v1
	s_delay_alu instid0(VALU_DEP_1) | instskip(NEXT) | instid1(VALU_DEP_1)
	v_lshlrev_b64 v[2:3], 2, v[1:2]
	v_add_co_u32 v5, vcc_lo, s4, v2
	s_delay_alu instid0(VALU_DEP_2) | instskip(SKIP_3) | instid1(VALU_DEP_1)
	v_add_co_ci_u32_e32 v6, vcc_lo, s5, v3, vcc_lo
	global_load_b32 v5, v[5:6], off
	s_waitcnt vmcnt(0)
	v_mul_f32_e32 v6, 0xbfb8aa3b, v5
	v_cmp_gt_f32_e32 vcc_lo, 0xc2fc0000, v6
	v_cndmask_b32_e64 v6, 0, 0x42800000, vcc_lo
	s_delay_alu instid0(VALU_DEP_1) | instskip(NEXT) | instid1(VALU_DEP_1)
	v_fmac_f32_e32 v6, 0xbfb8aa3b, v5
	v_exp_f32_e32 v5, v6
	v_cndmask_b32_e64 v6, 1.0, 0x1f800000, vcc_lo
	s_and_not1_b32 vcc_lo, exec_lo, s16
	s_waitcnt_depctr 0xfff
	v_fma_f32 v5, v5, v6, 1.0
	s_delay_alu instid0(VALU_DEP_1)
	v_rcp_f32_e32 v5, v5
	ds_store_b32 v4, v5
	s_cbranch_vccnz .LBB10_13
; %bb.15:                               ;   in Loop: Header=BB10_14 Depth=1
	v_add_co_u32 v2, vcc_lo, s6, v2
	v_add_co_ci_u32_e32 v3, vcc_lo, s7, v3, vcc_lo
	global_load_b32 v2, v[2:3], off
	s_waitcnt vmcnt(0)
	v_add_f32_e32 v2, v5, v2
	ds_store_b32 v4, v2
	s_branch .LBB10_13
.LBB10_16:
	s_set_inst_prefetch_distance 0x2
	s_or_b32 exec_lo, exec_lo, s3
	s_cmp_lt_i32 s13, 1
	s_waitcnt lgkmcnt(0)
	s_barrier
	buffer_gl0_inv
	s_cbranch_scc1 .LBB10_25
; %bb.17:
	s_add_u32 s4, s0, 56
	s_addc_u32 s5, s1, 0
	v_lshl_add_u32 v3, v0, 4, 0
	v_dual_mov_b32 v2, 0 :: v_dual_mov_b32 v1, 0
	v_mov_b32_e32 v4, 0xff800000
	s_cmp_lg_u64 s[6:7], 0
	s_mov_b32 s18, 0
	s_cselect_b32 s12, -1, 0
	s_mov_b32 s19, 0x76543210
	s_branch .LBB10_19
.LBB10_18:                              ;   in Loop: Header=BB10_19 Depth=1
	v_cmp_eq_u32_e32 vcc_lo, s18, v0
	s_delay_alu instid0(VALU_DEP_2)
	s_lshl_b32 s3, s16, 2
	s_add_i32 s18, s18, 1
	s_add_i32 s3, s3, 0
	s_cmp_eq_u32 s18, s13
	v_cndmask_b32_e64 v1, v1, s16, vcc_lo
	v_dual_mov_b32 v5, s3 :: v_dual_cndmask_b32 v2, v2, v7
	ds_store_b32 v5, v4
	s_cbranch_scc1 .LBB10_26
.LBB10_19:                              ; =>This Loop Header: Depth=1
                                        ;     Child Loop BB10_21 Depth 2
	v_dual_mov_b32 v5, s18 :: v_dual_mov_b32 v6, 0xff800000
	s_and_saveexec_b32 s16, s2
	s_cbranch_execz .LBB10_23
; %bb.20:                               ;   in Loop: Header=BB10_19 Depth=1
	s_load_b32 s3, s[4:5], 0xc
	v_dual_mov_b32 v5, s18 :: v_dual_mov_b32 v6, 0xff800000
	v_mov_b32_e32 v7, v3
	v_dual_mov_b32 v8, v11 :: v_dual_mov_b32 v9, v0
	s_mov_b32 s21, 0
	s_waitcnt lgkmcnt(0)
	s_and_b32 s17, s3, 0xffff
	s_delay_alu instid0(SALU_CYCLE_1)
	s_lshl_b32 s20, s17, 2
	s_lshl_b32 s22, s17, 4
	.p2align	6
.LBB10_21:                              ;   Parent Loop BB10_19 Depth=1
                                        ; =>  This Inner Loop Header: Depth=2
	ds_load_b128 v[12:15], v7
	v_add_nc_u32_e32 v10, 1, v8
	v_add_nc_u32_e32 v7, s22, v7
	;; [unrolled: 1-line block ×3, first 2 shown]
	s_delay_alu instid0(VALU_DEP_1) | instskip(NEXT) | instid1(VALU_DEP_1)
	v_cmp_le_i32_e64 s3, s14, v9
	s_or_b32 s21, s3, s21
	s_waitcnt lgkmcnt(0)
	v_cmp_gt_f32_e32 vcc_lo, v12, v6
	v_cndmask_b32_e32 v5, v5, v8, vcc_lo
	v_cndmask_b32_e32 v6, v6, v12, vcc_lo
	s_delay_alu instid0(VALU_DEP_1) | instskip(NEXT) | instid1(VALU_DEP_3)
	v_cmp_gt_f32_e32 vcc_lo, v13, v6
	v_dual_cndmask_b32 v5, v5, v10 :: v_dual_cndmask_b32 v6, v6, v13
	v_add_nc_u32_e32 v10, 3, v8
	v_add_nc_u32_e32 v12, 2, v8
	;; [unrolled: 1-line block ×3, first 2 shown]
	s_delay_alu instid0(VALU_DEP_4) | instskip(NEXT) | instid1(VALU_DEP_3)
	v_cmp_gt_f32_e32 vcc_lo, v14, v6
	v_dual_cndmask_b32 v6, v6, v14 :: v_dual_cndmask_b32 v5, v5, v12
	s_delay_alu instid0(VALU_DEP_1) | instskip(NEXT) | instid1(VALU_DEP_2)
	v_cmp_gt_f32_e32 vcc_lo, v15, v6
	v_dual_cndmask_b32 v6, v6, v15 :: v_dual_cndmask_b32 v5, v5, v10
	s_and_not1_b32 exec_lo, exec_lo, s21
	s_cbranch_execnz .LBB10_21
; %bb.22:                               ;   in Loop: Header=BB10_19 Depth=1
	s_or_b32 exec_lo, exec_lo, s21
.LBB10_23:                              ;   in Loop: Header=BB10_19 Depth=1
	s_delay_alu instid0(SALU_CYCLE_1)
	s_or_b32 exec_lo, exec_lo, s16
	;;#ASMSTART
	v_max_f32 v7, v6, v6 quad_perm:[1,0,3,2] row_mask:0xf bank_mask:0xf bound_ctrl:1
	;;#ASMEND
	;;#ASMSTART
	v_max_f32 v8, v7, v7 quad_perm:[2,3,0,1] row_mask:0xf bank_mask:0xf bound_ctrl:1
	;;#ASMEND
	;;#ASMSTART
	v_max_f32 v7, v8, v8 row_half_mirror row_mask:0xf bank_mask:0xf bound_ctrl:1
	;;#ASMEND
	;;#ASMSTART
	v_max_f32 v8, v7, v7 row_mirror row_mask:0xf bank_mask:0xf bound_ctrl:1
	;;#ASMEND
	v_permlanex16_b32 v7, v8, s19, 0xfedcba98 op_sel:[1,1]
	s_delay_alu instid0(VALU_DEP_1) | instskip(NEXT) | instid1(VALU_DEP_1)
	v_dual_max_f32 v8, v8, v8 :: v_dual_max_f32 v7, v7, v7
	v_max_f32_e32 v7, v8, v7
	s_delay_alu instid0(VALU_DEP_1)
	v_cmp_eq_f32_e32 vcc_lo, v6, v7
	s_ctz_i32_b32 s3, vcc_lo
	s_cmp_lg_u32 vcc_lo, 0
	s_cselect_b32 s3, s3, 0
	s_and_b32 vcc_lo, exec_lo, s12
	v_readlane_b32 s16, v5, s3
	s_cbranch_vccz .LBB10_18
; %bb.24:                               ;   in Loop: Header=BB10_19 Depth=1
	s_delay_alu instid0(VALU_DEP_1) | instskip(NEXT) | instid1(SALU_CYCLE_1)
	s_ashr_i32 s17, s16, 31
	s_lshl_b64 s[20:21], s[16:17], 2
	s_delay_alu instid0(SALU_CYCLE_1)
	s_add_u32 s20, s6, s20
	s_addc_u32 s21, s7, s21
	s_load_b32 s3, s[20:21], 0x0
	s_waitcnt lgkmcnt(0)
	v_subrev_f32_e32 v7, s3, v7
	s_branch .LBB10_18
.LBB10_25:
	v_dual_mov_b32 v2, 0 :: v_dual_mov_b32 v1, 0
.LBB10_26:
	s_mov_b32 s2, exec_lo
	v_cmpx_gt_i32_e64 s13, v0
	s_cbranch_execz .LBB10_29
; %bb.27:
	s_clause 0x2
	s_load_b32 s4, s[0:1], 0x34
	s_load_b64 s[2:3], s[0:1], 0x20
	s_load_b32 s0, s[0:1], 0x44
	s_ashr_i32 s1, s15, 31
	s_waitcnt lgkmcnt(0)
	v_mul_f32_e32 v2, s4, v2
	s_mul_i32 s3, s15, s3
	s_mul_hi_u32 s4, s15, s2
	s_mul_i32 s5, s1, s2
	s_add_i32 s3, s4, s3
	s_mul_i32 s1, s15, s2
	s_and_b32 s2, s0, 0xffff
	s_add_i32 s3, s3, s5
	s_mov_b32 s4, 0
	.p2align	6
.LBB10_28:                              ; =>This Inner Loop Header: Depth=1
	v_ashrrev_i32_e32 v4, 31, v0
	v_add_co_u32 v3, vcc_lo, s1, v0
	v_add_nc_u32_e32 v0, s2, v0
	s_delay_alu instid0(VALU_DEP_3) | instskip(NEXT) | instid1(VALU_DEP_2)
	v_add_co_ci_u32_e32 v4, vcc_lo, s3, v4, vcc_lo
	v_cmp_le_i32_e32 vcc_lo, s13, v0
	s_delay_alu instid0(VALU_DEP_2) | instskip(SKIP_1) | instid1(VALU_DEP_1)
	v_lshlrev_b64 v[3:4], 2, v[3:4]
	s_or_b32 s4, vcc_lo, s4
	v_add_co_u32 v5, s0, s8, v3
	s_delay_alu instid0(VALU_DEP_1) | instskip(SKIP_1) | instid1(VALU_DEP_1)
	v_add_co_ci_u32_e64 v6, s0, s9, v4, s0
	v_add_co_u32 v3, s0, s10, v3
	v_add_co_ci_u32_e64 v4, s0, s11, v4, s0
	global_store_b32 v[5:6], v2, off
	global_store_b32 v[3:4], v1, off
	s_and_not1_b32 exec_lo, exec_lo, s4
	s_cbranch_execnz .LBB10_28
.LBB10_29:
	s_nop 0
	s_sendmsg sendmsg(MSG_DEALLOC_VGPRS)
	s_endpgm
	.section	.rodata,"a",@progbits
	.p2align	6, 0x0
	.amdhsa_kernel _ZN5aiter20topk_softplus_kernelIffDv4_fLb0ELi1EEEvPKT_PKT0_PfPimiiif
		.amdhsa_group_segment_fixed_size 0
		.amdhsa_private_segment_fixed_size 0
		.amdhsa_kernarg_size 312
		.amdhsa_user_sgpr_count 15
		.amdhsa_user_sgpr_dispatch_ptr 0
		.amdhsa_user_sgpr_queue_ptr 0
		.amdhsa_user_sgpr_kernarg_segment_ptr 1
		.amdhsa_user_sgpr_dispatch_id 0
		.amdhsa_user_sgpr_private_segment_size 0
		.amdhsa_wavefront_size32 1
		.amdhsa_uses_dynamic_stack 0
		.amdhsa_enable_private_segment 0
		.amdhsa_system_sgpr_workgroup_id_x 1
		.amdhsa_system_sgpr_workgroup_id_y 0
		.amdhsa_system_sgpr_workgroup_id_z 0
		.amdhsa_system_sgpr_workgroup_info 0
		.amdhsa_system_vgpr_workitem_id 0
		.amdhsa_next_free_vgpr 16
		.amdhsa_next_free_sgpr 30
		.amdhsa_reserve_vcc 1
		.amdhsa_float_round_mode_32 0
		.amdhsa_float_round_mode_16_64 0
		.amdhsa_float_denorm_mode_32 3
		.amdhsa_float_denorm_mode_16_64 3
		.amdhsa_dx10_clamp 1
		.amdhsa_ieee_mode 1
		.amdhsa_fp16_overflow 0
		.amdhsa_workgroup_processor_mode 1
		.amdhsa_memory_ordered 1
		.amdhsa_forward_progress 0
		.amdhsa_shared_vgpr_count 0
		.amdhsa_exception_fp_ieee_invalid_op 0
		.amdhsa_exception_fp_denorm_src 0
		.amdhsa_exception_fp_ieee_div_zero 0
		.amdhsa_exception_fp_ieee_overflow 0
		.amdhsa_exception_fp_ieee_underflow 0
		.amdhsa_exception_fp_ieee_inexact 0
		.amdhsa_exception_int_div_zero 0
	.end_amdhsa_kernel
	.section	.text._ZN5aiter20topk_softplus_kernelIffDv4_fLb0ELi1EEEvPKT_PKT0_PfPimiiif,"axG",@progbits,_ZN5aiter20topk_softplus_kernelIffDv4_fLb0ELi1EEEvPKT_PKT0_PfPimiiif,comdat
.Lfunc_end10:
	.size	_ZN5aiter20topk_softplus_kernelIffDv4_fLb0ELi1EEEvPKT_PKT0_PfPimiiif, .Lfunc_end10-_ZN5aiter20topk_softplus_kernelIffDv4_fLb0ELi1EEEvPKT_PKT0_PfPimiiif
                                        ; -- End function
	.section	.AMDGPU.csdata,"",@progbits
; Kernel info:
; codeLenInByte = 1800
; NumSgprs: 32
; NumVgprs: 16
; ScratchSize: 0
; MemoryBound: 0
; FloatMode: 240
; IeeeMode: 1
; LDSByteSize: 0 bytes/workgroup (compile time only)
; SGPRBlocks: 3
; VGPRBlocks: 1
; NumSGPRsForWavesPerEU: 32
; NumVGPRsForWavesPerEU: 16
; Occupancy: 16
; WaveLimiterHint : 0
; COMPUTE_PGM_RSRC2:SCRATCH_EN: 0
; COMPUTE_PGM_RSRC2:USER_SGPR: 15
; COMPUTE_PGM_RSRC2:TRAP_HANDLER: 0
; COMPUTE_PGM_RSRC2:TGID_X_EN: 1
; COMPUTE_PGM_RSRC2:TGID_Y_EN: 0
; COMPUTE_PGM_RSRC2:TGID_Z_EN: 0
; COMPUTE_PGM_RSRC2:TIDIG_COMP_CNT: 0
	.section	.text._ZN5aiter20topk_softplus_kernelIffDv2_fLb1ELi1EEEvPKT_PKT0_PfPimiiif,"axG",@progbits,_ZN5aiter20topk_softplus_kernelIffDv2_fLb1ELi1EEEvPKT_PKT0_PfPimiiif,comdat
	.protected	_ZN5aiter20topk_softplus_kernelIffDv2_fLb1ELi1EEEvPKT_PKT0_PfPimiiif ; -- Begin function _ZN5aiter20topk_softplus_kernelIffDv2_fLb1ELi1EEEvPKT_PKT0_PfPimiiif
	.globl	_ZN5aiter20topk_softplus_kernelIffDv2_fLb1ELi1EEEvPKT_PKT0_PfPimiiif
	.p2align	8
	.type	_ZN5aiter20topk_softplus_kernelIffDv2_fLb1ELi1EEEvPKT_PKT0_PfPimiiif,@function
_ZN5aiter20topk_softplus_kernelIffDv2_fLb1ELi1EEEvPKT_PKT0_PfPimiiif: ; @_ZN5aiter20topk_softplus_kernelIffDv2_fLb1ELi1EEEvPKT_PKT0_PfPimiiif
; %bb.0:
	s_clause 0x1
	s_load_b64 s[12:13], s[0:1], 0x28
	s_load_b256 s[4:11], s[0:1], 0x0
	s_waitcnt lgkmcnt(0)
	s_lshr_b32 s3, s12, 31
	s_mul_i32 s2, s15, s12
	s_add_i32 s14, s12, s3
	s_ashr_i32 s3, s2, 31
	s_ashr_i32 s14, s14, 1
	s_lshl_b64 s[16:17], s[2:3], 2
	v_cmp_gt_i32_e64 s2, s14, v0
	s_add_u32 s4, s4, s16
	s_addc_u32 s5, s5, s17
	s_delay_alu instid0(VALU_DEP_1)
	s_and_saveexec_b32 s16, s2
	s_cbranch_execz .LBB11_7
; %bb.1:
	s_load_b32 s3, s[0:1], 0x44
	v_dual_mov_b32 v4, 0 :: v_dual_lshlrev_b32 v3, 3, v0
	s_cmp_lg_u64 s[6:7], 0
	s_mov_b32 s19, 0
	s_delay_alu instid0(VALU_DEP_1) | instskip(SKIP_3) | instid1(SALU_CYCLE_1)
	v_dual_mov_b32 v6, v0 :: v_dual_add_nc_u32 v5, 0, v3
	s_cselect_b32 s17, -1, 0
	s_waitcnt lgkmcnt(0)
	s_and_b32 s18, s3, 0xffff
	s_lshl_b32 s20, s18, 3
	s_branch .LBB11_3
.LBB11_2:                               ;   in Loop: Header=BB11_3 Depth=1
	v_add_nc_u32_e32 v6, s18, v6
	v_add_co_u32 v3, s3, v3, s20
	ds_store_b64 v5, v[1:2]
	v_add_co_ci_u32_e64 v4, s3, 0, v4, s3
	v_cmp_le_i32_e32 vcc_lo, s14, v6
	v_add_nc_u32_e32 v5, s20, v5
	s_or_b32 s19, vcc_lo, s19
	s_delay_alu instid0(SALU_CYCLE_1)
	s_and_not1_b32 exec_lo, exec_lo, s19
	s_cbranch_execz .LBB11_7
.LBB11_3:                               ; =>This Inner Loop Header: Depth=1
	v_add_co_u32 v1, vcc_lo, s4, v3
	v_add_co_ci_u32_e32 v2, vcc_lo, s5, v4, vcc_lo
	global_load_b64 v[1:2], v[1:2], off
	s_waitcnt vmcnt(0)
	v_mul_f32_e32 v7, 0xbfb8aa3b, v1
	s_delay_alu instid0(VALU_DEP_1) | instskip(SKIP_1) | instid1(VALU_DEP_1)
	v_cmp_gt_f32_e32 vcc_lo, 0xc2fc0000, v7
	v_cndmask_b32_e64 v7, 0, 0x42800000, vcc_lo
	v_fmac_f32_e32 v7, 0xbfb8aa3b, v1
	s_delay_alu instid0(VALU_DEP_1) | instskip(SKIP_4) | instid1(VALU_DEP_1)
	v_exp_f32_e32 v1, v7
	v_cndmask_b32_e64 v7, 1.0, 0x1f800000, vcc_lo
	s_and_not1_b32 vcc_lo, exec_lo, s17
	s_waitcnt_depctr 0xfff
	v_fma_f32 v1, v1, v7, 1.0
	v_rcp_f32_e32 v1, v1
	s_cbranch_vccnz .LBB11_5
; %bb.4:                                ;   in Loop: Header=BB11_3 Depth=1
	v_add_co_u32 v7, vcc_lo, s6, v3
	v_add_co_ci_u32_e32 v8, vcc_lo, s7, v4, vcc_lo
	global_load_b32 v7, v[7:8], off
	s_waitcnt vmcnt(0)
	v_add_f32_e32 v1, v1, v7
.LBB11_5:                               ;   in Loop: Header=BB11_3 Depth=1
	v_mul_f32_e32 v7, 0xbfb8aa3b, v2
	s_delay_alu instid0(VALU_DEP_1) | instskip(SKIP_3) | instid1(VALU_DEP_2)
	v_cmp_gt_f32_e32 vcc_lo, 0xc2fc0000, v7
	v_cndmask_b32_e64 v8, 0, 0x42800000, vcc_lo
	v_cndmask_b32_e64 v7, 1.0, 0x1f800000, vcc_lo
	s_and_not1_b32 vcc_lo, exec_lo, s17
	v_fmac_f32_e32 v8, 0xbfb8aa3b, v2
	s_delay_alu instid0(VALU_DEP_1) | instskip(SKIP_2) | instid1(VALU_DEP_1)
	v_exp_f32_e32 v2, v8
	s_waitcnt_depctr 0xfff
	v_fma_f32 v2, v2, v7, 1.0
	v_rcp_f32_e32 v2, v2
	s_cbranch_vccnz .LBB11_2
; %bb.6:                                ;   in Loop: Header=BB11_3 Depth=1
	v_add_co_u32 v7, vcc_lo, s6, v3
	v_add_co_ci_u32_e32 v8, vcc_lo, s7, v4, vcc_lo
	global_load_b32 v7, v[7:8], off offset:4
	s_waitcnt vmcnt(0)
	v_add_f32_e32 v2, v2, v7
	s_branch .LBB11_2
.LBB11_7:
	s_or_b32 exec_lo, exec_lo, s16
	v_lshl_add_u32 v1, s14, 1, v0
	s_mov_b32 s3, exec_lo
	s_delay_alu instid0(VALU_DEP_1)
	v_cmpx_gt_i32_e64 s12, v1
	s_cbranch_execz .LBB11_12
; %bb.8:
	s_load_b32 s17, s[0:1], 0x44
	v_lshlrev_b32_e32 v2, 2, v0
	s_cmp_lg_u64 s[6:7], 0
	s_cselect_b32 s16, -1, 0
	s_lshl_b32 s18, s14, 3
	s_delay_alu instid0(VALU_DEP_1) | instid1(SALU_CYCLE_1)
	v_add3_u32 v4, 0, s18, v2
	s_mov_b32 s18, 0
	s_waitcnt lgkmcnt(0)
	s_and_b32 s17, s17, 0xffff
	s_delay_alu instid0(SALU_CYCLE_1)
	s_lshl_b32 s19, s17, 2
	s_set_inst_prefetch_distance 0x1
	s_branch .LBB11_10
	.p2align	6
.LBB11_9:                               ;   in Loop: Header=BB11_10 Depth=1
	v_add_nc_u32_e32 v1, s17, v1
	v_add_nc_u32_e32 v4, s19, v4
	s_delay_alu instid0(VALU_DEP_2) | instskip(SKIP_1) | instid1(SALU_CYCLE_1)
	v_cmp_le_i32_e32 vcc_lo, s12, v1
	s_or_b32 s18, vcc_lo, s18
	s_and_not1_b32 exec_lo, exec_lo, s18
	s_cbranch_execz .LBB11_12
.LBB11_10:                              ; =>This Inner Loop Header: Depth=1
	v_ashrrev_i32_e32 v2, 31, v1
	s_delay_alu instid0(VALU_DEP_1) | instskip(NEXT) | instid1(VALU_DEP_1)
	v_lshlrev_b64 v[2:3], 2, v[1:2]
	v_add_co_u32 v5, vcc_lo, s4, v2
	s_delay_alu instid0(VALU_DEP_2) | instskip(SKIP_3) | instid1(VALU_DEP_1)
	v_add_co_ci_u32_e32 v6, vcc_lo, s5, v3, vcc_lo
	global_load_b32 v5, v[5:6], off
	s_waitcnt vmcnt(0)
	v_mul_f32_e32 v6, 0xbfb8aa3b, v5
	v_cmp_gt_f32_e32 vcc_lo, 0xc2fc0000, v6
	v_cndmask_b32_e64 v6, 0, 0x42800000, vcc_lo
	s_delay_alu instid0(VALU_DEP_1) | instskip(NEXT) | instid1(VALU_DEP_1)
	v_fmac_f32_e32 v6, 0xbfb8aa3b, v5
	v_exp_f32_e32 v5, v6
	v_cndmask_b32_e64 v6, 1.0, 0x1f800000, vcc_lo
	s_and_not1_b32 vcc_lo, exec_lo, s16
	s_waitcnt_depctr 0xfff
	v_fma_f32 v5, v5, v6, 1.0
	s_delay_alu instid0(VALU_DEP_1)
	v_rcp_f32_e32 v5, v5
	ds_store_b32 v4, v5
	s_cbranch_vccnz .LBB11_9
; %bb.11:                               ;   in Loop: Header=BB11_10 Depth=1
	v_add_co_u32 v2, vcc_lo, s6, v2
	v_add_co_ci_u32_e32 v3, vcc_lo, s7, v3, vcc_lo
	global_load_b32 v2, v[2:3], off
	s_waitcnt vmcnt(0)
	v_add_f32_e32 v2, v5, v2
	ds_store_b32 v4, v2
	s_branch .LBB11_9
.LBB11_12:
	s_set_inst_prefetch_distance 0x2
	s_or_b32 exec_lo, exec_lo, s3
	v_mov_b32_e32 v2, 0
	s_cmp_lt_i32 s13, 1
	s_waitcnt lgkmcnt(0)
	s_barrier
	buffer_gl0_inv
	s_cbranch_scc1 .LBB11_21
; %bb.13:
	s_add_u32 s4, s0, 56
	s_addc_u32 s5, s1, 0
	v_dual_mov_b32 v1, 0 :: v_dual_lshlrev_b32 v4, 1, v0
	v_lshl_add_u32 v5, v0, 3, 0
	v_dual_mov_b32 v2, 0 :: v_dual_mov_b32 v3, 0
	v_mov_b32_e32 v6, 0xff800000
	s_cmp_lg_u64 s[6:7], 0
	s_mov_b32 s18, 0
	s_cselect_b32 s12, -1, 0
	s_mov_b32 s19, 0x76543210
	s_branch .LBB11_15
.LBB11_14:                              ;   in Loop: Header=BB11_15 Depth=1
	v_cmp_eq_u32_e32 vcc_lo, s18, v0
	s_delay_alu instid0(VALU_DEP_2) | instskip(NEXT) | instid1(VALU_DEP_2)
	s_lshl_b32 s3, s16, 2
	v_add_f32_e32 v3, v3, v9
	s_add_i32 s3, s3, 0
	s_add_i32 s18, s18, 1
	v_cndmask_b32_e64 v1, v1, s16, vcc_lo
	v_dual_mov_b32 v7, s3 :: v_dual_cndmask_b32 v2, v2, v9
	s_cmp_eq_u32 s18, s13
	ds_store_b32 v7, v6
	s_cbranch_scc1 .LBB11_22
.LBB11_15:                              ; =>This Loop Header: Depth=1
                                        ;     Child Loop BB11_17 Depth 2
	v_dual_mov_b32 v7, s18 :: v_dual_mov_b32 v8, 0xff800000
	s_and_saveexec_b32 s16, s2
	s_cbranch_execz .LBB11_19
; %bb.16:                               ;   in Loop: Header=BB11_15 Depth=1
	s_load_b32 s3, s[4:5], 0xc
	v_dual_mov_b32 v7, s18 :: v_dual_mov_b32 v8, 0xff800000
	v_dual_mov_b32 v9, v5 :: v_dual_mov_b32 v10, v4
	v_mov_b32_e32 v11, v0
	s_mov_b32 s21, 0
	s_waitcnt lgkmcnt(0)
	s_and_b32 s17, s3, 0xffff
	s_delay_alu instid0(SALU_CYCLE_1)
	s_lshl_b32 s20, s17, 1
	s_lshl_b32 s22, s17, 3
	.p2align	6
.LBB11_17:                              ;   Parent Loop BB11_15 Depth=1
                                        ; =>  This Inner Loop Header: Depth=2
	ds_load_b64 v[12:13], v9
	v_add_nc_u32_e32 v9, s22, v9
	v_add_nc_u32_e32 v11, s17, v11
	s_delay_alu instid0(VALU_DEP_1) | instskip(NEXT) | instid1(VALU_DEP_1)
	v_cmp_le_i32_e64 s3, s14, v11
	s_or_b32 s21, s3, s21
	s_waitcnt lgkmcnt(0)
	v_cmp_gt_f32_e32 vcc_lo, v12, v8
	v_cndmask_b32_e32 v8, v8, v12, vcc_lo
	v_add_nc_u32_e32 v12, 1, v10
	v_cndmask_b32_e32 v7, v7, v10, vcc_lo
	s_delay_alu instid0(VALU_DEP_3) | instskip(SKIP_1) | instid1(VALU_DEP_3)
	v_cmp_gt_f32_e32 vcc_lo, v13, v8
	v_cndmask_b32_e32 v8, v8, v13, vcc_lo
	v_dual_cndmask_b32 v7, v7, v12 :: v_dual_add_nc_u32 v10, s20, v10
	s_and_not1_b32 exec_lo, exec_lo, s21
	s_cbranch_execnz .LBB11_17
; %bb.18:                               ;   in Loop: Header=BB11_15 Depth=1
	s_or_b32 exec_lo, exec_lo, s21
.LBB11_19:                              ;   in Loop: Header=BB11_15 Depth=1
	s_delay_alu instid0(SALU_CYCLE_1)
	s_or_b32 exec_lo, exec_lo, s16
	;;#ASMSTART
	v_max_f32 v9, v8, v8 quad_perm:[1,0,3,2] row_mask:0xf bank_mask:0xf bound_ctrl:1
	;;#ASMEND
	;;#ASMSTART
	v_max_f32 v10, v9, v9 quad_perm:[2,3,0,1] row_mask:0xf bank_mask:0xf bound_ctrl:1
	;;#ASMEND
	;;#ASMSTART
	v_max_f32 v9, v10, v10 row_half_mirror row_mask:0xf bank_mask:0xf bound_ctrl:1
	;;#ASMEND
	;;#ASMSTART
	v_max_f32 v10, v9, v9 row_mirror row_mask:0xf bank_mask:0xf bound_ctrl:1
	;;#ASMEND
	v_permlanex16_b32 v9, v10, s19, 0xfedcba98 op_sel:[1,1]
	s_delay_alu instid0(VALU_DEP_1) | instskip(NEXT) | instid1(VALU_DEP_1)
	v_dual_max_f32 v10, v10, v10 :: v_dual_max_f32 v9, v9, v9
	v_max_f32_e32 v9, v10, v9
	s_delay_alu instid0(VALU_DEP_1)
	v_cmp_eq_f32_e32 vcc_lo, v8, v9
	s_ctz_i32_b32 s3, vcc_lo
	s_cmp_lg_u32 vcc_lo, 0
	s_cselect_b32 s3, s3, 0
	s_and_b32 vcc_lo, exec_lo, s12
	v_readlane_b32 s16, v7, s3
	s_cbranch_vccz .LBB11_14
; %bb.20:                               ;   in Loop: Header=BB11_15 Depth=1
	s_delay_alu instid0(VALU_DEP_1) | instskip(NEXT) | instid1(SALU_CYCLE_1)
	s_ashr_i32 s17, s16, 31
	s_lshl_b64 s[20:21], s[16:17], 2
	s_delay_alu instid0(SALU_CYCLE_1)
	s_add_u32 s20, s6, s20
	s_addc_u32 s21, s7, s21
	s_load_b32 s3, s[20:21], 0x0
	s_waitcnt lgkmcnt(0)
	v_subrev_f32_e32 v9, s3, v9
	s_branch .LBB11_14
.LBB11_21:
	v_mov_b32_e32 v1, 0
	v_mov_b32_e32 v3, 0
.LBB11_22:
	s_mov_b32 s2, exec_lo
	v_cmpx_gt_i32_e64 s13, v0
	s_cbranch_execz .LBB11_25
; %bb.23:
	s_clause 0x1
	s_load_b32 s2, s[0:1], 0x34
	s_load_b32 s3, s[0:1], 0x44
	v_max_f32_e32 v3, v3, v3
	s_load_b64 s[0:1], s[0:1], 0x20
	s_ashr_i32 s4, s15, 31
	s_delay_alu instid0(VALU_DEP_1) | instskip(SKIP_1) | instid1(VALU_DEP_1)
	v_max_f32_e32 v3, 0x1e3ce508, v3
	s_waitcnt lgkmcnt(0)
	v_div_scale_f32 v4, null, v3, v3, s2
	v_div_scale_f32 v7, vcc_lo, s2, v3, s2
	s_mul_i32 s1, s15, s1
	s_delay_alu instid0(VALU_DEP_2) | instskip(SKIP_4) | instid1(VALU_DEP_1)
	v_rcp_f32_e32 v5, v4
	s_mul_i32 s4, s4, s0
	s_and_b32 s3, s3, 0xffff
	s_waitcnt_depctr 0xfff
	v_fma_f32 v6, -v4, v5, 1.0
	v_fmac_f32_e32 v5, v6, v5
	s_delay_alu instid0(VALU_DEP_1) | instskip(NEXT) | instid1(VALU_DEP_1)
	v_mul_f32_e32 v6, v7, v5
	v_fma_f32 v8, -v4, v6, v7
	s_delay_alu instid0(VALU_DEP_1) | instskip(NEXT) | instid1(VALU_DEP_1)
	v_fmac_f32_e32 v6, v8, v5
	v_fma_f32 v4, -v4, v6, v7
	s_delay_alu instid0(VALU_DEP_1) | instskip(NEXT) | instid1(VALU_DEP_1)
	v_div_fmas_f32 v4, v4, v5, v6
	v_div_fixup_f32 v3, v4, v3, s2
	s_mul_hi_u32 s2, s15, s0
	s_delay_alu instid0(SALU_CYCLE_1) | instskip(SKIP_1) | instid1(VALU_DEP_1)
	s_add_i32 s1, s2, s1
	s_mul_i32 s2, s15, s0
	v_mul_f32_e32 v2, v2, v3
	s_add_i32 s1, s1, s4
	s_mov_b32 s4, 0
	.p2align	6
.LBB11_24:                              ; =>This Inner Loop Header: Depth=1
	v_ashrrev_i32_e32 v4, 31, v0
	v_add_co_u32 v3, vcc_lo, s2, v0
	v_add_nc_u32_e32 v0, s3, v0
	s_delay_alu instid0(VALU_DEP_3) | instskip(NEXT) | instid1(VALU_DEP_2)
	v_add_co_ci_u32_e32 v4, vcc_lo, s1, v4, vcc_lo
	v_cmp_le_i32_e32 vcc_lo, s13, v0
	s_delay_alu instid0(VALU_DEP_2) | instskip(SKIP_1) | instid1(VALU_DEP_1)
	v_lshlrev_b64 v[3:4], 2, v[3:4]
	s_or_b32 s4, vcc_lo, s4
	v_add_co_u32 v5, s0, s8, v3
	s_delay_alu instid0(VALU_DEP_1) | instskip(SKIP_1) | instid1(VALU_DEP_1)
	v_add_co_ci_u32_e64 v6, s0, s9, v4, s0
	v_add_co_u32 v3, s0, s10, v3
	v_add_co_ci_u32_e64 v4, s0, s11, v4, s0
	global_store_b32 v[5:6], v2, off
	global_store_b32 v[3:4], v1, off
	s_and_not1_b32 exec_lo, exec_lo, s4
	s_cbranch_execnz .LBB11_24
.LBB11_25:
	s_nop 0
	s_sendmsg sendmsg(MSG_DEALLOC_VGPRS)
	s_endpgm
	.section	.rodata,"a",@progbits
	.p2align	6, 0x0
	.amdhsa_kernel _ZN5aiter20topk_softplus_kernelIffDv2_fLb1ELi1EEEvPKT_PKT0_PfPimiiif
		.amdhsa_group_segment_fixed_size 0
		.amdhsa_private_segment_fixed_size 0
		.amdhsa_kernarg_size 312
		.amdhsa_user_sgpr_count 15
		.amdhsa_user_sgpr_dispatch_ptr 0
		.amdhsa_user_sgpr_queue_ptr 0
		.amdhsa_user_sgpr_kernarg_segment_ptr 1
		.amdhsa_user_sgpr_dispatch_id 0
		.amdhsa_user_sgpr_private_segment_size 0
		.amdhsa_wavefront_size32 1
		.amdhsa_uses_dynamic_stack 0
		.amdhsa_enable_private_segment 0
		.amdhsa_system_sgpr_workgroup_id_x 1
		.amdhsa_system_sgpr_workgroup_id_y 0
		.amdhsa_system_sgpr_workgroup_id_z 0
		.amdhsa_system_sgpr_workgroup_info 0
		.amdhsa_system_vgpr_workitem_id 0
		.amdhsa_next_free_vgpr 14
		.amdhsa_next_free_sgpr 23
		.amdhsa_reserve_vcc 1
		.amdhsa_float_round_mode_32 0
		.amdhsa_float_round_mode_16_64 0
		.amdhsa_float_denorm_mode_32 3
		.amdhsa_float_denorm_mode_16_64 3
		.amdhsa_dx10_clamp 1
		.amdhsa_ieee_mode 1
		.amdhsa_fp16_overflow 0
		.amdhsa_workgroup_processor_mode 1
		.amdhsa_memory_ordered 1
		.amdhsa_forward_progress 0
		.amdhsa_shared_vgpr_count 0
		.amdhsa_exception_fp_ieee_invalid_op 0
		.amdhsa_exception_fp_denorm_src 0
		.amdhsa_exception_fp_ieee_div_zero 0
		.amdhsa_exception_fp_ieee_overflow 0
		.amdhsa_exception_fp_ieee_underflow 0
		.amdhsa_exception_fp_ieee_inexact 0
		.amdhsa_exception_int_div_zero 0
	.end_amdhsa_kernel
	.section	.text._ZN5aiter20topk_softplus_kernelIffDv2_fLb1ELi1EEEvPKT_PKT0_PfPimiiif,"axG",@progbits,_ZN5aiter20topk_softplus_kernelIffDv2_fLb1ELi1EEEvPKT_PKT0_PfPimiiif,comdat
.Lfunc_end11:
	.size	_ZN5aiter20topk_softplus_kernelIffDv2_fLb1ELi1EEEvPKT_PKT0_PfPimiiif, .Lfunc_end11-_ZN5aiter20topk_softplus_kernelIffDv2_fLb1ELi1EEEvPKT_PKT0_PfPimiiif
                                        ; -- End function
	.section	.AMDGPU.csdata,"",@progbits
; Kernel info:
; codeLenInByte = 1588
; NumSgprs: 25
; NumVgprs: 14
; ScratchSize: 0
; MemoryBound: 0
; FloatMode: 240
; IeeeMode: 1
; LDSByteSize: 0 bytes/workgroup (compile time only)
; SGPRBlocks: 3
; VGPRBlocks: 1
; NumSGPRsForWavesPerEU: 25
; NumVGPRsForWavesPerEU: 14
; Occupancy: 16
; WaveLimiterHint : 0
; COMPUTE_PGM_RSRC2:SCRATCH_EN: 0
; COMPUTE_PGM_RSRC2:USER_SGPR: 15
; COMPUTE_PGM_RSRC2:TRAP_HANDLER: 0
; COMPUTE_PGM_RSRC2:TGID_X_EN: 1
; COMPUTE_PGM_RSRC2:TGID_Y_EN: 0
; COMPUTE_PGM_RSRC2:TGID_Z_EN: 0
; COMPUTE_PGM_RSRC2:TIDIG_COMP_CNT: 0
	.section	.text._ZN5aiter20topk_softplus_kernelIffDv2_fLb0ELi1EEEvPKT_PKT0_PfPimiiif,"axG",@progbits,_ZN5aiter20topk_softplus_kernelIffDv2_fLb0ELi1EEEvPKT_PKT0_PfPimiiif,comdat
	.protected	_ZN5aiter20topk_softplus_kernelIffDv2_fLb0ELi1EEEvPKT_PKT0_PfPimiiif ; -- Begin function _ZN5aiter20topk_softplus_kernelIffDv2_fLb0ELi1EEEvPKT_PKT0_PfPimiiif
	.globl	_ZN5aiter20topk_softplus_kernelIffDv2_fLb0ELi1EEEvPKT_PKT0_PfPimiiif
	.p2align	8
	.type	_ZN5aiter20topk_softplus_kernelIffDv2_fLb0ELi1EEEvPKT_PKT0_PfPimiiif,@function
_ZN5aiter20topk_softplus_kernelIffDv2_fLb0ELi1EEEvPKT_PKT0_PfPimiiif: ; @_ZN5aiter20topk_softplus_kernelIffDv2_fLb0ELi1EEEvPKT_PKT0_PfPimiiif
; %bb.0:
	s_clause 0x1
	s_load_b64 s[12:13], s[0:1], 0x28
	s_load_b256 s[4:11], s[0:1], 0x0
	s_waitcnt lgkmcnt(0)
	s_lshr_b32 s3, s12, 31
	s_mul_i32 s2, s15, s12
	s_add_i32 s14, s12, s3
	s_ashr_i32 s3, s2, 31
	s_ashr_i32 s14, s14, 1
	s_lshl_b64 s[16:17], s[2:3], 2
	v_cmp_gt_i32_e64 s2, s14, v0
	s_add_u32 s4, s4, s16
	s_addc_u32 s5, s5, s17
	s_delay_alu instid0(VALU_DEP_1)
	s_and_saveexec_b32 s16, s2
	s_cbranch_execz .LBB12_7
; %bb.1:
	s_load_b32 s3, s[0:1], 0x44
	v_dual_mov_b32 v4, 0 :: v_dual_lshlrev_b32 v3, 3, v0
	s_cmp_lg_u64 s[6:7], 0
	s_mov_b32 s19, 0
	s_delay_alu instid0(VALU_DEP_1) | instskip(SKIP_3) | instid1(SALU_CYCLE_1)
	v_dual_mov_b32 v6, v0 :: v_dual_add_nc_u32 v5, 0, v3
	s_cselect_b32 s17, -1, 0
	s_waitcnt lgkmcnt(0)
	s_and_b32 s18, s3, 0xffff
	s_lshl_b32 s20, s18, 3
	s_branch .LBB12_3
.LBB12_2:                               ;   in Loop: Header=BB12_3 Depth=1
	v_add_nc_u32_e32 v6, s18, v6
	v_add_co_u32 v3, s3, v3, s20
	ds_store_b64 v5, v[1:2]
	v_add_co_ci_u32_e64 v4, s3, 0, v4, s3
	v_cmp_le_i32_e32 vcc_lo, s14, v6
	v_add_nc_u32_e32 v5, s20, v5
	s_or_b32 s19, vcc_lo, s19
	s_delay_alu instid0(SALU_CYCLE_1)
	s_and_not1_b32 exec_lo, exec_lo, s19
	s_cbranch_execz .LBB12_7
.LBB12_3:                               ; =>This Inner Loop Header: Depth=1
	v_add_co_u32 v1, vcc_lo, s4, v3
	v_add_co_ci_u32_e32 v2, vcc_lo, s5, v4, vcc_lo
	global_load_b64 v[1:2], v[1:2], off
	s_waitcnt vmcnt(0)
	v_mul_f32_e32 v7, 0xbfb8aa3b, v1
	s_delay_alu instid0(VALU_DEP_1) | instskip(SKIP_1) | instid1(VALU_DEP_1)
	v_cmp_gt_f32_e32 vcc_lo, 0xc2fc0000, v7
	v_cndmask_b32_e64 v7, 0, 0x42800000, vcc_lo
	v_fmac_f32_e32 v7, 0xbfb8aa3b, v1
	s_delay_alu instid0(VALU_DEP_1) | instskip(SKIP_4) | instid1(VALU_DEP_1)
	v_exp_f32_e32 v1, v7
	v_cndmask_b32_e64 v7, 1.0, 0x1f800000, vcc_lo
	s_and_not1_b32 vcc_lo, exec_lo, s17
	s_waitcnt_depctr 0xfff
	v_fma_f32 v1, v1, v7, 1.0
	v_rcp_f32_e32 v1, v1
	s_cbranch_vccnz .LBB12_5
; %bb.4:                                ;   in Loop: Header=BB12_3 Depth=1
	v_add_co_u32 v7, vcc_lo, s6, v3
	v_add_co_ci_u32_e32 v8, vcc_lo, s7, v4, vcc_lo
	global_load_b32 v7, v[7:8], off
	s_waitcnt vmcnt(0)
	v_add_f32_e32 v1, v1, v7
.LBB12_5:                               ;   in Loop: Header=BB12_3 Depth=1
	v_mul_f32_e32 v7, 0xbfb8aa3b, v2
	s_delay_alu instid0(VALU_DEP_1) | instskip(SKIP_3) | instid1(VALU_DEP_2)
	v_cmp_gt_f32_e32 vcc_lo, 0xc2fc0000, v7
	v_cndmask_b32_e64 v8, 0, 0x42800000, vcc_lo
	v_cndmask_b32_e64 v7, 1.0, 0x1f800000, vcc_lo
	s_and_not1_b32 vcc_lo, exec_lo, s17
	v_fmac_f32_e32 v8, 0xbfb8aa3b, v2
	s_delay_alu instid0(VALU_DEP_1) | instskip(SKIP_2) | instid1(VALU_DEP_1)
	v_exp_f32_e32 v2, v8
	s_waitcnt_depctr 0xfff
	v_fma_f32 v2, v2, v7, 1.0
	v_rcp_f32_e32 v2, v2
	s_cbranch_vccnz .LBB12_2
; %bb.6:                                ;   in Loop: Header=BB12_3 Depth=1
	v_add_co_u32 v7, vcc_lo, s6, v3
	v_add_co_ci_u32_e32 v8, vcc_lo, s7, v4, vcc_lo
	global_load_b32 v7, v[7:8], off offset:4
	s_waitcnt vmcnt(0)
	v_add_f32_e32 v2, v2, v7
	s_branch .LBB12_2
.LBB12_7:
	s_or_b32 exec_lo, exec_lo, s16
	v_lshl_add_u32 v1, s14, 1, v0
	s_mov_b32 s3, exec_lo
	s_delay_alu instid0(VALU_DEP_1)
	v_cmpx_gt_i32_e64 s12, v1
	s_cbranch_execz .LBB12_12
; %bb.8:
	s_load_b32 s17, s[0:1], 0x44
	v_lshlrev_b32_e32 v2, 2, v0
	s_cmp_lg_u64 s[6:7], 0
	s_cselect_b32 s16, -1, 0
	s_lshl_b32 s18, s14, 3
	s_delay_alu instid0(VALU_DEP_1) | instid1(SALU_CYCLE_1)
	v_add3_u32 v4, 0, s18, v2
	s_mov_b32 s18, 0
	s_waitcnt lgkmcnt(0)
	s_and_b32 s17, s17, 0xffff
	s_delay_alu instid0(SALU_CYCLE_1)
	s_lshl_b32 s19, s17, 2
	s_set_inst_prefetch_distance 0x1
	s_branch .LBB12_10
	.p2align	6
.LBB12_9:                               ;   in Loop: Header=BB12_10 Depth=1
	v_add_nc_u32_e32 v1, s17, v1
	v_add_nc_u32_e32 v4, s19, v4
	s_delay_alu instid0(VALU_DEP_2) | instskip(SKIP_1) | instid1(SALU_CYCLE_1)
	v_cmp_le_i32_e32 vcc_lo, s12, v1
	s_or_b32 s18, vcc_lo, s18
	s_and_not1_b32 exec_lo, exec_lo, s18
	s_cbranch_execz .LBB12_12
.LBB12_10:                              ; =>This Inner Loop Header: Depth=1
	v_ashrrev_i32_e32 v2, 31, v1
	s_delay_alu instid0(VALU_DEP_1) | instskip(NEXT) | instid1(VALU_DEP_1)
	v_lshlrev_b64 v[2:3], 2, v[1:2]
	v_add_co_u32 v5, vcc_lo, s4, v2
	s_delay_alu instid0(VALU_DEP_2) | instskip(SKIP_3) | instid1(VALU_DEP_1)
	v_add_co_ci_u32_e32 v6, vcc_lo, s5, v3, vcc_lo
	global_load_b32 v5, v[5:6], off
	s_waitcnt vmcnt(0)
	v_mul_f32_e32 v6, 0xbfb8aa3b, v5
	v_cmp_gt_f32_e32 vcc_lo, 0xc2fc0000, v6
	v_cndmask_b32_e64 v6, 0, 0x42800000, vcc_lo
	s_delay_alu instid0(VALU_DEP_1) | instskip(NEXT) | instid1(VALU_DEP_1)
	v_fmac_f32_e32 v6, 0xbfb8aa3b, v5
	v_exp_f32_e32 v5, v6
	v_cndmask_b32_e64 v6, 1.0, 0x1f800000, vcc_lo
	s_and_not1_b32 vcc_lo, exec_lo, s16
	s_waitcnt_depctr 0xfff
	v_fma_f32 v5, v5, v6, 1.0
	s_delay_alu instid0(VALU_DEP_1)
	v_rcp_f32_e32 v5, v5
	ds_store_b32 v4, v5
	s_cbranch_vccnz .LBB12_9
; %bb.11:                               ;   in Loop: Header=BB12_10 Depth=1
	v_add_co_u32 v2, vcc_lo, s6, v2
	v_add_co_ci_u32_e32 v3, vcc_lo, s7, v3, vcc_lo
	global_load_b32 v2, v[2:3], off
	s_waitcnt vmcnt(0)
	v_add_f32_e32 v2, v5, v2
	ds_store_b32 v4, v2
	s_branch .LBB12_9
.LBB12_12:
	s_set_inst_prefetch_distance 0x2
	s_or_b32 exec_lo, exec_lo, s3
	s_cmp_lt_i32 s13, 1
	s_waitcnt lgkmcnt(0)
	s_barrier
	buffer_gl0_inv
	s_cbranch_scc1 .LBB12_21
; %bb.13:
	s_add_u32 s4, s0, 56
	s_addc_u32 s5, s1, 0
	v_dual_mov_b32 v2, 0 :: v_dual_lshlrev_b32 v3, 1, v0
	v_lshl_add_u32 v4, v0, 3, 0
	v_mov_b32_e32 v1, 0
	v_mov_b32_e32 v5, 0xff800000
	s_cmp_lg_u64 s[6:7], 0
	s_mov_b32 s18, 0
	s_cselect_b32 s12, -1, 0
	s_mov_b32 s19, 0x76543210
	s_branch .LBB12_15
.LBB12_14:                              ;   in Loop: Header=BB12_15 Depth=1
	v_cmp_eq_u32_e32 vcc_lo, s18, v0
	s_delay_alu instid0(VALU_DEP_2)
	s_lshl_b32 s3, s16, 2
	s_add_i32 s18, s18, 1
	s_add_i32 s3, s3, 0
	s_cmp_eq_u32 s18, s13
	v_cndmask_b32_e64 v1, v1, s16, vcc_lo
	v_mov_b32_e32 v6, s3
	v_cndmask_b32_e32 v2, v2, v8, vcc_lo
	ds_store_b32 v6, v5
	s_cbranch_scc1 .LBB12_22
.LBB12_15:                              ; =>This Loop Header: Depth=1
                                        ;     Child Loop BB12_17 Depth 2
	v_dual_mov_b32 v6, s18 :: v_dual_mov_b32 v7, 0xff800000
	s_and_saveexec_b32 s16, s2
	s_cbranch_execz .LBB12_19
; %bb.16:                               ;   in Loop: Header=BB12_15 Depth=1
	s_load_b32 s3, s[4:5], 0xc
	v_dual_mov_b32 v6, s18 :: v_dual_mov_b32 v7, 0xff800000
	v_dual_mov_b32 v8, v4 :: v_dual_mov_b32 v9, v3
	v_mov_b32_e32 v10, v0
	s_mov_b32 s21, 0
	s_waitcnt lgkmcnt(0)
	s_and_b32 s17, s3, 0xffff
	s_delay_alu instid0(SALU_CYCLE_1)
	s_lshl_b32 s20, s17, 1
	s_lshl_b32 s22, s17, 3
	.p2align	6
.LBB12_17:                              ;   Parent Loop BB12_15 Depth=1
                                        ; =>  This Inner Loop Header: Depth=2
	ds_load_b64 v[11:12], v8
	v_add_nc_u32_e32 v8, s22, v8
	v_add_nc_u32_e32 v10, s17, v10
	s_delay_alu instid0(VALU_DEP_1) | instskip(NEXT) | instid1(VALU_DEP_1)
	v_cmp_le_i32_e64 s3, s14, v10
	s_or_b32 s21, s3, s21
	s_waitcnt lgkmcnt(0)
	v_cmp_gt_f32_e32 vcc_lo, v11, v7
	v_cndmask_b32_e32 v7, v7, v11, vcc_lo
	v_add_nc_u32_e32 v11, 1, v9
	v_cndmask_b32_e32 v6, v6, v9, vcc_lo
	s_delay_alu instid0(VALU_DEP_3) | instskip(SKIP_1) | instid1(VALU_DEP_3)
	v_cmp_gt_f32_e32 vcc_lo, v12, v7
	v_cndmask_b32_e32 v7, v7, v12, vcc_lo
	v_dual_cndmask_b32 v6, v6, v11 :: v_dual_add_nc_u32 v9, s20, v9
	s_and_not1_b32 exec_lo, exec_lo, s21
	s_cbranch_execnz .LBB12_17
; %bb.18:                               ;   in Loop: Header=BB12_15 Depth=1
	s_or_b32 exec_lo, exec_lo, s21
.LBB12_19:                              ;   in Loop: Header=BB12_15 Depth=1
	s_delay_alu instid0(SALU_CYCLE_1)
	s_or_b32 exec_lo, exec_lo, s16
	;;#ASMSTART
	v_max_f32 v8, v7, v7 quad_perm:[1,0,3,2] row_mask:0xf bank_mask:0xf bound_ctrl:1
	;;#ASMEND
	;;#ASMSTART
	v_max_f32 v9, v8, v8 quad_perm:[2,3,0,1] row_mask:0xf bank_mask:0xf bound_ctrl:1
	;;#ASMEND
	;;#ASMSTART
	v_max_f32 v8, v9, v9 row_half_mirror row_mask:0xf bank_mask:0xf bound_ctrl:1
	;;#ASMEND
	;;#ASMSTART
	v_max_f32 v9, v8, v8 row_mirror row_mask:0xf bank_mask:0xf bound_ctrl:1
	;;#ASMEND
	v_permlanex16_b32 v8, v9, s19, 0xfedcba98 op_sel:[1,1]
	s_delay_alu instid0(VALU_DEP_1) | instskip(NEXT) | instid1(VALU_DEP_1)
	v_dual_max_f32 v9, v9, v9 :: v_dual_max_f32 v8, v8, v8
	v_max_f32_e32 v8, v9, v8
	s_delay_alu instid0(VALU_DEP_1)
	v_cmp_eq_f32_e32 vcc_lo, v7, v8
	s_ctz_i32_b32 s3, vcc_lo
	s_cmp_lg_u32 vcc_lo, 0
	s_cselect_b32 s3, s3, 0
	s_and_b32 vcc_lo, exec_lo, s12
	v_readlane_b32 s16, v6, s3
	s_cbranch_vccz .LBB12_14
; %bb.20:                               ;   in Loop: Header=BB12_15 Depth=1
	s_delay_alu instid0(VALU_DEP_1) | instskip(NEXT) | instid1(SALU_CYCLE_1)
	s_ashr_i32 s17, s16, 31
	s_lshl_b64 s[20:21], s[16:17], 2
	s_delay_alu instid0(SALU_CYCLE_1)
	s_add_u32 s20, s6, s20
	s_addc_u32 s21, s7, s21
	s_load_b32 s3, s[20:21], 0x0
	s_waitcnt lgkmcnt(0)
	v_subrev_f32_e32 v8, s3, v8
	s_branch .LBB12_14
.LBB12_21:
	v_dual_mov_b32 v2, 0 :: v_dual_mov_b32 v1, 0
.LBB12_22:
	s_mov_b32 s2, exec_lo
	v_cmpx_gt_i32_e64 s13, v0
	s_cbranch_execz .LBB12_25
; %bb.23:
	s_clause 0x2
	s_load_b32 s4, s[0:1], 0x34
	s_load_b64 s[2:3], s[0:1], 0x20
	s_load_b32 s0, s[0:1], 0x44
	s_ashr_i32 s1, s15, 31
	s_waitcnt lgkmcnt(0)
	v_mul_f32_e32 v2, s4, v2
	s_mul_i32 s3, s15, s3
	s_mul_hi_u32 s4, s15, s2
	s_mul_i32 s5, s1, s2
	s_add_i32 s3, s4, s3
	s_mul_i32 s1, s15, s2
	s_and_b32 s2, s0, 0xffff
	s_add_i32 s3, s3, s5
	s_mov_b32 s4, 0
	.p2align	6
.LBB12_24:                              ; =>This Inner Loop Header: Depth=1
	v_ashrrev_i32_e32 v4, 31, v0
	v_add_co_u32 v3, vcc_lo, s1, v0
	v_add_nc_u32_e32 v0, s2, v0
	s_delay_alu instid0(VALU_DEP_3) | instskip(NEXT) | instid1(VALU_DEP_2)
	v_add_co_ci_u32_e32 v4, vcc_lo, s3, v4, vcc_lo
	v_cmp_le_i32_e32 vcc_lo, s13, v0
	s_delay_alu instid0(VALU_DEP_2) | instskip(SKIP_1) | instid1(VALU_DEP_1)
	v_lshlrev_b64 v[3:4], 2, v[3:4]
	s_or_b32 s4, vcc_lo, s4
	v_add_co_u32 v5, s0, s8, v3
	s_delay_alu instid0(VALU_DEP_1) | instskip(SKIP_1) | instid1(VALU_DEP_1)
	v_add_co_ci_u32_e64 v6, s0, s9, v4, s0
	v_add_co_u32 v3, s0, s10, v3
	v_add_co_ci_u32_e64 v4, s0, s11, v4, s0
	global_store_b32 v[5:6], v2, off
	global_store_b32 v[3:4], v1, off
	s_and_not1_b32 exec_lo, exec_lo, s4
	s_cbranch_execnz .LBB12_24
.LBB12_25:
	s_nop 0
	s_sendmsg sendmsg(MSG_DEALLOC_VGPRS)
	s_endpgm
	.section	.rodata,"a",@progbits
	.p2align	6, 0x0
	.amdhsa_kernel _ZN5aiter20topk_softplus_kernelIffDv2_fLb0ELi1EEEvPKT_PKT0_PfPimiiif
		.amdhsa_group_segment_fixed_size 0
		.amdhsa_private_segment_fixed_size 0
		.amdhsa_kernarg_size 312
		.amdhsa_user_sgpr_count 15
		.amdhsa_user_sgpr_dispatch_ptr 0
		.amdhsa_user_sgpr_queue_ptr 0
		.amdhsa_user_sgpr_kernarg_segment_ptr 1
		.amdhsa_user_sgpr_dispatch_id 0
		.amdhsa_user_sgpr_private_segment_size 0
		.amdhsa_wavefront_size32 1
		.amdhsa_uses_dynamic_stack 0
		.amdhsa_enable_private_segment 0
		.amdhsa_system_sgpr_workgroup_id_x 1
		.amdhsa_system_sgpr_workgroup_id_y 0
		.amdhsa_system_sgpr_workgroup_id_z 0
		.amdhsa_system_sgpr_workgroup_info 0
		.amdhsa_system_vgpr_workitem_id 0
		.amdhsa_next_free_vgpr 13
		.amdhsa_next_free_sgpr 23
		.amdhsa_reserve_vcc 1
		.amdhsa_float_round_mode_32 0
		.amdhsa_float_round_mode_16_64 0
		.amdhsa_float_denorm_mode_32 3
		.amdhsa_float_denorm_mode_16_64 3
		.amdhsa_dx10_clamp 1
		.amdhsa_ieee_mode 1
		.amdhsa_fp16_overflow 0
		.amdhsa_workgroup_processor_mode 1
		.amdhsa_memory_ordered 1
		.amdhsa_forward_progress 0
		.amdhsa_shared_vgpr_count 0
		.amdhsa_exception_fp_ieee_invalid_op 0
		.amdhsa_exception_fp_denorm_src 0
		.amdhsa_exception_fp_ieee_div_zero 0
		.amdhsa_exception_fp_ieee_overflow 0
		.amdhsa_exception_fp_ieee_underflow 0
		.amdhsa_exception_fp_ieee_inexact 0
		.amdhsa_exception_int_div_zero 0
	.end_amdhsa_kernel
	.section	.text._ZN5aiter20topk_softplus_kernelIffDv2_fLb0ELi1EEEvPKT_PKT0_PfPimiiif,"axG",@progbits,_ZN5aiter20topk_softplus_kernelIffDv2_fLb0ELi1EEEvPKT_PKT0_PfPimiiif,comdat
.Lfunc_end12:
	.size	_ZN5aiter20topk_softplus_kernelIffDv2_fLb0ELi1EEEvPKT_PKT0_PfPimiiif, .Lfunc_end12-_ZN5aiter20topk_softplus_kernelIffDv2_fLb0ELi1EEEvPKT_PKT0_PfPimiiif
                                        ; -- End function
	.section	.AMDGPU.csdata,"",@progbits
; Kernel info:
; codeLenInByte = 1464
; NumSgprs: 25
; NumVgprs: 13
; ScratchSize: 0
; MemoryBound: 0
; FloatMode: 240
; IeeeMode: 1
; LDSByteSize: 0 bytes/workgroup (compile time only)
; SGPRBlocks: 3
; VGPRBlocks: 1
; NumSGPRsForWavesPerEU: 25
; NumVGPRsForWavesPerEU: 13
; Occupancy: 16
; WaveLimiterHint : 0
; COMPUTE_PGM_RSRC2:SCRATCH_EN: 0
; COMPUTE_PGM_RSRC2:USER_SGPR: 15
; COMPUTE_PGM_RSRC2:TRAP_HANDLER: 0
; COMPUTE_PGM_RSRC2:TGID_X_EN: 1
; COMPUTE_PGM_RSRC2:TGID_Y_EN: 0
; COMPUTE_PGM_RSRC2:TGID_Z_EN: 0
; COMPUTE_PGM_RSRC2:TIDIG_COMP_CNT: 0
	.section	.text._ZN5aiter20topk_softplus_kernelIffDv1_fLb1ELi1EEEvPKT_PKT0_PfPimiiif,"axG",@progbits,_ZN5aiter20topk_softplus_kernelIffDv1_fLb1ELi1EEEvPKT_PKT0_PfPimiiif,comdat
	.protected	_ZN5aiter20topk_softplus_kernelIffDv1_fLb1ELi1EEEvPKT_PKT0_PfPimiiif ; -- Begin function _ZN5aiter20topk_softplus_kernelIffDv1_fLb1ELi1EEEvPKT_PKT0_PfPimiiif
	.globl	_ZN5aiter20topk_softplus_kernelIffDv1_fLb1ELi1EEEvPKT_PKT0_PfPimiiif
	.p2align	8
	.type	_ZN5aiter20topk_softplus_kernelIffDv1_fLb1ELi1EEEvPKT_PKT0_PfPimiiif,@function
_ZN5aiter20topk_softplus_kernelIffDv1_fLb1ELi1EEEvPKT_PKT0_PfPimiiif: ; @_ZN5aiter20topk_softplus_kernelIffDv1_fLb1ELi1EEEvPKT_PKT0_PfPimiiif
; %bb.0:
	s_clause 0x1
	s_load_b64 s[12:13], s[0:1], 0x28
	s_load_b256 s[4:11], s[0:1], 0x0
	v_lshl_add_u32 v4, v0, 2, 0
	s_waitcnt lgkmcnt(0)
	s_mul_i32 s16, s15, s12
	v_cmp_gt_i32_e64 s2, s12, v0
	s_ashr_i32 s17, s16, 31
	s_delay_alu instid0(SALU_CYCLE_1) | instskip(NEXT) | instid1(SALU_CYCLE_1)
	s_lshl_b64 s[16:17], s[16:17], 2
	s_add_u32 s3, s4, s16
	s_addc_u32 s4, s5, s17
	s_and_saveexec_b32 s5, s2
	s_cbranch_execz .LBB13_5
; %bb.1:
	s_load_b32 s16, s[0:1], 0x44
	s_cmp_lg_u64 s[6:7], 0
	v_lshl_add_u32 v5, v0, 2, 0
	v_mov_b32_e32 v1, v0
	s_cselect_b32 s14, -1, 0
	s_mov_b32 s17, 0
	s_waitcnt lgkmcnt(0)
	s_and_b32 s16, s16, 0xffff
	s_delay_alu instid0(SALU_CYCLE_1)
	s_lshl_b32 s18, s16, 2
	s_set_inst_prefetch_distance 0x1
	s_branch .LBB13_3
	.p2align	6
.LBB13_2:                               ;   in Loop: Header=BB13_3 Depth=1
	v_add_nc_u32_e32 v1, s16, v1
	ds_store_b32 v5, v6
	v_add_nc_u32_e32 v5, s18, v5
	v_cmp_le_i32_e32 vcc_lo, s12, v1
	s_or_b32 s17, vcc_lo, s17
	s_delay_alu instid0(SALU_CYCLE_1)
	s_and_not1_b32 exec_lo, exec_lo, s17
	s_cbranch_execz .LBB13_5
.LBB13_3:                               ; =>This Inner Loop Header: Depth=1
	v_ashrrev_i32_e32 v2, 31, v1
	s_delay_alu instid0(VALU_DEP_1) | instskip(NEXT) | instid1(VALU_DEP_1)
	v_lshlrev_b64 v[2:3], 2, v[1:2]
	v_add_co_u32 v6, vcc_lo, s3, v2
	s_delay_alu instid0(VALU_DEP_2) | instskip(SKIP_3) | instid1(VALU_DEP_1)
	v_add_co_ci_u32_e32 v7, vcc_lo, s4, v3, vcc_lo
	global_load_b32 v6, v[6:7], off
	s_waitcnt vmcnt(0)
	v_mul_f32_e32 v7, 0xbfb8aa3b, v6
	v_cmp_gt_f32_e32 vcc_lo, 0xc2fc0000, v7
	v_cndmask_b32_e64 v7, 0, 0x42800000, vcc_lo
	s_delay_alu instid0(VALU_DEP_1) | instskip(NEXT) | instid1(VALU_DEP_1)
	v_fmac_f32_e32 v7, 0xbfb8aa3b, v6
	v_exp_f32_e32 v6, v7
	v_cndmask_b32_e64 v7, 1.0, 0x1f800000, vcc_lo
	s_and_not1_b32 vcc_lo, exec_lo, s14
	s_waitcnt_depctr 0xfff
	v_fma_f32 v6, v6, v7, 1.0
	s_delay_alu instid0(VALU_DEP_1)
	v_rcp_f32_e32 v6, v6
	s_cbranch_vccnz .LBB13_2
; %bb.4:                                ;   in Loop: Header=BB13_3 Depth=1
	v_add_co_u32 v2, vcc_lo, s6, v2
	v_add_co_ci_u32_e32 v3, vcc_lo, s7, v3, vcc_lo
	global_load_b32 v2, v[2:3], off
	s_waitcnt vmcnt(0)
	v_add_f32_e32 v6, v6, v2
	s_branch .LBB13_2
.LBB13_5:
	s_set_inst_prefetch_distance 0x2
	s_or_b32 exec_lo, exec_lo, s5
	v_add_nc_u32_e32 v1, s12, v0
	s_mov_b32 s5, exec_lo
	s_delay_alu instid0(VALU_DEP_1)
	v_cmpx_gt_i32_e64 s12, v1
	s_cbranch_execz .LBB13_10
; %bb.6:
	s_load_b32 s16, s[0:1], 0x44
	s_cmp_lg_u64 s[6:7], 0
	v_lshl_add_u32 v5, v1, 2, 0
	s_cselect_b32 s14, -1, 0
	s_mov_b32 s17, 0
	s_waitcnt lgkmcnt(0)
	s_and_b32 s16, s16, 0xffff
	s_delay_alu instid0(SALU_CYCLE_1)
	s_lshl_b32 s18, s16, 2
	s_set_inst_prefetch_distance 0x1
	s_branch .LBB13_8
	.p2align	6
.LBB13_7:                               ;   in Loop: Header=BB13_8 Depth=1
	v_add_nc_u32_e32 v1, s16, v1
	v_add_nc_u32_e32 v5, s18, v5
	s_delay_alu instid0(VALU_DEP_2) | instskip(SKIP_1) | instid1(SALU_CYCLE_1)
	v_cmp_le_i32_e32 vcc_lo, s12, v1
	s_or_b32 s17, vcc_lo, s17
	s_and_not1_b32 exec_lo, exec_lo, s17
	s_cbranch_execz .LBB13_10
.LBB13_8:                               ; =>This Inner Loop Header: Depth=1
	v_ashrrev_i32_e32 v2, 31, v1
	s_delay_alu instid0(VALU_DEP_1) | instskip(NEXT) | instid1(VALU_DEP_1)
	v_lshlrev_b64 v[2:3], 2, v[1:2]
	v_add_co_u32 v6, vcc_lo, s3, v2
	s_delay_alu instid0(VALU_DEP_2) | instskip(SKIP_3) | instid1(VALU_DEP_1)
	v_add_co_ci_u32_e32 v7, vcc_lo, s4, v3, vcc_lo
	global_load_b32 v6, v[6:7], off
	s_waitcnt vmcnt(0)
	v_mul_f32_e32 v7, 0xbfb8aa3b, v6
	v_cmp_gt_f32_e32 vcc_lo, 0xc2fc0000, v7
	v_cndmask_b32_e64 v7, 0, 0x42800000, vcc_lo
	s_delay_alu instid0(VALU_DEP_1) | instskip(NEXT) | instid1(VALU_DEP_1)
	v_fmac_f32_e32 v7, 0xbfb8aa3b, v6
	v_exp_f32_e32 v6, v7
	v_cndmask_b32_e64 v7, 1.0, 0x1f800000, vcc_lo
	s_and_not1_b32 vcc_lo, exec_lo, s14
	s_waitcnt_depctr 0xfff
	v_fma_f32 v6, v6, v7, 1.0
	s_delay_alu instid0(VALU_DEP_1)
	v_rcp_f32_e32 v6, v6
	ds_store_b32 v5, v6
	s_cbranch_vccnz .LBB13_7
; %bb.9:                                ;   in Loop: Header=BB13_8 Depth=1
	v_add_co_u32 v2, vcc_lo, s6, v2
	v_add_co_ci_u32_e32 v3, vcc_lo, s7, v3, vcc_lo
	global_load_b32 v2, v[2:3], off
	s_waitcnt vmcnt(0)
	v_add_f32_e32 v2, v6, v2
	ds_store_b32 v5, v2
	s_branch .LBB13_7
.LBB13_10:
	s_set_inst_prefetch_distance 0x2
	s_or_b32 exec_lo, exec_lo, s5
	v_mov_b32_e32 v2, 0
	s_cmp_lt_i32 s13, 1
	s_waitcnt lgkmcnt(0)
	s_barrier
	buffer_gl0_inv
	s_cbranch_scc1 .LBB13_19
; %bb.11:
	s_add_u32 s4, s0, 56
	s_addc_u32 s5, s1, 0
	v_dual_mov_b32 v2, 0 :: v_dual_mov_b32 v5, 0xff800000
	v_mov_b32_e32 v1, 0
	v_mov_b32_e32 v3, 0
	s_cmp_lg_u64 s[6:7], 0
	s_mov_b32 s14, 0
	s_cselect_b32 s3, -1, 0
	s_mov_b32 s18, 0x76543210
	s_branch .LBB13_13
.LBB13_12:                              ;   in Loop: Header=BB13_13 Depth=1
	v_cmp_eq_u32_e32 vcc_lo, s14, v0
	s_delay_alu instid0(VALU_DEP_2)
	s_lshl_b32 s17, s16, 2
	s_add_i32 s14, s14, 1
	s_add_i32 s17, s17, 0
	v_add_f32_e32 v3, v3, v8
	v_cndmask_b32_e64 v1, v1, s16, vcc_lo
	v_mov_b32_e32 v6, s17
	v_cndmask_b32_e32 v2, v2, v8, vcc_lo
	s_cmp_eq_u32 s14, s13
	ds_store_b32 v6, v5
	s_cbranch_scc1 .LBB13_20
.LBB13_13:                              ; =>This Loop Header: Depth=1
                                        ;     Child Loop BB13_15 Depth 2
	v_dual_mov_b32 v6, s14 :: v_dual_mov_b32 v7, 0xff800000
	s_and_saveexec_b32 s16, s2
	s_cbranch_execz .LBB13_17
; %bb.14:                               ;   in Loop: Header=BB13_13 Depth=1
	s_load_b32 s17, s[4:5], 0xc
	v_dual_mov_b32 v6, s14 :: v_dual_mov_b32 v7, 0xff800000
	v_mov_b32_e32 v8, v4
	v_mov_b32_e32 v9, v0
	s_mov_b32 s19, 0
	s_waitcnt lgkmcnt(0)
	s_and_b32 s17, s17, 0xffff
	s_delay_alu instid0(SALU_CYCLE_1)
	s_lshl_b32 s20, s17, 2
.LBB13_15:                              ;   Parent Loop BB13_13 Depth=1
                                        ; =>  This Inner Loop Header: Depth=2
	ds_load_b32 v10, v8
	v_add_nc_u32_e32 v8, s20, v8
	s_waitcnt lgkmcnt(0)
	v_cmp_gt_f32_e32 vcc_lo, v10, v7
	v_dual_cndmask_b32 v7, v7, v10 :: v_dual_cndmask_b32 v6, v6, v9
	v_add_nc_u32_e32 v9, s17, v9
	s_delay_alu instid0(VALU_DEP_1) | instskip(SKIP_1) | instid1(SALU_CYCLE_1)
	v_cmp_le_i32_e32 vcc_lo, s12, v9
	s_or_b32 s19, vcc_lo, s19
	s_and_not1_b32 exec_lo, exec_lo, s19
	s_cbranch_execnz .LBB13_15
; %bb.16:                               ;   in Loop: Header=BB13_13 Depth=1
	s_or_b32 exec_lo, exec_lo, s19
.LBB13_17:                              ;   in Loop: Header=BB13_13 Depth=1
	s_delay_alu instid0(SALU_CYCLE_1)
	s_or_b32 exec_lo, exec_lo, s16
	;;#ASMSTART
	v_max_f32 v8, v7, v7 quad_perm:[1,0,3,2] row_mask:0xf bank_mask:0xf bound_ctrl:1
	;;#ASMEND
	;;#ASMSTART
	v_max_f32 v9, v8, v8 quad_perm:[2,3,0,1] row_mask:0xf bank_mask:0xf bound_ctrl:1
	;;#ASMEND
	;;#ASMSTART
	v_max_f32 v8, v9, v9 row_half_mirror row_mask:0xf bank_mask:0xf bound_ctrl:1
	;;#ASMEND
	;;#ASMSTART
	v_max_f32 v9, v8, v8 row_mirror row_mask:0xf bank_mask:0xf bound_ctrl:1
	;;#ASMEND
	v_permlanex16_b32 v8, v9, s18, 0xfedcba98 op_sel:[1,1]
	s_delay_alu instid0(VALU_DEP_1) | instskip(NEXT) | instid1(VALU_DEP_1)
	v_dual_max_f32 v9, v9, v9 :: v_dual_max_f32 v8, v8, v8
	v_max_f32_e32 v8, v9, v8
	s_delay_alu instid0(VALU_DEP_1)
	v_cmp_eq_f32_e32 vcc_lo, v7, v8
	s_ctz_i32_b32 s16, vcc_lo
	s_cmp_lg_u32 vcc_lo, 0
	s_cselect_b32 s16, s16, 0
	s_and_b32 vcc_lo, exec_lo, s3
	v_readlane_b32 s16, v6, s16
	s_cbranch_vccz .LBB13_12
; %bb.18:                               ;   in Loop: Header=BB13_13 Depth=1
	s_delay_alu instid0(VALU_DEP_1) | instskip(NEXT) | instid1(SALU_CYCLE_1)
	s_ashr_i32 s17, s16, 31
	s_lshl_b64 s[20:21], s[16:17], 2
	s_delay_alu instid0(SALU_CYCLE_1)
	s_add_u32 s20, s6, s20
	s_addc_u32 s21, s7, s21
	s_load_b32 s17, s[20:21], 0x0
	s_waitcnt lgkmcnt(0)
	v_subrev_f32_e32 v8, s17, v8
	s_branch .LBB13_12
.LBB13_19:
	v_mov_b32_e32 v1, 0
	v_mov_b32_e32 v3, 0
.LBB13_20:
	s_mov_b32 s2, exec_lo
	v_cmpx_gt_i32_e64 s13, v0
	s_cbranch_execz .LBB13_23
; %bb.21:
	s_clause 0x1
	s_load_b32 s2, s[0:1], 0x34
	s_load_b32 s3, s[0:1], 0x44
	v_max_f32_e32 v3, v3, v3
	s_load_b64 s[0:1], s[0:1], 0x20
	s_ashr_i32 s4, s15, 31
	s_delay_alu instid0(VALU_DEP_1) | instskip(SKIP_1) | instid1(VALU_DEP_1)
	v_max_f32_e32 v3, 0x1e3ce508, v3
	s_waitcnt lgkmcnt(0)
	v_div_scale_f32 v4, null, v3, v3, s2
	v_div_scale_f32 v7, vcc_lo, s2, v3, s2
	s_mul_i32 s1, s15, s1
	s_delay_alu instid0(VALU_DEP_2) | instskip(SKIP_4) | instid1(VALU_DEP_1)
	v_rcp_f32_e32 v5, v4
	s_mul_i32 s4, s4, s0
	s_and_b32 s3, s3, 0xffff
	s_waitcnt_depctr 0xfff
	v_fma_f32 v6, -v4, v5, 1.0
	v_fmac_f32_e32 v5, v6, v5
	s_delay_alu instid0(VALU_DEP_1) | instskip(NEXT) | instid1(VALU_DEP_1)
	v_mul_f32_e32 v6, v7, v5
	v_fma_f32 v8, -v4, v6, v7
	s_delay_alu instid0(VALU_DEP_1) | instskip(NEXT) | instid1(VALU_DEP_1)
	v_fmac_f32_e32 v6, v8, v5
	v_fma_f32 v4, -v4, v6, v7
	s_delay_alu instid0(VALU_DEP_1) | instskip(NEXT) | instid1(VALU_DEP_1)
	v_div_fmas_f32 v4, v4, v5, v6
	v_div_fixup_f32 v3, v4, v3, s2
	s_mul_hi_u32 s2, s15, s0
	s_delay_alu instid0(SALU_CYCLE_1) | instskip(SKIP_1) | instid1(VALU_DEP_1)
	s_add_i32 s1, s2, s1
	s_mul_i32 s2, s15, s0
	v_mul_f32_e32 v2, v2, v3
	s_add_i32 s1, s1, s4
	s_mov_b32 s4, 0
	.p2align	6
.LBB13_22:                              ; =>This Inner Loop Header: Depth=1
	v_ashrrev_i32_e32 v4, 31, v0
	v_add_co_u32 v3, vcc_lo, s2, v0
	v_add_nc_u32_e32 v0, s3, v0
	s_delay_alu instid0(VALU_DEP_3) | instskip(NEXT) | instid1(VALU_DEP_2)
	v_add_co_ci_u32_e32 v4, vcc_lo, s1, v4, vcc_lo
	v_cmp_le_i32_e32 vcc_lo, s13, v0
	s_delay_alu instid0(VALU_DEP_2) | instskip(SKIP_1) | instid1(VALU_DEP_1)
	v_lshlrev_b64 v[3:4], 2, v[3:4]
	s_or_b32 s4, vcc_lo, s4
	v_add_co_u32 v5, s0, s8, v3
	s_delay_alu instid0(VALU_DEP_1) | instskip(SKIP_1) | instid1(VALU_DEP_1)
	v_add_co_ci_u32_e64 v6, s0, s9, v4, s0
	v_add_co_u32 v3, s0, s10, v3
	v_add_co_ci_u32_e64 v4, s0, s11, v4, s0
	global_store_b32 v[5:6], v2, off
	global_store_b32 v[3:4], v1, off
	s_and_not1_b32 exec_lo, exec_lo, s4
	s_cbranch_execnz .LBB13_22
.LBB13_23:
	s_nop 0
	s_sendmsg sendmsg(MSG_DEALLOC_VGPRS)
	s_endpgm
	.section	.rodata,"a",@progbits
	.p2align	6, 0x0
	.amdhsa_kernel _ZN5aiter20topk_softplus_kernelIffDv1_fLb1ELi1EEEvPKT_PKT0_PfPimiiif
		.amdhsa_group_segment_fixed_size 0
		.amdhsa_private_segment_fixed_size 0
		.amdhsa_kernarg_size 312
		.amdhsa_user_sgpr_count 15
		.amdhsa_user_sgpr_dispatch_ptr 0
		.amdhsa_user_sgpr_queue_ptr 0
		.amdhsa_user_sgpr_kernarg_segment_ptr 1
		.amdhsa_user_sgpr_dispatch_id 0
		.amdhsa_user_sgpr_private_segment_size 0
		.amdhsa_wavefront_size32 1
		.amdhsa_uses_dynamic_stack 0
		.amdhsa_enable_private_segment 0
		.amdhsa_system_sgpr_workgroup_id_x 1
		.amdhsa_system_sgpr_workgroup_id_y 0
		.amdhsa_system_sgpr_workgroup_id_z 0
		.amdhsa_system_sgpr_workgroup_info 0
		.amdhsa_system_vgpr_workitem_id 0
		.amdhsa_next_free_vgpr 11
		.amdhsa_next_free_sgpr 22
		.amdhsa_reserve_vcc 1
		.amdhsa_float_round_mode_32 0
		.amdhsa_float_round_mode_16_64 0
		.amdhsa_float_denorm_mode_32 3
		.amdhsa_float_denorm_mode_16_64 3
		.amdhsa_dx10_clamp 1
		.amdhsa_ieee_mode 1
		.amdhsa_fp16_overflow 0
		.amdhsa_workgroup_processor_mode 1
		.amdhsa_memory_ordered 1
		.amdhsa_forward_progress 0
		.amdhsa_shared_vgpr_count 0
		.amdhsa_exception_fp_ieee_invalid_op 0
		.amdhsa_exception_fp_denorm_src 0
		.amdhsa_exception_fp_ieee_div_zero 0
		.amdhsa_exception_fp_ieee_overflow 0
		.amdhsa_exception_fp_ieee_underflow 0
		.amdhsa_exception_fp_ieee_inexact 0
		.amdhsa_exception_int_div_zero 0
	.end_amdhsa_kernel
	.section	.text._ZN5aiter20topk_softplus_kernelIffDv1_fLb1ELi1EEEvPKT_PKT0_PfPimiiif,"axG",@progbits,_ZN5aiter20topk_softplus_kernelIffDv1_fLb1ELi1EEEvPKT_PKT0_PfPimiiif,comdat
.Lfunc_end13:
	.size	_ZN5aiter20topk_softplus_kernelIffDv1_fLb1ELi1EEEvPKT_PKT0_PfPimiiif, .Lfunc_end13-_ZN5aiter20topk_softplus_kernelIffDv1_fLb1ELi1EEEvPKT_PKT0_PfPimiiif
                                        ; -- End function
	.section	.AMDGPU.csdata,"",@progbits
; Kernel info:
; codeLenInByte = 1416
; NumSgprs: 24
; NumVgprs: 11
; ScratchSize: 0
; MemoryBound: 0
; FloatMode: 240
; IeeeMode: 1
; LDSByteSize: 0 bytes/workgroup (compile time only)
; SGPRBlocks: 2
; VGPRBlocks: 1
; NumSGPRsForWavesPerEU: 24
; NumVGPRsForWavesPerEU: 11
; Occupancy: 16
; WaveLimiterHint : 0
; COMPUTE_PGM_RSRC2:SCRATCH_EN: 0
; COMPUTE_PGM_RSRC2:USER_SGPR: 15
; COMPUTE_PGM_RSRC2:TRAP_HANDLER: 0
; COMPUTE_PGM_RSRC2:TGID_X_EN: 1
; COMPUTE_PGM_RSRC2:TGID_Y_EN: 0
; COMPUTE_PGM_RSRC2:TGID_Z_EN: 0
; COMPUTE_PGM_RSRC2:TIDIG_COMP_CNT: 0
	.section	.text._ZN5aiter20topk_softplus_kernelIffDv1_fLb0ELi1EEEvPKT_PKT0_PfPimiiif,"axG",@progbits,_ZN5aiter20topk_softplus_kernelIffDv1_fLb0ELi1EEEvPKT_PKT0_PfPimiiif,comdat
	.protected	_ZN5aiter20topk_softplus_kernelIffDv1_fLb0ELi1EEEvPKT_PKT0_PfPimiiif ; -- Begin function _ZN5aiter20topk_softplus_kernelIffDv1_fLb0ELi1EEEvPKT_PKT0_PfPimiiif
	.globl	_ZN5aiter20topk_softplus_kernelIffDv1_fLb0ELi1EEEvPKT_PKT0_PfPimiiif
	.p2align	8
	.type	_ZN5aiter20topk_softplus_kernelIffDv1_fLb0ELi1EEEvPKT_PKT0_PfPimiiif,@function
_ZN5aiter20topk_softplus_kernelIffDv1_fLb0ELi1EEEvPKT_PKT0_PfPimiiif: ; @_ZN5aiter20topk_softplus_kernelIffDv1_fLb0ELi1EEEvPKT_PKT0_PfPimiiif
; %bb.0:
	s_clause 0x1
	s_load_b64 s[12:13], s[0:1], 0x28
	s_load_b256 s[4:11], s[0:1], 0x0
	v_lshl_add_u32 v4, v0, 2, 0
	s_waitcnt lgkmcnt(0)
	s_mul_i32 s16, s15, s12
	v_cmp_gt_i32_e64 s2, s12, v0
	s_ashr_i32 s17, s16, 31
	s_delay_alu instid0(SALU_CYCLE_1) | instskip(NEXT) | instid1(SALU_CYCLE_1)
	s_lshl_b64 s[16:17], s[16:17], 2
	s_add_u32 s3, s4, s16
	s_addc_u32 s4, s5, s17
	s_and_saveexec_b32 s5, s2
	s_cbranch_execz .LBB14_5
; %bb.1:
	s_load_b32 s16, s[0:1], 0x44
	s_cmp_lg_u64 s[6:7], 0
	v_lshl_add_u32 v5, v0, 2, 0
	v_mov_b32_e32 v1, v0
	s_cselect_b32 s14, -1, 0
	s_mov_b32 s17, 0
	s_waitcnt lgkmcnt(0)
	s_and_b32 s16, s16, 0xffff
	s_delay_alu instid0(SALU_CYCLE_1)
	s_lshl_b32 s18, s16, 2
	s_set_inst_prefetch_distance 0x1
	s_branch .LBB14_3
	.p2align	6
.LBB14_2:                               ;   in Loop: Header=BB14_3 Depth=1
	v_add_nc_u32_e32 v1, s16, v1
	ds_store_b32 v5, v6
	v_add_nc_u32_e32 v5, s18, v5
	v_cmp_le_i32_e32 vcc_lo, s12, v1
	s_or_b32 s17, vcc_lo, s17
	s_delay_alu instid0(SALU_CYCLE_1)
	s_and_not1_b32 exec_lo, exec_lo, s17
	s_cbranch_execz .LBB14_5
.LBB14_3:                               ; =>This Inner Loop Header: Depth=1
	v_ashrrev_i32_e32 v2, 31, v1
	s_delay_alu instid0(VALU_DEP_1) | instskip(NEXT) | instid1(VALU_DEP_1)
	v_lshlrev_b64 v[2:3], 2, v[1:2]
	v_add_co_u32 v6, vcc_lo, s3, v2
	s_delay_alu instid0(VALU_DEP_2) | instskip(SKIP_3) | instid1(VALU_DEP_1)
	v_add_co_ci_u32_e32 v7, vcc_lo, s4, v3, vcc_lo
	global_load_b32 v6, v[6:7], off
	s_waitcnt vmcnt(0)
	v_mul_f32_e32 v7, 0xbfb8aa3b, v6
	v_cmp_gt_f32_e32 vcc_lo, 0xc2fc0000, v7
	v_cndmask_b32_e64 v7, 0, 0x42800000, vcc_lo
	s_delay_alu instid0(VALU_DEP_1) | instskip(NEXT) | instid1(VALU_DEP_1)
	v_fmac_f32_e32 v7, 0xbfb8aa3b, v6
	v_exp_f32_e32 v6, v7
	v_cndmask_b32_e64 v7, 1.0, 0x1f800000, vcc_lo
	s_and_not1_b32 vcc_lo, exec_lo, s14
	s_waitcnt_depctr 0xfff
	v_fma_f32 v6, v6, v7, 1.0
	s_delay_alu instid0(VALU_DEP_1)
	v_rcp_f32_e32 v6, v6
	s_cbranch_vccnz .LBB14_2
; %bb.4:                                ;   in Loop: Header=BB14_3 Depth=1
	v_add_co_u32 v2, vcc_lo, s6, v2
	v_add_co_ci_u32_e32 v3, vcc_lo, s7, v3, vcc_lo
	global_load_b32 v2, v[2:3], off
	s_waitcnt vmcnt(0)
	v_add_f32_e32 v6, v6, v2
	s_branch .LBB14_2
.LBB14_5:
	s_set_inst_prefetch_distance 0x2
	s_or_b32 exec_lo, exec_lo, s5
	v_add_nc_u32_e32 v1, s12, v0
	s_mov_b32 s5, exec_lo
	s_delay_alu instid0(VALU_DEP_1)
	v_cmpx_gt_i32_e64 s12, v1
	s_cbranch_execz .LBB14_10
; %bb.6:
	s_load_b32 s16, s[0:1], 0x44
	s_cmp_lg_u64 s[6:7], 0
	v_lshl_add_u32 v5, v1, 2, 0
	s_cselect_b32 s14, -1, 0
	s_mov_b32 s17, 0
	s_waitcnt lgkmcnt(0)
	s_and_b32 s16, s16, 0xffff
	s_delay_alu instid0(SALU_CYCLE_1)
	s_lshl_b32 s18, s16, 2
	s_set_inst_prefetch_distance 0x1
	s_branch .LBB14_8
	.p2align	6
.LBB14_7:                               ;   in Loop: Header=BB14_8 Depth=1
	v_add_nc_u32_e32 v1, s16, v1
	v_add_nc_u32_e32 v5, s18, v5
	s_delay_alu instid0(VALU_DEP_2) | instskip(SKIP_1) | instid1(SALU_CYCLE_1)
	v_cmp_le_i32_e32 vcc_lo, s12, v1
	s_or_b32 s17, vcc_lo, s17
	s_and_not1_b32 exec_lo, exec_lo, s17
	s_cbranch_execz .LBB14_10
.LBB14_8:                               ; =>This Inner Loop Header: Depth=1
	v_ashrrev_i32_e32 v2, 31, v1
	s_delay_alu instid0(VALU_DEP_1) | instskip(NEXT) | instid1(VALU_DEP_1)
	v_lshlrev_b64 v[2:3], 2, v[1:2]
	v_add_co_u32 v6, vcc_lo, s3, v2
	s_delay_alu instid0(VALU_DEP_2) | instskip(SKIP_3) | instid1(VALU_DEP_1)
	v_add_co_ci_u32_e32 v7, vcc_lo, s4, v3, vcc_lo
	global_load_b32 v6, v[6:7], off
	s_waitcnt vmcnt(0)
	v_mul_f32_e32 v7, 0xbfb8aa3b, v6
	v_cmp_gt_f32_e32 vcc_lo, 0xc2fc0000, v7
	v_cndmask_b32_e64 v7, 0, 0x42800000, vcc_lo
	s_delay_alu instid0(VALU_DEP_1) | instskip(NEXT) | instid1(VALU_DEP_1)
	v_fmac_f32_e32 v7, 0xbfb8aa3b, v6
	v_exp_f32_e32 v6, v7
	v_cndmask_b32_e64 v7, 1.0, 0x1f800000, vcc_lo
	s_and_not1_b32 vcc_lo, exec_lo, s14
	s_waitcnt_depctr 0xfff
	v_fma_f32 v6, v6, v7, 1.0
	s_delay_alu instid0(VALU_DEP_1)
	v_rcp_f32_e32 v6, v6
	ds_store_b32 v5, v6
	s_cbranch_vccnz .LBB14_7
; %bb.9:                                ;   in Loop: Header=BB14_8 Depth=1
	v_add_co_u32 v2, vcc_lo, s6, v2
	v_add_co_ci_u32_e32 v3, vcc_lo, s7, v3, vcc_lo
	global_load_b32 v2, v[2:3], off
	s_waitcnt vmcnt(0)
	v_add_f32_e32 v2, v6, v2
	ds_store_b32 v5, v2
	s_branch .LBB14_7
.LBB14_10:
	s_set_inst_prefetch_distance 0x2
	s_or_b32 exec_lo, exec_lo, s5
	s_cmp_lt_i32 s13, 1
	s_waitcnt lgkmcnt(0)
	s_barrier
	buffer_gl0_inv
	s_cbranch_scc1 .LBB14_19
; %bb.11:
	s_add_u32 s4, s0, 56
	s_addc_u32 s5, s1, 0
	v_dual_mov_b32 v2, 0 :: v_dual_mov_b32 v1, 0
	v_mov_b32_e32 v3, 0xff800000
	s_cmp_lg_u64 s[6:7], 0
	s_mov_b32 s14, 0
	s_cselect_b32 s3, -1, 0
	s_mov_b32 s18, 0x76543210
	s_branch .LBB14_13
.LBB14_12:                              ;   in Loop: Header=BB14_13 Depth=1
	v_cmp_eq_u32_e32 vcc_lo, s14, v0
	s_delay_alu instid0(VALU_DEP_2)
	s_lshl_b32 s17, s16, 2
	s_add_i32 s14, s14, 1
	s_add_i32 s17, s17, 0
	s_cmp_eq_u32 s14, s13
	v_cndmask_b32_e64 v1, v1, s16, vcc_lo
	v_dual_mov_b32 v5, s17 :: v_dual_cndmask_b32 v2, v2, v7
	ds_store_b32 v5, v3
	s_cbranch_scc1 .LBB14_20
.LBB14_13:                              ; =>This Loop Header: Depth=1
                                        ;     Child Loop BB14_15 Depth 2
	v_dual_mov_b32 v5, s14 :: v_dual_mov_b32 v6, 0xff800000
	s_and_saveexec_b32 s16, s2
	s_cbranch_execz .LBB14_17
; %bb.14:                               ;   in Loop: Header=BB14_13 Depth=1
	s_load_b32 s17, s[4:5], 0xc
	v_dual_mov_b32 v5, s14 :: v_dual_mov_b32 v6, 0xff800000
	v_mov_b32_e32 v7, v4
	v_mov_b32_e32 v8, v0
	s_mov_b32 s19, 0
	s_waitcnt lgkmcnt(0)
	s_and_b32 s17, s17, 0xffff
	s_delay_alu instid0(SALU_CYCLE_1)
	s_lshl_b32 s20, s17, 2
.LBB14_15:                              ;   Parent Loop BB14_13 Depth=1
                                        ; =>  This Inner Loop Header: Depth=2
	ds_load_b32 v9, v7
	v_add_nc_u32_e32 v7, s20, v7
	s_waitcnt lgkmcnt(0)
	v_cmp_gt_f32_e32 vcc_lo, v9, v6
	v_dual_cndmask_b32 v6, v6, v9 :: v_dual_cndmask_b32 v5, v5, v8
	v_add_nc_u32_e32 v8, s17, v8
	s_delay_alu instid0(VALU_DEP_1) | instskip(SKIP_1) | instid1(SALU_CYCLE_1)
	v_cmp_le_i32_e32 vcc_lo, s12, v8
	s_or_b32 s19, vcc_lo, s19
	s_and_not1_b32 exec_lo, exec_lo, s19
	s_cbranch_execnz .LBB14_15
; %bb.16:                               ;   in Loop: Header=BB14_13 Depth=1
	s_or_b32 exec_lo, exec_lo, s19
.LBB14_17:                              ;   in Loop: Header=BB14_13 Depth=1
	s_delay_alu instid0(SALU_CYCLE_1)
	s_or_b32 exec_lo, exec_lo, s16
	;;#ASMSTART
	v_max_f32 v7, v6, v6 quad_perm:[1,0,3,2] row_mask:0xf bank_mask:0xf bound_ctrl:1
	;;#ASMEND
	;;#ASMSTART
	v_max_f32 v8, v7, v7 quad_perm:[2,3,0,1] row_mask:0xf bank_mask:0xf bound_ctrl:1
	;;#ASMEND
	;;#ASMSTART
	v_max_f32 v7, v8, v8 row_half_mirror row_mask:0xf bank_mask:0xf bound_ctrl:1
	;;#ASMEND
	;;#ASMSTART
	v_max_f32 v8, v7, v7 row_mirror row_mask:0xf bank_mask:0xf bound_ctrl:1
	;;#ASMEND
	v_permlanex16_b32 v7, v8, s18, 0xfedcba98 op_sel:[1,1]
	s_delay_alu instid0(VALU_DEP_1) | instskip(NEXT) | instid1(VALU_DEP_1)
	v_dual_max_f32 v8, v8, v8 :: v_dual_max_f32 v7, v7, v7
	v_max_f32_e32 v7, v8, v7
	s_delay_alu instid0(VALU_DEP_1)
	v_cmp_eq_f32_e32 vcc_lo, v6, v7
	s_ctz_i32_b32 s16, vcc_lo
	s_cmp_lg_u32 vcc_lo, 0
	s_cselect_b32 s16, s16, 0
	s_and_b32 vcc_lo, exec_lo, s3
	v_readlane_b32 s16, v5, s16
	s_cbranch_vccz .LBB14_12
; %bb.18:                               ;   in Loop: Header=BB14_13 Depth=1
	s_delay_alu instid0(VALU_DEP_1) | instskip(NEXT) | instid1(SALU_CYCLE_1)
	s_ashr_i32 s17, s16, 31
	s_lshl_b64 s[20:21], s[16:17], 2
	s_delay_alu instid0(SALU_CYCLE_1)
	s_add_u32 s20, s6, s20
	s_addc_u32 s21, s7, s21
	s_load_b32 s17, s[20:21], 0x0
	s_waitcnt lgkmcnt(0)
	v_subrev_f32_e32 v7, s17, v7
	s_branch .LBB14_12
.LBB14_19:
	v_dual_mov_b32 v2, 0 :: v_dual_mov_b32 v1, 0
.LBB14_20:
	s_mov_b32 s2, exec_lo
	v_cmpx_gt_i32_e64 s13, v0
	s_cbranch_execz .LBB14_23
; %bb.21:
	s_clause 0x2
	s_load_b32 s4, s[0:1], 0x34
	s_load_b64 s[2:3], s[0:1], 0x20
	s_load_b32 s0, s[0:1], 0x44
	s_ashr_i32 s1, s15, 31
	s_waitcnt lgkmcnt(0)
	v_mul_f32_e32 v2, s4, v2
	s_mul_i32 s3, s15, s3
	s_mul_hi_u32 s4, s15, s2
	s_mul_i32 s5, s1, s2
	s_add_i32 s3, s4, s3
	s_mul_i32 s1, s15, s2
	s_and_b32 s2, s0, 0xffff
	s_add_i32 s3, s3, s5
	s_mov_b32 s4, 0
	.p2align	6
.LBB14_22:                              ; =>This Inner Loop Header: Depth=1
	v_ashrrev_i32_e32 v4, 31, v0
	v_add_co_u32 v3, vcc_lo, s1, v0
	v_add_nc_u32_e32 v0, s2, v0
	s_delay_alu instid0(VALU_DEP_3) | instskip(NEXT) | instid1(VALU_DEP_2)
	v_add_co_ci_u32_e32 v4, vcc_lo, s3, v4, vcc_lo
	v_cmp_le_i32_e32 vcc_lo, s13, v0
	s_delay_alu instid0(VALU_DEP_2) | instskip(SKIP_1) | instid1(VALU_DEP_1)
	v_lshlrev_b64 v[3:4], 2, v[3:4]
	s_or_b32 s4, vcc_lo, s4
	v_add_co_u32 v5, s0, s8, v3
	s_delay_alu instid0(VALU_DEP_1) | instskip(SKIP_1) | instid1(VALU_DEP_1)
	v_add_co_ci_u32_e64 v6, s0, s9, v4, s0
	v_add_co_u32 v3, s0, s10, v3
	v_add_co_ci_u32_e64 v4, s0, s11, v4, s0
	global_store_b32 v[5:6], v2, off
	global_store_b32 v[3:4], v1, off
	s_and_not1_b32 exec_lo, exec_lo, s4
	s_cbranch_execnz .LBB14_22
.LBB14_23:
	s_nop 0
	s_sendmsg sendmsg(MSG_DEALLOC_VGPRS)
	s_endpgm
	.section	.rodata,"a",@progbits
	.p2align	6, 0x0
	.amdhsa_kernel _ZN5aiter20topk_softplus_kernelIffDv1_fLb0ELi1EEEvPKT_PKT0_PfPimiiif
		.amdhsa_group_segment_fixed_size 0
		.amdhsa_private_segment_fixed_size 0
		.amdhsa_kernarg_size 312
		.amdhsa_user_sgpr_count 15
		.amdhsa_user_sgpr_dispatch_ptr 0
		.amdhsa_user_sgpr_queue_ptr 0
		.amdhsa_user_sgpr_kernarg_segment_ptr 1
		.amdhsa_user_sgpr_dispatch_id 0
		.amdhsa_user_sgpr_private_segment_size 0
		.amdhsa_wavefront_size32 1
		.amdhsa_uses_dynamic_stack 0
		.amdhsa_enable_private_segment 0
		.amdhsa_system_sgpr_workgroup_id_x 1
		.amdhsa_system_sgpr_workgroup_id_y 0
		.amdhsa_system_sgpr_workgroup_id_z 0
		.amdhsa_system_sgpr_workgroup_info 0
		.amdhsa_system_vgpr_workitem_id 0
		.amdhsa_next_free_vgpr 10
		.amdhsa_next_free_sgpr 22
		.amdhsa_reserve_vcc 1
		.amdhsa_float_round_mode_32 0
		.amdhsa_float_round_mode_16_64 0
		.amdhsa_float_denorm_mode_32 3
		.amdhsa_float_denorm_mode_16_64 3
		.amdhsa_dx10_clamp 1
		.amdhsa_ieee_mode 1
		.amdhsa_fp16_overflow 0
		.amdhsa_workgroup_processor_mode 1
		.amdhsa_memory_ordered 1
		.amdhsa_forward_progress 0
		.amdhsa_shared_vgpr_count 0
		.amdhsa_exception_fp_ieee_invalid_op 0
		.amdhsa_exception_fp_denorm_src 0
		.amdhsa_exception_fp_ieee_div_zero 0
		.amdhsa_exception_fp_ieee_overflow 0
		.amdhsa_exception_fp_ieee_underflow 0
		.amdhsa_exception_fp_ieee_inexact 0
		.amdhsa_exception_int_div_zero 0
	.end_amdhsa_kernel
	.section	.text._ZN5aiter20topk_softplus_kernelIffDv1_fLb0ELi1EEEvPKT_PKT0_PfPimiiif,"axG",@progbits,_ZN5aiter20topk_softplus_kernelIffDv1_fLb0ELi1EEEvPKT_PKT0_PfPimiiif,comdat
.Lfunc_end14:
	.size	_ZN5aiter20topk_softplus_kernelIffDv1_fLb0ELi1EEEvPKT_PKT0_PfPimiiif, .Lfunc_end14-_ZN5aiter20topk_softplus_kernelIffDv1_fLb0ELi1EEEvPKT_PKT0_PfPimiiif
                                        ; -- End function
	.section	.AMDGPU.csdata,"",@progbits
; Kernel info:
; codeLenInByte = 1292
; NumSgprs: 24
; NumVgprs: 10
; ScratchSize: 0
; MemoryBound: 0
; FloatMode: 240
; IeeeMode: 1
; LDSByteSize: 0 bytes/workgroup (compile time only)
; SGPRBlocks: 2
; VGPRBlocks: 1
; NumSGPRsForWavesPerEU: 24
; NumVGPRsForWavesPerEU: 10
; Occupancy: 16
; WaveLimiterHint : 0
; COMPUTE_PGM_RSRC2:SCRATCH_EN: 0
; COMPUTE_PGM_RSRC2:USER_SGPR: 15
; COMPUTE_PGM_RSRC2:TRAP_HANDLER: 0
; COMPUTE_PGM_RSRC2:TGID_X_EN: 1
; COMPUTE_PGM_RSRC2:TGID_Y_EN: 0
; COMPUTE_PGM_RSRC2:TGID_Z_EN: 0
; COMPUTE_PGM_RSRC2:TIDIG_COMP_CNT: 0
	.section	.text._ZN5aiter20topk_softplus_kernelIffDv4_fLb1ELi2EEEvPKT_PKT0_PfPimiiif,"axG",@progbits,_ZN5aiter20topk_softplus_kernelIffDv4_fLb1ELi2EEEvPKT_PKT0_PfPimiiif,comdat
	.protected	_ZN5aiter20topk_softplus_kernelIffDv4_fLb1ELi2EEEvPKT_PKT0_PfPimiiif ; -- Begin function _ZN5aiter20topk_softplus_kernelIffDv4_fLb1ELi2EEEvPKT_PKT0_PfPimiiif
	.globl	_ZN5aiter20topk_softplus_kernelIffDv4_fLb1ELi2EEEvPKT_PKT0_PfPimiiif
	.p2align	8
	.type	_ZN5aiter20topk_softplus_kernelIffDv4_fLb1ELi2EEEvPKT_PKT0_PfPimiiif,@function
_ZN5aiter20topk_softplus_kernelIffDv4_fLb1ELi2EEEvPKT_PKT0_PfPimiiif: ; @_ZN5aiter20topk_softplus_kernelIffDv4_fLb1ELi2EEEvPKT_PKT0_PfPimiiif
; %bb.0:
	s_clause 0x1
	s_load_b64 s[12:13], s[0:1], 0x28
	s_load_b256 s[4:11], s[0:1], 0x0
	s_waitcnt lgkmcnt(0)
	s_ashr_i32 s2, s12, 31
	s_mul_i32 s16, s15, s12
	s_lshr_b32 s2, s2, 30
	s_ashr_i32 s17, s16, 31
	s_add_i32 s2, s12, s2
	s_delay_alu instid0(SALU_CYCLE_1) | instskip(NEXT) | instid1(SALU_CYCLE_1)
	s_ashr_i32 s14, s2, 2
	v_cmp_gt_i32_e64 s2, s14, v0
	s_delay_alu instid0(VALU_DEP_1)
	s_and_saveexec_b32 s18, s2
	s_cbranch_execz .LBB15_3
; %bb.1:
	s_load_b32 s3, s[0:1], 0x44
	v_dual_mov_b32 v4, v0 :: v_dual_lshlrev_b32 v1, 4, v0
	s_lshl_b64 s[20:21], s[16:17], 2
	s_delay_alu instid0(VALU_DEP_1)
	v_add_nc_u32_e32 v3, 0, v1
	s_waitcnt lgkmcnt(0)
	s_and_b32 s19, s3, 0xffff
	s_add_u32 s3, s4, s20
	s_addc_u32 s20, s5, s21
	v_add_co_u32 v1, s3, s3, v1
	s_delay_alu instid0(VALU_DEP_1)
	v_add_co_ci_u32_e64 v2, null, s20, 0, s3
	s_mov_b32 s20, 0
	s_lshl_b32 s21, s19, 4
.LBB15_2:                               ; =>This Inner Loop Header: Depth=1
	global_load_b128 v[5:8], v[1:2], off
	v_add_nc_u32_e32 v4, s19, v4
	v_add_co_u32 v1, vcc_lo, v1, s21
	v_add_co_ci_u32_e32 v2, vcc_lo, 0, v2, vcc_lo
	s_delay_alu instid0(VALU_DEP_3) | instskip(NEXT) | instid1(VALU_DEP_1)
	v_cmp_le_i32_e64 s3, s14, v4
	s_or_b32 s20, s3, s20
	s_waitcnt vmcnt(0)
	ds_store_b128 v3, v[5:8]
	v_add_nc_u32_e32 v3, s21, v3
	s_and_not1_b32 exec_lo, exec_lo, s20
	s_cbranch_execnz .LBB15_2
.LBB15_3:
	s_or_b32 exec_lo, exec_lo, s18
	v_lshl_add_u32 v1, s14, 2, v0
	v_lshlrev_b32_e32 v3, 2, v0
	s_mov_b32 s3, exec_lo
	s_delay_alu instid0(VALU_DEP_2)
	v_cmpx_gt_i32_e64 s12, v1
	s_cbranch_execz .LBB15_6
; %bb.4:
	s_load_b32 s18, s[0:1], 0x44
	s_lshl_b64 s[16:17], s[16:17], 2
	v_lshlrev_b32_e32 v2, 2, v0
	s_add_u32 s4, s4, s16
	s_addc_u32 s5, s5, s17
	s_lshl_b32 s16, s14, 4
	s_mov_b32 s17, 0
	v_add3_u32 v4, 0, s16, v2
	s_waitcnt lgkmcnt(0)
	s_and_b32 s16, s18, 0xffff
	s_delay_alu instid0(SALU_CYCLE_1)
	s_lshl_b32 s18, s16, 2
.LBB15_5:                               ; =>This Inner Loop Header: Depth=1
	v_ashrrev_i32_e32 v2, 31, v1
	s_delay_alu instid0(VALU_DEP_1) | instskip(SKIP_1) | instid1(VALU_DEP_2)
	v_lshlrev_b64 v[5:6], 2, v[1:2]
	v_add_nc_u32_e32 v1, s16, v1
	v_add_co_u32 v5, vcc_lo, s4, v5
	s_delay_alu instid0(VALU_DEP_3) | instskip(NEXT) | instid1(VALU_DEP_3)
	v_add_co_ci_u32_e32 v6, vcc_lo, s5, v6, vcc_lo
	v_cmp_le_i32_e32 vcc_lo, s12, v1
	global_load_b32 v2, v[5:6], off
	s_or_b32 s17, vcc_lo, s17
	s_waitcnt vmcnt(0)
	ds_store_b32 v4, v2
	v_add_nc_u32_e32 v4, s18, v4
	s_and_not1_b32 exec_lo, exec_lo, s17
	s_cbranch_execnz .LBB15_5
.LBB15_6:
	s_or_b32 exec_lo, exec_lo, s3
	v_cmp_gt_i32_e32 vcc_lo, s12, v0
	v_mov_b32_e32 v2, 0xff800000
	s_waitcnt lgkmcnt(0)
	s_barrier
	buffer_gl0_inv
	s_and_saveexec_b32 s4, vcc_lo
	s_cbranch_execz .LBB15_10
; %bb.7:
	s_load_b32 s3, s[0:1], 0x44
	v_lshl_add_u32 v1, v0, 2, 0
	v_mov_b32_e32 v2, 0xff800000
	v_mov_b32_e32 v4, v0
	s_mov_b32 s5, 0
	s_waitcnt lgkmcnt(0)
	s_and_b32 s16, s3, 0xffff
	s_delay_alu instid0(SALU_CYCLE_1)
	s_lshl_b32 s17, s16, 2
.LBB15_8:                               ; =>This Inner Loop Header: Depth=1
	ds_load_b32 v5, v1
	v_add_nc_u32_e32 v4, s16, v4
	v_dual_max_f32 v2, v2, v2 :: v_dual_add_nc_u32 v1, s17, v1
	s_waitcnt lgkmcnt(0)
	v_max_f32_e32 v5, v5, v5
	s_delay_alu instid0(VALU_DEP_3) | instskip(NEXT) | instid1(VALU_DEP_2)
	v_cmp_le_i32_e64 s3, s12, v4
	v_max_f32_e32 v2, v2, v5
	s_delay_alu instid0(VALU_DEP_2) | instskip(NEXT) | instid1(SALU_CYCLE_1)
	s_or_b32 s5, s3, s5
	s_and_not1_b32 exec_lo, exec_lo, s5
	s_cbranch_execnz .LBB15_8
; %bb.9:
	s_or_b32 exec_lo, exec_lo, s5
.LBB15_10:
	s_delay_alu instid0(SALU_CYCLE_1)
	s_or_b32 exec_lo, exec_lo, s4
	v_mov_b32_e32 v1, 0
	;;#ASMSTART
	v_max_f32 v4, v2, v2 quad_perm:[1,0,3,2] row_mask:0xf bank_mask:0xf bound_ctrl:1
	;;#ASMEND
	;;#ASMSTART
	v_max_f32 v2, v4, v4 quad_perm:[2,3,0,1] row_mask:0xf bank_mask:0xf bound_ctrl:1
	;;#ASMEND
	;;#ASMSTART
	v_max_f32 v4, v2, v2 row_half_mirror row_mask:0xf bank_mask:0xf bound_ctrl:1
	;;#ASMEND
	;;#ASMSTART
	v_max_f32 v2, v4, v4 row_mirror row_mask:0xf bank_mask:0xf bound_ctrl:1
	;;#ASMEND
	s_and_saveexec_b32 s4, vcc_lo
	s_cbranch_execz .LBB15_14
; %bb.11:
	s_load_b32 s3, s[0:1], 0x44
	s_mov_b32 s5, 0x76543210
	v_lshl_add_u32 v4, v0, 2, 0
	v_permlanex16_b32 v1, v2, s5, 0xfedcba98 op_sel:[1,1]
	v_mov_b32_e32 v5, v0
	s_mov_b32 s5, 0
	s_delay_alu instid0(VALU_DEP_2) | instskip(NEXT) | instid1(VALU_DEP_1)
	v_dual_max_f32 v2, v2, v2 :: v_dual_max_f32 v1, v1, v1
	v_dual_max_f32 v2, v2, v1 :: v_dual_mov_b32 v1, 0
	s_waitcnt lgkmcnt(0)
	s_and_b32 s16, s3, 0xffff
	s_delay_alu instid0(SALU_CYCLE_1)
	s_lshl_b32 s17, s16, 2
	.p2align	6
.LBB15_12:                              ; =>This Inner Loop Header: Depth=1
	ds_load_b32 v6, v4
	s_waitcnt lgkmcnt(0)
	v_dual_sub_f32 v6, v6, v2 :: v_dual_add_nc_u32 v5, s16, v5
	s_delay_alu instid0(VALU_DEP_1) | instskip(NEXT) | instid1(VALU_DEP_1)
	v_mul_f32_e32 v7, 0x3fb8aa3b, v6
	v_cmp_gt_f32_e64 s3, 0xc2fc0000, v7
	s_delay_alu instid0(VALU_DEP_1) | instskip(NEXT) | instid1(VALU_DEP_1)
	v_cndmask_b32_e64 v7, 0, 0x42800000, s3
	v_fmac_f32_e32 v7, 0x3fb8aa3b, v6
	s_delay_alu instid0(VALU_DEP_1) | instskip(SKIP_2) | instid1(VALU_DEP_1)
	v_exp_f32_e32 v6, v7
	v_cndmask_b32_e64 v7, 1.0, 0x1f800000, s3
	v_cmp_le_i32_e64 s3, s12, v5
	s_or_b32 s5, s3, s5
	s_waitcnt_depctr 0xfff
	v_mul_f32_e32 v8, v6, v7
	v_fmac_f32_e32 v1, v6, v7
	ds_store_b32 v4, v8
	v_add_nc_u32_e32 v4, s17, v4
	s_and_not1_b32 exec_lo, exec_lo, s5
	s_cbranch_execnz .LBB15_12
; %bb.13:
	s_or_b32 exec_lo, exec_lo, s5
.LBB15_14:
	s_delay_alu instid0(SALU_CYCLE_1) | instskip(SKIP_1) | instid1(VALU_DEP_1)
	s_or_b32 exec_lo, exec_lo, s4
	v_mov_b32_dpp v2, v1 quad_perm:[1,0,3,2] row_mask:0xf bank_mask:0xf
	v_add_f32_e32 v1, v1, v2
	s_delay_alu instid0(VALU_DEP_1) | instskip(NEXT) | instid1(VALU_DEP_1)
	v_mov_b32_dpp v2, v1 quad_perm:[2,3,0,1] row_mask:0xf bank_mask:0xf
	v_add_f32_e32 v1, v1, v2
	s_delay_alu instid0(VALU_DEP_1) | instskip(NEXT) | instid1(VALU_DEP_1)
	v_mov_b32_dpp v2, v1 row_xmask:7 row_mask:0xf bank_mask:0xf
	v_add_f32_e32 v1, v1, v2
	s_delay_alu instid0(VALU_DEP_1)
	v_mov_b32_dpp v2, v1 row_xmask:15 row_mask:0xf bank_mask:0xf
	s_and_saveexec_b32 s3, vcc_lo
	s_cbranch_execz .LBB15_19
; %bb.15:
	s_delay_alu instid0(VALU_DEP_1)
	v_add_f32_e32 v1, v1, v2
	s_load_b32 s5, s[0:1], 0x44
	s_mov_b32 s4, 0x76543210
	s_cmp_lg_u64 s[6:7], 0
	v_lshl_add_u32 v5, v0, 2, 0
	v_permlanex16_b32 v2, v1, s4, 0xfedcba98 op_sel:[1,1]
	s_cselect_b32 s4, -1, 0
	s_mov_b32 s16, 0
	s_delay_alu instid0(VALU_DEP_1) | instskip(NEXT) | instid1(VALU_DEP_1)
	v_add_f32_e32 v1, v1, v2
	v_rcp_f32_e32 v4, v1
	v_mov_b32_e32 v1, v0
	s_waitcnt lgkmcnt(0)
	s_and_b32 s5, s5, 0xffff
	s_delay_alu instid0(SALU_CYCLE_1)
	s_lshl_b32 s17, s5, 2
	s_set_inst_prefetch_distance 0x1
	s_branch .LBB15_17
	.p2align	6
.LBB15_16:                              ;   in Loop: Header=BB15_17 Depth=1
	v_add_nc_u32_e32 v1, s5, v1
	v_add_nc_u32_e32 v5, s17, v5
	s_delay_alu instid0(VALU_DEP_2) | instskip(SKIP_1) | instid1(SALU_CYCLE_1)
	v_cmp_le_i32_e32 vcc_lo, s12, v1
	s_or_b32 s16, vcc_lo, s16
	s_and_not1_b32 exec_lo, exec_lo, s16
	s_cbranch_execz .LBB15_19
.LBB15_17:                              ; =>This Inner Loop Header: Depth=1
	ds_load_b32 v2, v5
	s_and_not1_b32 vcc_lo, exec_lo, s4
	s_waitcnt lgkmcnt(0)
	v_mul_f32_e32 v6, v4, v2
	ds_store_b32 v5, v6
	s_cbranch_vccnz .LBB15_16
; %bb.18:                               ;   in Loop: Header=BB15_17 Depth=1
	v_ashrrev_i32_e32 v2, 31, v1
	s_delay_alu instid0(VALU_DEP_1) | instskip(NEXT) | instid1(VALU_DEP_1)
	v_lshlrev_b64 v[7:8], 2, v[1:2]
	v_add_co_u32 v7, vcc_lo, s6, v7
	s_delay_alu instid0(VALU_DEP_2)
	v_add_co_ci_u32_e32 v8, vcc_lo, s7, v8, vcc_lo
	global_load_b32 v2, v[7:8], off
	s_waitcnt vmcnt(0)
	v_add_f32_e32 v2, v6, v2
	ds_store_b32 v5, v2
	s_branch .LBB15_16
.LBB15_19:
	s_set_inst_prefetch_distance 0x2
	s_or_b32 exec_lo, exec_lo, s3
	v_mov_b32_e32 v2, 0
	s_cmp_lt_i32 s13, 1
	s_waitcnt lgkmcnt(0)
	s_barrier
	buffer_gl0_inv
	s_cbranch_scc1 .LBB15_28
; %bb.20:
	s_add_u32 s4, s0, 56
	s_addc_u32 s5, s1, 0
	v_lshl_add_u32 v5, v0, 4, 0
	v_dual_mov_b32 v2, 0 :: v_dual_mov_b32 v1, 0
	v_mov_b32_e32 v6, 0xff800000
	v_mov_b32_e32 v4, 0
	s_cmp_lg_u64 s[6:7], 0
	s_mov_b32 s18, 0
	s_cselect_b32 s12, -1, 0
	s_mov_b32 s19, 0x76543210
	s_branch .LBB15_22
.LBB15_21:                              ;   in Loop: Header=BB15_22 Depth=1
	v_cmp_eq_u32_e32 vcc_lo, s18, v0
	s_delay_alu instid0(VALU_DEP_2) | instskip(NEXT) | instid1(VALU_DEP_2)
	s_lshl_b32 s3, s16, 2
	v_add_f32_e32 v4, v4, v9
	s_add_i32 s3, s3, 0
	s_add_i32 s18, s18, 1
	v_cndmask_b32_e64 v1, v1, s16, vcc_lo
	v_dual_mov_b32 v7, s3 :: v_dual_cndmask_b32 v2, v2, v9
	s_cmp_eq_u32 s18, s13
	ds_store_b32 v7, v6
	s_cbranch_scc1 .LBB15_29
.LBB15_22:                              ; =>This Loop Header: Depth=1
                                        ;     Child Loop BB15_24 Depth 2
	v_dual_mov_b32 v7, s18 :: v_dual_mov_b32 v8, 0xff800000
	s_and_saveexec_b32 s16, s2
	s_cbranch_execz .LBB15_26
; %bb.23:                               ;   in Loop: Header=BB15_22 Depth=1
	s_load_b32 s3, s[4:5], 0xc
	v_dual_mov_b32 v7, s18 :: v_dual_mov_b32 v8, 0xff800000
	v_dual_mov_b32 v9, v5 :: v_dual_mov_b32 v10, v3
	v_mov_b32_e32 v11, v0
	s_mov_b32 s21, 0
	s_waitcnt lgkmcnt(0)
	s_and_b32 s17, s3, 0xffff
	s_delay_alu instid0(SALU_CYCLE_1)
	s_lshl_b32 s20, s17, 2
	s_lshl_b32 s22, s17, 4
	.p2align	6
.LBB15_24:                              ;   Parent Loop BB15_22 Depth=1
                                        ; =>  This Inner Loop Header: Depth=2
	ds_load_b128 v[12:15], v9
	v_add_nc_u32_e32 v11, s17, v11
	s_delay_alu instid0(VALU_DEP_1) | instskip(NEXT) | instid1(VALU_DEP_1)
	v_cmp_le_i32_e64 s3, s14, v11
	s_or_b32 s21, s3, s21
	s_waitcnt lgkmcnt(0)
	v_cmp_gt_f32_e32 vcc_lo, v12, v8
	v_dual_cndmask_b32 v8, v8, v12 :: v_dual_cndmask_b32 v7, v7, v10
	s_delay_alu instid0(VALU_DEP_1) | instskip(SKIP_2) | instid1(VALU_DEP_1)
	v_cmp_gt_f32_e32 vcc_lo, v13, v8
	v_dual_cndmask_b32 v8, v8, v13 :: v_dual_add_nc_u32 v13, 2, v10
	v_add_nc_u32_e32 v12, 1, v10
	v_cndmask_b32_e32 v7, v7, v12, vcc_lo
	s_delay_alu instid0(VALU_DEP_3) | instskip(SKIP_1) | instid1(VALU_DEP_3)
	v_cmp_gt_f32_e32 vcc_lo, v14, v8
	v_add_nc_u32_e32 v12, 3, v10
	v_dual_cndmask_b32 v8, v8, v14 :: v_dual_cndmask_b32 v7, v7, v13
	s_delay_alu instid0(VALU_DEP_1) | instskip(SKIP_1) | instid1(VALU_DEP_3)
	v_cmp_gt_f32_e32 vcc_lo, v15, v8
	v_add_nc_u32_e32 v9, s22, v9
	v_dual_cndmask_b32 v7, v7, v12 :: v_dual_add_nc_u32 v10, s20, v10
	v_cndmask_b32_e32 v8, v8, v15, vcc_lo
	s_and_not1_b32 exec_lo, exec_lo, s21
	s_cbranch_execnz .LBB15_24
; %bb.25:                               ;   in Loop: Header=BB15_22 Depth=1
	s_or_b32 exec_lo, exec_lo, s21
.LBB15_26:                              ;   in Loop: Header=BB15_22 Depth=1
	s_delay_alu instid0(SALU_CYCLE_1)
	s_or_b32 exec_lo, exec_lo, s16
	;;#ASMSTART
	v_max_f32 v9, v8, v8 quad_perm:[1,0,3,2] row_mask:0xf bank_mask:0xf bound_ctrl:1
	;;#ASMEND
	;;#ASMSTART
	v_max_f32 v10, v9, v9 quad_perm:[2,3,0,1] row_mask:0xf bank_mask:0xf bound_ctrl:1
	;;#ASMEND
	;;#ASMSTART
	v_max_f32 v9, v10, v10 row_half_mirror row_mask:0xf bank_mask:0xf bound_ctrl:1
	;;#ASMEND
	;;#ASMSTART
	v_max_f32 v10, v9, v9 row_mirror row_mask:0xf bank_mask:0xf bound_ctrl:1
	;;#ASMEND
	v_permlanex16_b32 v9, v10, s19, 0xfedcba98 op_sel:[1,1]
	s_delay_alu instid0(VALU_DEP_1) | instskip(NEXT) | instid1(VALU_DEP_1)
	v_dual_max_f32 v10, v10, v10 :: v_dual_max_f32 v9, v9, v9
	v_max_f32_e32 v9, v10, v9
	s_delay_alu instid0(VALU_DEP_1)
	v_cmp_eq_f32_e32 vcc_lo, v8, v9
	s_ctz_i32_b32 s3, vcc_lo
	s_cmp_lg_u32 vcc_lo, 0
	s_cselect_b32 s3, s3, 0
	s_and_b32 vcc_lo, exec_lo, s12
	v_readlane_b32 s16, v7, s3
	s_cbranch_vccz .LBB15_21
; %bb.27:                               ;   in Loop: Header=BB15_22 Depth=1
	s_delay_alu instid0(VALU_DEP_1) | instskip(NEXT) | instid1(SALU_CYCLE_1)
	s_ashr_i32 s17, s16, 31
	s_lshl_b64 s[20:21], s[16:17], 2
	s_delay_alu instid0(SALU_CYCLE_1)
	s_add_u32 s20, s6, s20
	s_addc_u32 s21, s7, s21
	s_load_b32 s3, s[20:21], 0x0
	s_waitcnt lgkmcnt(0)
	v_subrev_f32_e32 v9, s3, v9
	s_branch .LBB15_21
.LBB15_28:
	v_dual_mov_b32 v1, 0 :: v_dual_mov_b32 v4, 0
.LBB15_29:
	s_mov_b32 s2, exec_lo
	v_cmpx_gt_i32_e64 s13, v0
	s_cbranch_execz .LBB15_32
; %bb.30:
	s_clause 0x1
	s_load_b32 s2, s[0:1], 0x34
	s_load_b32 s3, s[0:1], 0x44
	v_max_f32_e32 v3, v4, v4
	s_load_b64 s[0:1], s[0:1], 0x20
	s_ashr_i32 s4, s15, 31
	s_delay_alu instid0(VALU_DEP_1) | instskip(SKIP_1) | instid1(VALU_DEP_1)
	v_max_f32_e32 v3, 0x1e3ce508, v3
	s_waitcnt lgkmcnt(0)
	v_div_scale_f32 v4, null, v3, v3, s2
	v_div_scale_f32 v7, vcc_lo, s2, v3, s2
	s_mul_i32 s1, s15, s1
	s_delay_alu instid0(VALU_DEP_2) | instskip(SKIP_4) | instid1(VALU_DEP_1)
	v_rcp_f32_e32 v5, v4
	s_mul_i32 s4, s4, s0
	s_and_b32 s3, s3, 0xffff
	s_waitcnt_depctr 0xfff
	v_fma_f32 v6, -v4, v5, 1.0
	v_fmac_f32_e32 v5, v6, v5
	s_delay_alu instid0(VALU_DEP_1) | instskip(NEXT) | instid1(VALU_DEP_1)
	v_mul_f32_e32 v6, v7, v5
	v_fma_f32 v8, -v4, v6, v7
	s_delay_alu instid0(VALU_DEP_1) | instskip(NEXT) | instid1(VALU_DEP_1)
	v_fmac_f32_e32 v6, v8, v5
	v_fma_f32 v4, -v4, v6, v7
	s_delay_alu instid0(VALU_DEP_1) | instskip(NEXT) | instid1(VALU_DEP_1)
	v_div_fmas_f32 v4, v4, v5, v6
	v_div_fixup_f32 v3, v4, v3, s2
	s_mul_hi_u32 s2, s15, s0
	s_delay_alu instid0(SALU_CYCLE_1) | instskip(SKIP_1) | instid1(VALU_DEP_1)
	s_add_i32 s1, s2, s1
	s_mul_i32 s2, s15, s0
	v_mul_f32_e32 v2, v2, v3
	s_add_i32 s1, s1, s4
	s_mov_b32 s4, 0
	.p2align	6
.LBB15_31:                              ; =>This Inner Loop Header: Depth=1
	v_ashrrev_i32_e32 v4, 31, v0
	v_add_co_u32 v3, vcc_lo, s2, v0
	v_add_nc_u32_e32 v0, s3, v0
	s_delay_alu instid0(VALU_DEP_3) | instskip(NEXT) | instid1(VALU_DEP_2)
	v_add_co_ci_u32_e32 v4, vcc_lo, s1, v4, vcc_lo
	v_cmp_le_i32_e32 vcc_lo, s13, v0
	s_delay_alu instid0(VALU_DEP_2) | instskip(SKIP_1) | instid1(VALU_DEP_1)
	v_lshlrev_b64 v[3:4], 2, v[3:4]
	s_or_b32 s4, vcc_lo, s4
	v_add_co_u32 v5, s0, s8, v3
	s_delay_alu instid0(VALU_DEP_1) | instskip(SKIP_1) | instid1(VALU_DEP_1)
	v_add_co_ci_u32_e64 v6, s0, s9, v4, s0
	v_add_co_u32 v3, s0, s10, v3
	v_add_co_ci_u32_e64 v4, s0, s11, v4, s0
	global_store_b32 v[5:6], v2, off
	global_store_b32 v[3:4], v1, off
	s_and_not1_b32 exec_lo, exec_lo, s4
	s_cbranch_execnz .LBB15_31
.LBB15_32:
	s_nop 0
	s_sendmsg sendmsg(MSG_DEALLOC_VGPRS)
	s_endpgm
	.section	.rodata,"a",@progbits
	.p2align	6, 0x0
	.amdhsa_kernel _ZN5aiter20topk_softplus_kernelIffDv4_fLb1ELi2EEEvPKT_PKT0_PfPimiiif
		.amdhsa_group_segment_fixed_size 0
		.amdhsa_private_segment_fixed_size 0
		.amdhsa_kernarg_size 312
		.amdhsa_user_sgpr_count 15
		.amdhsa_user_sgpr_dispatch_ptr 0
		.amdhsa_user_sgpr_queue_ptr 0
		.amdhsa_user_sgpr_kernarg_segment_ptr 1
		.amdhsa_user_sgpr_dispatch_id 0
		.amdhsa_user_sgpr_private_segment_size 0
		.amdhsa_wavefront_size32 1
		.amdhsa_uses_dynamic_stack 0
		.amdhsa_enable_private_segment 0
		.amdhsa_system_sgpr_workgroup_id_x 1
		.amdhsa_system_sgpr_workgroup_id_y 0
		.amdhsa_system_sgpr_workgroup_id_z 0
		.amdhsa_system_sgpr_workgroup_info 0
		.amdhsa_system_vgpr_workitem_id 0
		.amdhsa_next_free_vgpr 16
		.amdhsa_next_free_sgpr 23
		.amdhsa_reserve_vcc 1
		.amdhsa_float_round_mode_32 0
		.amdhsa_float_round_mode_16_64 0
		.amdhsa_float_denorm_mode_32 3
		.amdhsa_float_denorm_mode_16_64 3
		.amdhsa_dx10_clamp 1
		.amdhsa_ieee_mode 1
		.amdhsa_fp16_overflow 0
		.amdhsa_workgroup_processor_mode 1
		.amdhsa_memory_ordered 1
		.amdhsa_forward_progress 0
		.amdhsa_shared_vgpr_count 0
		.amdhsa_exception_fp_ieee_invalid_op 0
		.amdhsa_exception_fp_denorm_src 0
		.amdhsa_exception_fp_ieee_div_zero 0
		.amdhsa_exception_fp_ieee_overflow 0
		.amdhsa_exception_fp_ieee_underflow 0
		.amdhsa_exception_fp_ieee_inexact 0
		.amdhsa_exception_int_div_zero 0
	.end_amdhsa_kernel
	.section	.text._ZN5aiter20topk_softplus_kernelIffDv4_fLb1ELi2EEEvPKT_PKT0_PfPimiiif,"axG",@progbits,_ZN5aiter20topk_softplus_kernelIffDv4_fLb1ELi2EEEvPKT_PKT0_PfPimiiif,comdat
.Lfunc_end15:
	.size	_ZN5aiter20topk_softplus_kernelIffDv4_fLb1ELi2EEEvPKT_PKT0_PfPimiiif, .Lfunc_end15-_ZN5aiter20topk_softplus_kernelIffDv4_fLb1ELi2EEEvPKT_PKT0_PfPimiiif
                                        ; -- End function
	.section	.AMDGPU.csdata,"",@progbits
; Kernel info:
; codeLenInByte = 2032
; NumSgprs: 25
; NumVgprs: 16
; ScratchSize: 0
; MemoryBound: 0
; FloatMode: 240
; IeeeMode: 1
; LDSByteSize: 0 bytes/workgroup (compile time only)
; SGPRBlocks: 3
; VGPRBlocks: 1
; NumSGPRsForWavesPerEU: 25
; NumVGPRsForWavesPerEU: 16
; Occupancy: 16
; WaveLimiterHint : 0
; COMPUTE_PGM_RSRC2:SCRATCH_EN: 0
; COMPUTE_PGM_RSRC2:USER_SGPR: 15
; COMPUTE_PGM_RSRC2:TRAP_HANDLER: 0
; COMPUTE_PGM_RSRC2:TGID_X_EN: 1
; COMPUTE_PGM_RSRC2:TGID_Y_EN: 0
; COMPUTE_PGM_RSRC2:TGID_Z_EN: 0
; COMPUTE_PGM_RSRC2:TIDIG_COMP_CNT: 0
	.section	.text._ZN5aiter20topk_softplus_kernelIffDv4_fLb0ELi2EEEvPKT_PKT0_PfPimiiif,"axG",@progbits,_ZN5aiter20topk_softplus_kernelIffDv4_fLb0ELi2EEEvPKT_PKT0_PfPimiiif,comdat
	.protected	_ZN5aiter20topk_softplus_kernelIffDv4_fLb0ELi2EEEvPKT_PKT0_PfPimiiif ; -- Begin function _ZN5aiter20topk_softplus_kernelIffDv4_fLb0ELi2EEEvPKT_PKT0_PfPimiiif
	.globl	_ZN5aiter20topk_softplus_kernelIffDv4_fLb0ELi2EEEvPKT_PKT0_PfPimiiif
	.p2align	8
	.type	_ZN5aiter20topk_softplus_kernelIffDv4_fLb0ELi2EEEvPKT_PKT0_PfPimiiif,@function
_ZN5aiter20topk_softplus_kernelIffDv4_fLb0ELi2EEEvPKT_PKT0_PfPimiiif: ; @_ZN5aiter20topk_softplus_kernelIffDv4_fLb0ELi2EEEvPKT_PKT0_PfPimiiif
; %bb.0:
	s_clause 0x1
	s_load_b64 s[12:13], s[0:1], 0x28
	s_load_b256 s[4:11], s[0:1], 0x0
	s_waitcnt lgkmcnt(0)
	s_ashr_i32 s2, s12, 31
	s_mul_i32 s16, s15, s12
	s_lshr_b32 s2, s2, 30
	s_ashr_i32 s17, s16, 31
	s_add_i32 s2, s12, s2
	s_delay_alu instid0(SALU_CYCLE_1) | instskip(NEXT) | instid1(SALU_CYCLE_1)
	s_ashr_i32 s14, s2, 2
	v_cmp_gt_i32_e64 s2, s14, v0
	s_delay_alu instid0(VALU_DEP_1)
	s_and_saveexec_b32 s18, s2
	s_cbranch_execz .LBB16_3
; %bb.1:
	s_load_b32 s3, s[0:1], 0x44
	v_dual_mov_b32 v4, v0 :: v_dual_lshlrev_b32 v1, 4, v0
	s_lshl_b64 s[20:21], s[16:17], 2
	s_delay_alu instid0(VALU_DEP_1)
	v_add_nc_u32_e32 v3, 0, v1
	s_waitcnt lgkmcnt(0)
	s_and_b32 s19, s3, 0xffff
	s_add_u32 s3, s4, s20
	s_addc_u32 s20, s5, s21
	v_add_co_u32 v1, s3, s3, v1
	s_delay_alu instid0(VALU_DEP_1)
	v_add_co_ci_u32_e64 v2, null, s20, 0, s3
	s_mov_b32 s20, 0
	s_lshl_b32 s21, s19, 4
.LBB16_2:                               ; =>This Inner Loop Header: Depth=1
	global_load_b128 v[5:8], v[1:2], off
	v_add_nc_u32_e32 v4, s19, v4
	v_add_co_u32 v1, vcc_lo, v1, s21
	v_add_co_ci_u32_e32 v2, vcc_lo, 0, v2, vcc_lo
	s_delay_alu instid0(VALU_DEP_3) | instskip(NEXT) | instid1(VALU_DEP_1)
	v_cmp_le_i32_e64 s3, s14, v4
	s_or_b32 s20, s3, s20
	s_waitcnt vmcnt(0)
	ds_store_b128 v3, v[5:8]
	v_add_nc_u32_e32 v3, s21, v3
	s_and_not1_b32 exec_lo, exec_lo, s20
	s_cbranch_execnz .LBB16_2
.LBB16_3:
	s_or_b32 exec_lo, exec_lo, s18
	v_lshl_add_u32 v1, s14, 2, v0
	v_lshlrev_b32_e32 v3, 2, v0
	s_mov_b32 s3, exec_lo
	s_delay_alu instid0(VALU_DEP_2)
	v_cmpx_gt_i32_e64 s12, v1
	s_cbranch_execz .LBB16_6
; %bb.4:
	s_load_b32 s18, s[0:1], 0x44
	s_lshl_b64 s[16:17], s[16:17], 2
	v_lshlrev_b32_e32 v2, 2, v0
	s_add_u32 s4, s4, s16
	s_addc_u32 s5, s5, s17
	s_lshl_b32 s16, s14, 4
	s_mov_b32 s17, 0
	v_add3_u32 v4, 0, s16, v2
	s_waitcnt lgkmcnt(0)
	s_and_b32 s16, s18, 0xffff
	s_delay_alu instid0(SALU_CYCLE_1)
	s_lshl_b32 s18, s16, 2
.LBB16_5:                               ; =>This Inner Loop Header: Depth=1
	v_ashrrev_i32_e32 v2, 31, v1
	s_delay_alu instid0(VALU_DEP_1) | instskip(SKIP_1) | instid1(VALU_DEP_2)
	v_lshlrev_b64 v[5:6], 2, v[1:2]
	v_add_nc_u32_e32 v1, s16, v1
	v_add_co_u32 v5, vcc_lo, s4, v5
	s_delay_alu instid0(VALU_DEP_3) | instskip(NEXT) | instid1(VALU_DEP_3)
	v_add_co_ci_u32_e32 v6, vcc_lo, s5, v6, vcc_lo
	v_cmp_le_i32_e32 vcc_lo, s12, v1
	global_load_b32 v2, v[5:6], off
	s_or_b32 s17, vcc_lo, s17
	s_waitcnt vmcnt(0)
	ds_store_b32 v4, v2
	v_add_nc_u32_e32 v4, s18, v4
	s_and_not1_b32 exec_lo, exec_lo, s17
	s_cbranch_execnz .LBB16_5
.LBB16_6:
	s_or_b32 exec_lo, exec_lo, s3
	v_cmp_gt_i32_e32 vcc_lo, s12, v0
	v_mov_b32_e32 v2, 0xff800000
	s_waitcnt lgkmcnt(0)
	s_barrier
	buffer_gl0_inv
	s_and_saveexec_b32 s4, vcc_lo
	s_cbranch_execz .LBB16_10
; %bb.7:
	s_load_b32 s3, s[0:1], 0x44
	v_lshl_add_u32 v1, v0, 2, 0
	v_mov_b32_e32 v2, 0xff800000
	v_mov_b32_e32 v4, v0
	s_mov_b32 s5, 0
	s_waitcnt lgkmcnt(0)
	s_and_b32 s16, s3, 0xffff
	s_delay_alu instid0(SALU_CYCLE_1)
	s_lshl_b32 s17, s16, 2
.LBB16_8:                               ; =>This Inner Loop Header: Depth=1
	ds_load_b32 v5, v1
	v_add_nc_u32_e32 v4, s16, v4
	v_dual_max_f32 v2, v2, v2 :: v_dual_add_nc_u32 v1, s17, v1
	s_waitcnt lgkmcnt(0)
	v_max_f32_e32 v5, v5, v5
	s_delay_alu instid0(VALU_DEP_3) | instskip(NEXT) | instid1(VALU_DEP_2)
	v_cmp_le_i32_e64 s3, s12, v4
	v_max_f32_e32 v2, v2, v5
	s_delay_alu instid0(VALU_DEP_2) | instskip(NEXT) | instid1(SALU_CYCLE_1)
	s_or_b32 s5, s3, s5
	s_and_not1_b32 exec_lo, exec_lo, s5
	s_cbranch_execnz .LBB16_8
; %bb.9:
	s_or_b32 exec_lo, exec_lo, s5
.LBB16_10:
	s_delay_alu instid0(SALU_CYCLE_1)
	s_or_b32 exec_lo, exec_lo, s4
	v_mov_b32_e32 v1, 0
	;;#ASMSTART
	v_max_f32 v4, v2, v2 quad_perm:[1,0,3,2] row_mask:0xf bank_mask:0xf bound_ctrl:1
	;;#ASMEND
	;;#ASMSTART
	v_max_f32 v2, v4, v4 quad_perm:[2,3,0,1] row_mask:0xf bank_mask:0xf bound_ctrl:1
	;;#ASMEND
	;;#ASMSTART
	v_max_f32 v4, v2, v2 row_half_mirror row_mask:0xf bank_mask:0xf bound_ctrl:1
	;;#ASMEND
	;;#ASMSTART
	v_max_f32 v2, v4, v4 row_mirror row_mask:0xf bank_mask:0xf bound_ctrl:1
	;;#ASMEND
	s_and_saveexec_b32 s4, vcc_lo
	s_cbranch_execz .LBB16_14
; %bb.11:
	s_load_b32 s3, s[0:1], 0x44
	s_mov_b32 s5, 0x76543210
	v_lshl_add_u32 v4, v0, 2, 0
	v_permlanex16_b32 v1, v2, s5, 0xfedcba98 op_sel:[1,1]
	v_mov_b32_e32 v5, v0
	s_mov_b32 s5, 0
	s_delay_alu instid0(VALU_DEP_2) | instskip(NEXT) | instid1(VALU_DEP_1)
	v_dual_max_f32 v2, v2, v2 :: v_dual_max_f32 v1, v1, v1
	v_dual_max_f32 v2, v2, v1 :: v_dual_mov_b32 v1, 0
	s_waitcnt lgkmcnt(0)
	s_and_b32 s16, s3, 0xffff
	s_delay_alu instid0(SALU_CYCLE_1)
	s_lshl_b32 s17, s16, 2
	.p2align	6
.LBB16_12:                              ; =>This Inner Loop Header: Depth=1
	ds_load_b32 v6, v4
	s_waitcnt lgkmcnt(0)
	v_dual_sub_f32 v6, v6, v2 :: v_dual_add_nc_u32 v5, s16, v5
	s_delay_alu instid0(VALU_DEP_1) | instskip(NEXT) | instid1(VALU_DEP_1)
	v_mul_f32_e32 v7, 0x3fb8aa3b, v6
	v_cmp_gt_f32_e64 s3, 0xc2fc0000, v7
	s_delay_alu instid0(VALU_DEP_1) | instskip(NEXT) | instid1(VALU_DEP_1)
	v_cndmask_b32_e64 v7, 0, 0x42800000, s3
	v_fmac_f32_e32 v7, 0x3fb8aa3b, v6
	s_delay_alu instid0(VALU_DEP_1) | instskip(SKIP_2) | instid1(VALU_DEP_1)
	v_exp_f32_e32 v6, v7
	v_cndmask_b32_e64 v7, 1.0, 0x1f800000, s3
	v_cmp_le_i32_e64 s3, s12, v5
	s_or_b32 s5, s3, s5
	s_waitcnt_depctr 0xfff
	v_mul_f32_e32 v8, v6, v7
	v_fmac_f32_e32 v1, v6, v7
	ds_store_b32 v4, v8
	v_add_nc_u32_e32 v4, s17, v4
	s_and_not1_b32 exec_lo, exec_lo, s5
	s_cbranch_execnz .LBB16_12
; %bb.13:
	s_or_b32 exec_lo, exec_lo, s5
.LBB16_14:
	s_delay_alu instid0(SALU_CYCLE_1) | instskip(SKIP_1) | instid1(VALU_DEP_1)
	s_or_b32 exec_lo, exec_lo, s4
	v_mov_b32_dpp v2, v1 quad_perm:[1,0,3,2] row_mask:0xf bank_mask:0xf
	v_add_f32_e32 v1, v1, v2
	s_delay_alu instid0(VALU_DEP_1) | instskip(NEXT) | instid1(VALU_DEP_1)
	v_mov_b32_dpp v2, v1 quad_perm:[2,3,0,1] row_mask:0xf bank_mask:0xf
	v_add_f32_e32 v1, v1, v2
	s_delay_alu instid0(VALU_DEP_1) | instskip(NEXT) | instid1(VALU_DEP_1)
	v_mov_b32_dpp v2, v1 row_xmask:7 row_mask:0xf bank_mask:0xf
	v_add_f32_e32 v1, v1, v2
	s_delay_alu instid0(VALU_DEP_1)
	v_mov_b32_dpp v2, v1 row_xmask:15 row_mask:0xf bank_mask:0xf
	s_and_saveexec_b32 s3, vcc_lo
	s_cbranch_execz .LBB16_19
; %bb.15:
	s_delay_alu instid0(VALU_DEP_1)
	v_add_f32_e32 v1, v1, v2
	s_load_b32 s5, s[0:1], 0x44
	s_mov_b32 s4, 0x76543210
	s_cmp_lg_u64 s[6:7], 0
	v_lshl_add_u32 v5, v0, 2, 0
	v_permlanex16_b32 v2, v1, s4, 0xfedcba98 op_sel:[1,1]
	s_cselect_b32 s4, -1, 0
	s_mov_b32 s16, 0
	s_delay_alu instid0(VALU_DEP_1) | instskip(NEXT) | instid1(VALU_DEP_1)
	v_add_f32_e32 v1, v1, v2
	v_rcp_f32_e32 v4, v1
	v_mov_b32_e32 v1, v0
	s_waitcnt lgkmcnt(0)
	s_and_b32 s5, s5, 0xffff
	s_delay_alu instid0(SALU_CYCLE_1)
	s_lshl_b32 s17, s5, 2
	s_set_inst_prefetch_distance 0x1
	s_branch .LBB16_17
	.p2align	6
.LBB16_16:                              ;   in Loop: Header=BB16_17 Depth=1
	v_add_nc_u32_e32 v1, s5, v1
	v_add_nc_u32_e32 v5, s17, v5
	s_delay_alu instid0(VALU_DEP_2) | instskip(SKIP_1) | instid1(SALU_CYCLE_1)
	v_cmp_le_i32_e32 vcc_lo, s12, v1
	s_or_b32 s16, vcc_lo, s16
	s_and_not1_b32 exec_lo, exec_lo, s16
	s_cbranch_execz .LBB16_19
.LBB16_17:                              ; =>This Inner Loop Header: Depth=1
	ds_load_b32 v2, v5
	s_and_not1_b32 vcc_lo, exec_lo, s4
	s_waitcnt lgkmcnt(0)
	v_mul_f32_e32 v6, v4, v2
	ds_store_b32 v5, v6
	s_cbranch_vccnz .LBB16_16
; %bb.18:                               ;   in Loop: Header=BB16_17 Depth=1
	v_ashrrev_i32_e32 v2, 31, v1
	s_delay_alu instid0(VALU_DEP_1) | instskip(NEXT) | instid1(VALU_DEP_1)
	v_lshlrev_b64 v[7:8], 2, v[1:2]
	v_add_co_u32 v7, vcc_lo, s6, v7
	s_delay_alu instid0(VALU_DEP_2)
	v_add_co_ci_u32_e32 v8, vcc_lo, s7, v8, vcc_lo
	global_load_b32 v2, v[7:8], off
	s_waitcnt vmcnt(0)
	v_add_f32_e32 v2, v6, v2
	ds_store_b32 v5, v2
	s_branch .LBB16_16
.LBB16_19:
	s_set_inst_prefetch_distance 0x2
	s_or_b32 exec_lo, exec_lo, s3
	s_cmp_lt_i32 s13, 1
	s_waitcnt lgkmcnt(0)
	s_barrier
	buffer_gl0_inv
	s_cbranch_scc1 .LBB16_28
; %bb.20:
	s_add_u32 s4, s0, 56
	s_addc_u32 s5, s1, 0
	v_lshl_add_u32 v4, v0, 4, 0
	v_dual_mov_b32 v2, 0 :: v_dual_mov_b32 v1, 0
	v_mov_b32_e32 v5, 0xff800000
	s_cmp_lg_u64 s[6:7], 0
	s_mov_b32 s18, 0
	s_cselect_b32 s12, -1, 0
	s_mov_b32 s19, 0x76543210
	s_branch .LBB16_22
.LBB16_21:                              ;   in Loop: Header=BB16_22 Depth=1
	v_cmp_eq_u32_e32 vcc_lo, s18, v0
	s_delay_alu instid0(VALU_DEP_2)
	s_lshl_b32 s3, s16, 2
	s_add_i32 s18, s18, 1
	s_add_i32 s3, s3, 0
	s_cmp_eq_u32 s18, s13
	v_cndmask_b32_e64 v1, v1, s16, vcc_lo
	v_mov_b32_e32 v6, s3
	v_cndmask_b32_e32 v2, v2, v8, vcc_lo
	ds_store_b32 v6, v5
	s_cbranch_scc1 .LBB16_29
.LBB16_22:                              ; =>This Loop Header: Depth=1
                                        ;     Child Loop BB16_24 Depth 2
	v_dual_mov_b32 v6, s18 :: v_dual_mov_b32 v7, 0xff800000
	s_and_saveexec_b32 s16, s2
	s_cbranch_execz .LBB16_26
; %bb.23:                               ;   in Loop: Header=BB16_22 Depth=1
	s_load_b32 s3, s[4:5], 0xc
	v_dual_mov_b32 v6, s18 :: v_dual_mov_b32 v7, 0xff800000
	v_dual_mov_b32 v8, v4 :: v_dual_mov_b32 v9, v3
	v_mov_b32_e32 v10, v0
	s_mov_b32 s21, 0
	s_waitcnt lgkmcnt(0)
	s_and_b32 s17, s3, 0xffff
	s_delay_alu instid0(SALU_CYCLE_1)
	s_lshl_b32 s20, s17, 2
	s_lshl_b32 s22, s17, 4
	.p2align	6
.LBB16_24:                              ;   Parent Loop BB16_22 Depth=1
                                        ; =>  This Inner Loop Header: Depth=2
	ds_load_b128 v[11:14], v8
	v_add_nc_u32_e32 v10, s17, v10
	s_delay_alu instid0(VALU_DEP_1) | instskip(NEXT) | instid1(VALU_DEP_1)
	v_cmp_le_i32_e64 s3, s14, v10
	s_or_b32 s21, s3, s21
	s_waitcnt lgkmcnt(0)
	v_cmp_gt_f32_e32 vcc_lo, v11, v7
	v_dual_cndmask_b32 v7, v7, v11 :: v_dual_cndmask_b32 v6, v6, v9
	s_delay_alu instid0(VALU_DEP_1) | instskip(SKIP_2) | instid1(VALU_DEP_1)
	v_cmp_gt_f32_e32 vcc_lo, v12, v7
	v_dual_cndmask_b32 v7, v7, v12 :: v_dual_add_nc_u32 v12, 2, v9
	v_add_nc_u32_e32 v11, 1, v9
	v_cndmask_b32_e32 v6, v6, v11, vcc_lo
	s_delay_alu instid0(VALU_DEP_3) | instskip(SKIP_1) | instid1(VALU_DEP_3)
	v_cmp_gt_f32_e32 vcc_lo, v13, v7
	v_add_nc_u32_e32 v11, 3, v9
	v_dual_cndmask_b32 v7, v7, v13 :: v_dual_cndmask_b32 v6, v6, v12
	s_delay_alu instid0(VALU_DEP_1) | instskip(SKIP_1) | instid1(VALU_DEP_3)
	v_cmp_gt_f32_e32 vcc_lo, v14, v7
	v_add_nc_u32_e32 v8, s22, v8
	v_dual_cndmask_b32 v6, v6, v11 :: v_dual_add_nc_u32 v9, s20, v9
	v_cndmask_b32_e32 v7, v7, v14, vcc_lo
	s_and_not1_b32 exec_lo, exec_lo, s21
	s_cbranch_execnz .LBB16_24
; %bb.25:                               ;   in Loop: Header=BB16_22 Depth=1
	s_or_b32 exec_lo, exec_lo, s21
.LBB16_26:                              ;   in Loop: Header=BB16_22 Depth=1
	s_delay_alu instid0(SALU_CYCLE_1)
	s_or_b32 exec_lo, exec_lo, s16
	;;#ASMSTART
	v_max_f32 v8, v7, v7 quad_perm:[1,0,3,2] row_mask:0xf bank_mask:0xf bound_ctrl:1
	;;#ASMEND
	;;#ASMSTART
	v_max_f32 v9, v8, v8 quad_perm:[2,3,0,1] row_mask:0xf bank_mask:0xf bound_ctrl:1
	;;#ASMEND
	;;#ASMSTART
	v_max_f32 v8, v9, v9 row_half_mirror row_mask:0xf bank_mask:0xf bound_ctrl:1
	;;#ASMEND
	;;#ASMSTART
	v_max_f32 v9, v8, v8 row_mirror row_mask:0xf bank_mask:0xf bound_ctrl:1
	;;#ASMEND
	v_permlanex16_b32 v8, v9, s19, 0xfedcba98 op_sel:[1,1]
	s_delay_alu instid0(VALU_DEP_1) | instskip(NEXT) | instid1(VALU_DEP_1)
	v_dual_max_f32 v9, v9, v9 :: v_dual_max_f32 v8, v8, v8
	v_max_f32_e32 v8, v9, v8
	s_delay_alu instid0(VALU_DEP_1)
	v_cmp_eq_f32_e32 vcc_lo, v7, v8
	s_ctz_i32_b32 s3, vcc_lo
	s_cmp_lg_u32 vcc_lo, 0
	s_cselect_b32 s3, s3, 0
	s_and_b32 vcc_lo, exec_lo, s12
	v_readlane_b32 s16, v6, s3
	s_cbranch_vccz .LBB16_21
; %bb.27:                               ;   in Loop: Header=BB16_22 Depth=1
	s_delay_alu instid0(VALU_DEP_1) | instskip(NEXT) | instid1(SALU_CYCLE_1)
	s_ashr_i32 s17, s16, 31
	s_lshl_b64 s[20:21], s[16:17], 2
	s_delay_alu instid0(SALU_CYCLE_1)
	s_add_u32 s20, s6, s20
	s_addc_u32 s21, s7, s21
	s_load_b32 s3, s[20:21], 0x0
	s_waitcnt lgkmcnt(0)
	v_subrev_f32_e32 v8, s3, v8
	s_branch .LBB16_21
.LBB16_28:
	v_dual_mov_b32 v2, 0 :: v_dual_mov_b32 v1, 0
.LBB16_29:
	s_mov_b32 s2, exec_lo
	v_cmpx_gt_i32_e64 s13, v0
	s_cbranch_execz .LBB16_32
; %bb.30:
	s_clause 0x2
	s_load_b32 s4, s[0:1], 0x34
	s_load_b64 s[2:3], s[0:1], 0x20
	s_load_b32 s0, s[0:1], 0x44
	s_ashr_i32 s1, s15, 31
	s_waitcnt lgkmcnt(0)
	v_mul_f32_e32 v2, s4, v2
	s_mul_i32 s3, s15, s3
	s_mul_hi_u32 s4, s15, s2
	s_mul_i32 s5, s1, s2
	s_add_i32 s3, s4, s3
	s_mul_i32 s1, s15, s2
	s_and_b32 s2, s0, 0xffff
	s_add_i32 s3, s3, s5
	s_mov_b32 s4, 0
	.p2align	6
.LBB16_31:                              ; =>This Inner Loop Header: Depth=1
	v_ashrrev_i32_e32 v4, 31, v0
	v_add_co_u32 v3, vcc_lo, s1, v0
	v_add_nc_u32_e32 v0, s2, v0
	s_delay_alu instid0(VALU_DEP_3) | instskip(NEXT) | instid1(VALU_DEP_2)
	v_add_co_ci_u32_e32 v4, vcc_lo, s3, v4, vcc_lo
	v_cmp_le_i32_e32 vcc_lo, s13, v0
	s_delay_alu instid0(VALU_DEP_2) | instskip(SKIP_1) | instid1(VALU_DEP_1)
	v_lshlrev_b64 v[3:4], 2, v[3:4]
	s_or_b32 s4, vcc_lo, s4
	v_add_co_u32 v5, s0, s8, v3
	s_delay_alu instid0(VALU_DEP_1) | instskip(SKIP_1) | instid1(VALU_DEP_1)
	v_add_co_ci_u32_e64 v6, s0, s9, v4, s0
	v_add_co_u32 v3, s0, s10, v3
	v_add_co_ci_u32_e64 v4, s0, s11, v4, s0
	global_store_b32 v[5:6], v2, off
	global_store_b32 v[3:4], v1, off
	s_and_not1_b32 exec_lo, exec_lo, s4
	s_cbranch_execnz .LBB16_31
.LBB16_32:
	s_nop 0
	s_sendmsg sendmsg(MSG_DEALLOC_VGPRS)
	s_endpgm
	.section	.rodata,"a",@progbits
	.p2align	6, 0x0
	.amdhsa_kernel _ZN5aiter20topk_softplus_kernelIffDv4_fLb0ELi2EEEvPKT_PKT0_PfPimiiif
		.amdhsa_group_segment_fixed_size 0
		.amdhsa_private_segment_fixed_size 0
		.amdhsa_kernarg_size 312
		.amdhsa_user_sgpr_count 15
		.amdhsa_user_sgpr_dispatch_ptr 0
		.amdhsa_user_sgpr_queue_ptr 0
		.amdhsa_user_sgpr_kernarg_segment_ptr 1
		.amdhsa_user_sgpr_dispatch_id 0
		.amdhsa_user_sgpr_private_segment_size 0
		.amdhsa_wavefront_size32 1
		.amdhsa_uses_dynamic_stack 0
		.amdhsa_enable_private_segment 0
		.amdhsa_system_sgpr_workgroup_id_x 1
		.amdhsa_system_sgpr_workgroup_id_y 0
		.amdhsa_system_sgpr_workgroup_id_z 0
		.amdhsa_system_sgpr_workgroup_info 0
		.amdhsa_system_vgpr_workitem_id 0
		.amdhsa_next_free_vgpr 15
		.amdhsa_next_free_sgpr 23
		.amdhsa_reserve_vcc 1
		.amdhsa_float_round_mode_32 0
		.amdhsa_float_round_mode_16_64 0
		.amdhsa_float_denorm_mode_32 3
		.amdhsa_float_denorm_mode_16_64 3
		.amdhsa_dx10_clamp 1
		.amdhsa_ieee_mode 1
		.amdhsa_fp16_overflow 0
		.amdhsa_workgroup_processor_mode 1
		.amdhsa_memory_ordered 1
		.amdhsa_forward_progress 0
		.amdhsa_shared_vgpr_count 0
		.amdhsa_exception_fp_ieee_invalid_op 0
		.amdhsa_exception_fp_denorm_src 0
		.amdhsa_exception_fp_ieee_div_zero 0
		.amdhsa_exception_fp_ieee_overflow 0
		.amdhsa_exception_fp_ieee_underflow 0
		.amdhsa_exception_fp_ieee_inexact 0
		.amdhsa_exception_int_div_zero 0
	.end_amdhsa_kernel
	.section	.text._ZN5aiter20topk_softplus_kernelIffDv4_fLb0ELi2EEEvPKT_PKT0_PfPimiiif,"axG",@progbits,_ZN5aiter20topk_softplus_kernelIffDv4_fLb0ELi2EEEvPKT_PKT0_PfPimiiif,comdat
.Lfunc_end16:
	.size	_ZN5aiter20topk_softplus_kernelIffDv4_fLb0ELi2EEEvPKT_PKT0_PfPimiiif, .Lfunc_end16-_ZN5aiter20topk_softplus_kernelIffDv4_fLb0ELi2EEEvPKT_PKT0_PfPimiiif
                                        ; -- End function
	.section	.AMDGPU.csdata,"",@progbits
; Kernel info:
; codeLenInByte = 1908
; NumSgprs: 25
; NumVgprs: 15
; ScratchSize: 0
; MemoryBound: 0
; FloatMode: 240
; IeeeMode: 1
; LDSByteSize: 0 bytes/workgroup (compile time only)
; SGPRBlocks: 3
; VGPRBlocks: 1
; NumSGPRsForWavesPerEU: 25
; NumVGPRsForWavesPerEU: 15
; Occupancy: 16
; WaveLimiterHint : 0
; COMPUTE_PGM_RSRC2:SCRATCH_EN: 0
; COMPUTE_PGM_RSRC2:USER_SGPR: 15
; COMPUTE_PGM_RSRC2:TRAP_HANDLER: 0
; COMPUTE_PGM_RSRC2:TGID_X_EN: 1
; COMPUTE_PGM_RSRC2:TGID_Y_EN: 0
; COMPUTE_PGM_RSRC2:TGID_Z_EN: 0
; COMPUTE_PGM_RSRC2:TIDIG_COMP_CNT: 0
	.section	.text._ZN5aiter20topk_softplus_kernelIffDv2_fLb1ELi2EEEvPKT_PKT0_PfPimiiif,"axG",@progbits,_ZN5aiter20topk_softplus_kernelIffDv2_fLb1ELi2EEEvPKT_PKT0_PfPimiiif,comdat
	.protected	_ZN5aiter20topk_softplus_kernelIffDv2_fLb1ELi2EEEvPKT_PKT0_PfPimiiif ; -- Begin function _ZN5aiter20topk_softplus_kernelIffDv2_fLb1ELi2EEEvPKT_PKT0_PfPimiiif
	.globl	_ZN5aiter20topk_softplus_kernelIffDv2_fLb1ELi2EEEvPKT_PKT0_PfPimiiif
	.p2align	8
	.type	_ZN5aiter20topk_softplus_kernelIffDv2_fLb1ELi2EEEvPKT_PKT0_PfPimiiif,@function
_ZN5aiter20topk_softplus_kernelIffDv2_fLb1ELi2EEEvPKT_PKT0_PfPimiiif: ; @_ZN5aiter20topk_softplus_kernelIffDv2_fLb1ELi2EEEvPKT_PKT0_PfPimiiif
; %bb.0:
	s_clause 0x1
	s_load_b64 s[12:13], s[0:1], 0x28
	s_load_b256 s[4:11], s[0:1], 0x0
	s_waitcnt lgkmcnt(0)
	s_lshr_b32 s2, s12, 31
	s_mul_i32 s16, s15, s12
	s_add_i32 s2, s12, s2
	s_ashr_i32 s17, s16, 31
	s_ashr_i32 s14, s2, 1
	s_delay_alu instid0(SALU_CYCLE_1) | instskip(NEXT) | instid1(VALU_DEP_1)
	v_cmp_gt_i32_e64 s2, s14, v0
	s_and_saveexec_b32 s18, s2
	s_cbranch_execz .LBB17_3
; %bb.1:
	s_load_b32 s3, s[0:1], 0x44
	v_dual_mov_b32 v4, v0 :: v_dual_lshlrev_b32 v1, 3, v0
	s_lshl_b64 s[20:21], s[16:17], 2
	s_delay_alu instid0(VALU_DEP_1)
	v_add_nc_u32_e32 v3, 0, v1
	s_waitcnt lgkmcnt(0)
	s_and_b32 s19, s3, 0xffff
	s_add_u32 s3, s4, s20
	s_addc_u32 s20, s5, s21
	v_add_co_u32 v1, s3, s3, v1
	s_delay_alu instid0(VALU_DEP_1)
	v_add_co_ci_u32_e64 v2, null, s20, 0, s3
	s_mov_b32 s20, 0
	s_lshl_b32 s21, s19, 3
.LBB17_2:                               ; =>This Inner Loop Header: Depth=1
	global_load_b64 v[5:6], v[1:2], off
	v_add_nc_u32_e32 v4, s19, v4
	v_add_co_u32 v1, vcc_lo, v1, s21
	v_add_co_ci_u32_e32 v2, vcc_lo, 0, v2, vcc_lo
	s_delay_alu instid0(VALU_DEP_3) | instskip(NEXT) | instid1(VALU_DEP_1)
	v_cmp_le_i32_e64 s3, s14, v4
	s_or_b32 s20, s3, s20
	s_waitcnt vmcnt(0)
	ds_store_b64 v3, v[5:6]
	v_add_nc_u32_e32 v3, s21, v3
	s_and_not1_b32 exec_lo, exec_lo, s20
	s_cbranch_execnz .LBB17_2
.LBB17_3:
	s_or_b32 exec_lo, exec_lo, s18
	v_lshl_add_u32 v1, s14, 1, v0
	s_mov_b32 s3, exec_lo
	s_delay_alu instid0(VALU_DEP_1)
	v_cmpx_gt_i32_e64 s12, v1
	s_cbranch_execz .LBB17_6
; %bb.4:
	s_load_b32 s18, s[0:1], 0x44
	s_lshl_b64 s[16:17], s[16:17], 2
	v_lshlrev_b32_e32 v2, 2, v0
	s_add_u32 s4, s4, s16
	s_addc_u32 s5, s5, s17
	s_lshl_b32 s16, s14, 3
	s_mov_b32 s17, 0
	v_add3_u32 v3, 0, s16, v2
	s_waitcnt lgkmcnt(0)
	s_and_b32 s16, s18, 0xffff
	s_delay_alu instid0(SALU_CYCLE_1)
	s_lshl_b32 s18, s16, 2
.LBB17_5:                               ; =>This Inner Loop Header: Depth=1
	v_ashrrev_i32_e32 v2, 31, v1
	s_delay_alu instid0(VALU_DEP_1) | instskip(SKIP_1) | instid1(VALU_DEP_2)
	v_lshlrev_b64 v[4:5], 2, v[1:2]
	v_add_nc_u32_e32 v1, s16, v1
	v_add_co_u32 v4, vcc_lo, s4, v4
	s_delay_alu instid0(VALU_DEP_3) | instskip(NEXT) | instid1(VALU_DEP_3)
	v_add_co_ci_u32_e32 v5, vcc_lo, s5, v5, vcc_lo
	v_cmp_le_i32_e32 vcc_lo, s12, v1
	global_load_b32 v2, v[4:5], off
	s_or_b32 s17, vcc_lo, s17
	s_waitcnt vmcnt(0)
	ds_store_b32 v3, v2
	v_add_nc_u32_e32 v3, s18, v3
	s_and_not1_b32 exec_lo, exec_lo, s17
	s_cbranch_execnz .LBB17_5
.LBB17_6:
	s_or_b32 exec_lo, exec_lo, s3
	v_cmp_gt_i32_e32 vcc_lo, s12, v0
	v_mov_b32_e32 v2, 0xff800000
	s_waitcnt lgkmcnt(0)
	s_barrier
	buffer_gl0_inv
	s_and_saveexec_b32 s4, vcc_lo
	s_cbranch_execz .LBB17_10
; %bb.7:
	s_load_b32 s3, s[0:1], 0x44
	v_lshl_add_u32 v1, v0, 2, 0
	v_dual_mov_b32 v2, 0xff800000 :: v_dual_mov_b32 v3, v0
	s_mov_b32 s5, 0
	s_waitcnt lgkmcnt(0)
	s_and_b32 s16, s3, 0xffff
	s_delay_alu instid0(SALU_CYCLE_1)
	s_lshl_b32 s17, s16, 2
.LBB17_8:                               ; =>This Inner Loop Header: Depth=1
	ds_load_b32 v4, v1
	v_dual_max_f32 v2, v2, v2 :: v_dual_add_nc_u32 v3, s16, v3
	v_add_nc_u32_e32 v1, s17, v1
	s_delay_alu instid0(VALU_DEP_2) | instskip(NEXT) | instid1(VALU_DEP_1)
	v_cmp_le_i32_e64 s3, s12, v3
	s_or_b32 s5, s3, s5
	s_waitcnt lgkmcnt(0)
	v_max_f32_e32 v4, v4, v4
	s_delay_alu instid0(VALU_DEP_1)
	v_max_f32_e32 v2, v2, v4
	s_and_not1_b32 exec_lo, exec_lo, s5
	s_cbranch_execnz .LBB17_8
; %bb.9:
	s_or_b32 exec_lo, exec_lo, s5
.LBB17_10:
	s_delay_alu instid0(SALU_CYCLE_1)
	s_or_b32 exec_lo, exec_lo, s4
	v_mov_b32_e32 v1, 0
	;;#ASMSTART
	v_max_f32 v3, v2, v2 quad_perm:[1,0,3,2] row_mask:0xf bank_mask:0xf bound_ctrl:1
	;;#ASMEND
	;;#ASMSTART
	v_max_f32 v2, v3, v3 quad_perm:[2,3,0,1] row_mask:0xf bank_mask:0xf bound_ctrl:1
	;;#ASMEND
	;;#ASMSTART
	v_max_f32 v3, v2, v2 row_half_mirror row_mask:0xf bank_mask:0xf bound_ctrl:1
	;;#ASMEND
	;;#ASMSTART
	v_max_f32 v2, v3, v3 row_mirror row_mask:0xf bank_mask:0xf bound_ctrl:1
	;;#ASMEND
	s_and_saveexec_b32 s4, vcc_lo
	s_cbranch_execz .LBB17_14
; %bb.11:
	s_load_b32 s3, s[0:1], 0x44
	s_mov_b32 s5, 0x76543210
	v_lshl_add_u32 v3, v0, 2, 0
	v_permlanex16_b32 v1, v2, s5, 0xfedcba98 op_sel:[1,1]
	v_mov_b32_e32 v4, v0
	s_mov_b32 s5, 0
	s_delay_alu instid0(VALU_DEP_2) | instskip(NEXT) | instid1(VALU_DEP_1)
	v_dual_max_f32 v2, v2, v2 :: v_dual_max_f32 v1, v1, v1
	v_dual_max_f32 v2, v2, v1 :: v_dual_mov_b32 v1, 0
	s_waitcnt lgkmcnt(0)
	s_and_b32 s16, s3, 0xffff
	s_delay_alu instid0(SALU_CYCLE_1)
	s_lshl_b32 s17, s16, 2
	.p2align	6
.LBB17_12:                              ; =>This Inner Loop Header: Depth=1
	ds_load_b32 v5, v3
	s_waitcnt lgkmcnt(0)
	v_dual_sub_f32 v5, v5, v2 :: v_dual_add_nc_u32 v4, s16, v4
	s_delay_alu instid0(VALU_DEP_1) | instskip(NEXT) | instid1(VALU_DEP_1)
	v_mul_f32_e32 v6, 0x3fb8aa3b, v5
	v_cmp_gt_f32_e64 s3, 0xc2fc0000, v6
	s_delay_alu instid0(VALU_DEP_1) | instskip(NEXT) | instid1(VALU_DEP_1)
	v_cndmask_b32_e64 v6, 0, 0x42800000, s3
	v_fmac_f32_e32 v6, 0x3fb8aa3b, v5
	s_delay_alu instid0(VALU_DEP_1) | instskip(SKIP_2) | instid1(VALU_DEP_1)
	v_exp_f32_e32 v5, v6
	v_cndmask_b32_e64 v6, 1.0, 0x1f800000, s3
	v_cmp_le_i32_e64 s3, s12, v4
	s_or_b32 s5, s3, s5
	s_waitcnt_depctr 0xfff
	v_mul_f32_e32 v7, v5, v6
	v_fmac_f32_e32 v1, v5, v6
	ds_store_b32 v3, v7
	v_add_nc_u32_e32 v3, s17, v3
	s_and_not1_b32 exec_lo, exec_lo, s5
	s_cbranch_execnz .LBB17_12
; %bb.13:
	s_or_b32 exec_lo, exec_lo, s5
.LBB17_14:
	s_delay_alu instid0(SALU_CYCLE_1) | instskip(SKIP_1) | instid1(VALU_DEP_1)
	s_or_b32 exec_lo, exec_lo, s4
	v_mov_b32_dpp v2, v1 quad_perm:[1,0,3,2] row_mask:0xf bank_mask:0xf
	v_add_f32_e32 v1, v1, v2
	s_delay_alu instid0(VALU_DEP_1) | instskip(NEXT) | instid1(VALU_DEP_1)
	v_mov_b32_dpp v2, v1 quad_perm:[2,3,0,1] row_mask:0xf bank_mask:0xf
	v_add_f32_e32 v1, v1, v2
	s_delay_alu instid0(VALU_DEP_1) | instskip(NEXT) | instid1(VALU_DEP_1)
	v_mov_b32_dpp v2, v1 row_xmask:7 row_mask:0xf bank_mask:0xf
	v_add_f32_e32 v1, v1, v2
	s_delay_alu instid0(VALU_DEP_1)
	v_mov_b32_dpp v2, v1 row_xmask:15 row_mask:0xf bank_mask:0xf
	s_and_saveexec_b32 s3, vcc_lo
	s_cbranch_execz .LBB17_19
; %bb.15:
	s_delay_alu instid0(VALU_DEP_1)
	v_add_f32_e32 v1, v1, v2
	s_load_b32 s5, s[0:1], 0x44
	s_mov_b32 s4, 0x76543210
	s_cmp_lg_u64 s[6:7], 0
	v_lshl_add_u32 v4, v0, 2, 0
	v_permlanex16_b32 v2, v1, s4, 0xfedcba98 op_sel:[1,1]
	s_cselect_b32 s4, -1, 0
	s_mov_b32 s16, 0
	s_delay_alu instid0(VALU_DEP_1) | instskip(NEXT) | instid1(VALU_DEP_1)
	v_add_f32_e32 v1, v1, v2
	v_rcp_f32_e32 v3, v1
	v_mov_b32_e32 v1, v0
	s_waitcnt lgkmcnt(0)
	s_and_b32 s5, s5, 0xffff
	s_delay_alu instid0(SALU_CYCLE_1)
	s_lshl_b32 s17, s5, 2
	s_set_inst_prefetch_distance 0x1
	s_branch .LBB17_17
	.p2align	6
.LBB17_16:                              ;   in Loop: Header=BB17_17 Depth=1
	v_add_nc_u32_e32 v1, s5, v1
	v_add_nc_u32_e32 v4, s17, v4
	s_delay_alu instid0(VALU_DEP_2) | instskip(SKIP_1) | instid1(SALU_CYCLE_1)
	v_cmp_le_i32_e32 vcc_lo, s12, v1
	s_or_b32 s16, vcc_lo, s16
	s_and_not1_b32 exec_lo, exec_lo, s16
	s_cbranch_execz .LBB17_19
.LBB17_17:                              ; =>This Inner Loop Header: Depth=1
	ds_load_b32 v2, v4
	s_and_not1_b32 vcc_lo, exec_lo, s4
	s_waitcnt lgkmcnt(0)
	v_mul_f32_e32 v5, v3, v2
	ds_store_b32 v4, v5
	s_cbranch_vccnz .LBB17_16
; %bb.18:                               ;   in Loop: Header=BB17_17 Depth=1
	v_ashrrev_i32_e32 v2, 31, v1
	s_delay_alu instid0(VALU_DEP_1) | instskip(NEXT) | instid1(VALU_DEP_1)
	v_lshlrev_b64 v[6:7], 2, v[1:2]
	v_add_co_u32 v6, vcc_lo, s6, v6
	s_delay_alu instid0(VALU_DEP_2)
	v_add_co_ci_u32_e32 v7, vcc_lo, s7, v7, vcc_lo
	global_load_b32 v2, v[6:7], off
	s_waitcnt vmcnt(0)
	v_add_f32_e32 v2, v5, v2
	ds_store_b32 v4, v2
	s_branch .LBB17_16
.LBB17_19:
	s_set_inst_prefetch_distance 0x2
	s_or_b32 exec_lo, exec_lo, s3
	v_mov_b32_e32 v2, 0
	s_cmp_lt_i32 s13, 1
	s_waitcnt lgkmcnt(0)
	s_barrier
	buffer_gl0_inv
	s_cbranch_scc1 .LBB17_28
; %bb.20:
	s_add_u32 s4, s0, 56
	s_addc_u32 s5, s1, 0
	v_dual_mov_b32 v1, 0 :: v_dual_lshlrev_b32 v4, 1, v0
	v_lshl_add_u32 v5, v0, 3, 0
	v_dual_mov_b32 v2, 0 :: v_dual_mov_b32 v3, 0
	v_mov_b32_e32 v6, 0xff800000
	s_cmp_lg_u64 s[6:7], 0
	s_mov_b32 s18, 0
	s_cselect_b32 s12, -1, 0
	s_mov_b32 s19, 0x76543210
	s_branch .LBB17_22
.LBB17_21:                              ;   in Loop: Header=BB17_22 Depth=1
	v_cmp_eq_u32_e32 vcc_lo, s18, v0
	s_delay_alu instid0(VALU_DEP_2) | instskip(NEXT) | instid1(VALU_DEP_2)
	s_lshl_b32 s3, s16, 2
	v_add_f32_e32 v3, v3, v9
	s_add_i32 s3, s3, 0
	s_add_i32 s18, s18, 1
	v_cndmask_b32_e64 v1, v1, s16, vcc_lo
	v_dual_mov_b32 v7, s3 :: v_dual_cndmask_b32 v2, v2, v9
	s_cmp_eq_u32 s18, s13
	ds_store_b32 v7, v6
	s_cbranch_scc1 .LBB17_29
.LBB17_22:                              ; =>This Loop Header: Depth=1
                                        ;     Child Loop BB17_24 Depth 2
	v_dual_mov_b32 v7, s18 :: v_dual_mov_b32 v8, 0xff800000
	s_and_saveexec_b32 s16, s2
	s_cbranch_execz .LBB17_26
; %bb.23:                               ;   in Loop: Header=BB17_22 Depth=1
	s_load_b32 s3, s[4:5], 0xc
	v_dual_mov_b32 v7, s18 :: v_dual_mov_b32 v8, 0xff800000
	v_dual_mov_b32 v9, v5 :: v_dual_mov_b32 v10, v4
	v_mov_b32_e32 v11, v0
	s_mov_b32 s21, 0
	s_waitcnt lgkmcnt(0)
	s_and_b32 s17, s3, 0xffff
	s_delay_alu instid0(SALU_CYCLE_1)
	s_lshl_b32 s20, s17, 1
	s_lshl_b32 s22, s17, 3
	.p2align	6
.LBB17_24:                              ;   Parent Loop BB17_22 Depth=1
                                        ; =>  This Inner Loop Header: Depth=2
	ds_load_b64 v[12:13], v9
	v_add_nc_u32_e32 v9, s22, v9
	v_add_nc_u32_e32 v11, s17, v11
	s_delay_alu instid0(VALU_DEP_1) | instskip(NEXT) | instid1(VALU_DEP_1)
	v_cmp_le_i32_e64 s3, s14, v11
	s_or_b32 s21, s3, s21
	s_waitcnt lgkmcnt(0)
	v_cmp_gt_f32_e32 vcc_lo, v12, v8
	v_cndmask_b32_e32 v8, v8, v12, vcc_lo
	v_add_nc_u32_e32 v12, 1, v10
	v_cndmask_b32_e32 v7, v7, v10, vcc_lo
	s_delay_alu instid0(VALU_DEP_3) | instskip(SKIP_1) | instid1(VALU_DEP_3)
	v_cmp_gt_f32_e32 vcc_lo, v13, v8
	v_cndmask_b32_e32 v8, v8, v13, vcc_lo
	v_dual_cndmask_b32 v7, v7, v12 :: v_dual_add_nc_u32 v10, s20, v10
	s_and_not1_b32 exec_lo, exec_lo, s21
	s_cbranch_execnz .LBB17_24
; %bb.25:                               ;   in Loop: Header=BB17_22 Depth=1
	s_or_b32 exec_lo, exec_lo, s21
.LBB17_26:                              ;   in Loop: Header=BB17_22 Depth=1
	s_delay_alu instid0(SALU_CYCLE_1)
	s_or_b32 exec_lo, exec_lo, s16
	;;#ASMSTART
	v_max_f32 v9, v8, v8 quad_perm:[1,0,3,2] row_mask:0xf bank_mask:0xf bound_ctrl:1
	;;#ASMEND
	;;#ASMSTART
	v_max_f32 v10, v9, v9 quad_perm:[2,3,0,1] row_mask:0xf bank_mask:0xf bound_ctrl:1
	;;#ASMEND
	;;#ASMSTART
	v_max_f32 v9, v10, v10 row_half_mirror row_mask:0xf bank_mask:0xf bound_ctrl:1
	;;#ASMEND
	;;#ASMSTART
	v_max_f32 v10, v9, v9 row_mirror row_mask:0xf bank_mask:0xf bound_ctrl:1
	;;#ASMEND
	v_permlanex16_b32 v9, v10, s19, 0xfedcba98 op_sel:[1,1]
	s_delay_alu instid0(VALU_DEP_1) | instskip(NEXT) | instid1(VALU_DEP_1)
	v_dual_max_f32 v10, v10, v10 :: v_dual_max_f32 v9, v9, v9
	v_max_f32_e32 v9, v10, v9
	s_delay_alu instid0(VALU_DEP_1)
	v_cmp_eq_f32_e32 vcc_lo, v8, v9
	s_ctz_i32_b32 s3, vcc_lo
	s_cmp_lg_u32 vcc_lo, 0
	s_cselect_b32 s3, s3, 0
	s_and_b32 vcc_lo, exec_lo, s12
	v_readlane_b32 s16, v7, s3
	s_cbranch_vccz .LBB17_21
; %bb.27:                               ;   in Loop: Header=BB17_22 Depth=1
	s_delay_alu instid0(VALU_DEP_1) | instskip(NEXT) | instid1(SALU_CYCLE_1)
	s_ashr_i32 s17, s16, 31
	s_lshl_b64 s[20:21], s[16:17], 2
	s_delay_alu instid0(SALU_CYCLE_1)
	s_add_u32 s20, s6, s20
	s_addc_u32 s21, s7, s21
	s_load_b32 s3, s[20:21], 0x0
	s_waitcnt lgkmcnt(0)
	v_subrev_f32_e32 v9, s3, v9
	s_branch .LBB17_21
.LBB17_28:
	v_mov_b32_e32 v1, 0
	v_mov_b32_e32 v3, 0
.LBB17_29:
	s_mov_b32 s2, exec_lo
	v_cmpx_gt_i32_e64 s13, v0
	s_cbranch_execz .LBB17_32
; %bb.30:
	s_clause 0x1
	s_load_b32 s2, s[0:1], 0x34
	s_load_b32 s3, s[0:1], 0x44
	v_max_f32_e32 v3, v3, v3
	s_load_b64 s[0:1], s[0:1], 0x20
	s_ashr_i32 s4, s15, 31
	s_delay_alu instid0(VALU_DEP_1) | instskip(SKIP_1) | instid1(VALU_DEP_1)
	v_max_f32_e32 v3, 0x1e3ce508, v3
	s_waitcnt lgkmcnt(0)
	v_div_scale_f32 v4, null, v3, v3, s2
	v_div_scale_f32 v7, vcc_lo, s2, v3, s2
	s_mul_i32 s1, s15, s1
	s_delay_alu instid0(VALU_DEP_2) | instskip(SKIP_4) | instid1(VALU_DEP_1)
	v_rcp_f32_e32 v5, v4
	s_mul_i32 s4, s4, s0
	s_and_b32 s3, s3, 0xffff
	s_waitcnt_depctr 0xfff
	v_fma_f32 v6, -v4, v5, 1.0
	v_fmac_f32_e32 v5, v6, v5
	s_delay_alu instid0(VALU_DEP_1) | instskip(NEXT) | instid1(VALU_DEP_1)
	v_mul_f32_e32 v6, v7, v5
	v_fma_f32 v8, -v4, v6, v7
	s_delay_alu instid0(VALU_DEP_1) | instskip(NEXT) | instid1(VALU_DEP_1)
	v_fmac_f32_e32 v6, v8, v5
	v_fma_f32 v4, -v4, v6, v7
	s_delay_alu instid0(VALU_DEP_1) | instskip(NEXT) | instid1(VALU_DEP_1)
	v_div_fmas_f32 v4, v4, v5, v6
	v_div_fixup_f32 v3, v4, v3, s2
	s_mul_hi_u32 s2, s15, s0
	s_delay_alu instid0(SALU_CYCLE_1) | instskip(SKIP_1) | instid1(VALU_DEP_1)
	s_add_i32 s1, s2, s1
	s_mul_i32 s2, s15, s0
	v_mul_f32_e32 v2, v2, v3
	s_add_i32 s1, s1, s4
	s_mov_b32 s4, 0
	.p2align	6
.LBB17_31:                              ; =>This Inner Loop Header: Depth=1
	v_ashrrev_i32_e32 v4, 31, v0
	v_add_co_u32 v3, vcc_lo, s2, v0
	v_add_nc_u32_e32 v0, s3, v0
	s_delay_alu instid0(VALU_DEP_3) | instskip(NEXT) | instid1(VALU_DEP_2)
	v_add_co_ci_u32_e32 v4, vcc_lo, s1, v4, vcc_lo
	v_cmp_le_i32_e32 vcc_lo, s13, v0
	s_delay_alu instid0(VALU_DEP_2) | instskip(SKIP_1) | instid1(VALU_DEP_1)
	v_lshlrev_b64 v[3:4], 2, v[3:4]
	s_or_b32 s4, vcc_lo, s4
	v_add_co_u32 v5, s0, s8, v3
	s_delay_alu instid0(VALU_DEP_1) | instskip(SKIP_1) | instid1(VALU_DEP_1)
	v_add_co_ci_u32_e64 v6, s0, s9, v4, s0
	v_add_co_u32 v3, s0, s10, v3
	v_add_co_ci_u32_e64 v4, s0, s11, v4, s0
	global_store_b32 v[5:6], v2, off
	global_store_b32 v[3:4], v1, off
	s_and_not1_b32 exec_lo, exec_lo, s4
	s_cbranch_execnz .LBB17_31
.LBB17_32:
	s_nop 0
	s_sendmsg sendmsg(MSG_DEALLOC_VGPRS)
	s_endpgm
	.section	.rodata,"a",@progbits
	.p2align	6, 0x0
	.amdhsa_kernel _ZN5aiter20topk_softplus_kernelIffDv2_fLb1ELi2EEEvPKT_PKT0_PfPimiiif
		.amdhsa_group_segment_fixed_size 0
		.amdhsa_private_segment_fixed_size 0
		.amdhsa_kernarg_size 312
		.amdhsa_user_sgpr_count 15
		.amdhsa_user_sgpr_dispatch_ptr 0
		.amdhsa_user_sgpr_queue_ptr 0
		.amdhsa_user_sgpr_kernarg_segment_ptr 1
		.amdhsa_user_sgpr_dispatch_id 0
		.amdhsa_user_sgpr_private_segment_size 0
		.amdhsa_wavefront_size32 1
		.amdhsa_uses_dynamic_stack 0
		.amdhsa_enable_private_segment 0
		.amdhsa_system_sgpr_workgroup_id_x 1
		.amdhsa_system_sgpr_workgroup_id_y 0
		.amdhsa_system_sgpr_workgroup_id_z 0
		.amdhsa_system_sgpr_workgroup_info 0
		.amdhsa_system_vgpr_workitem_id 0
		.amdhsa_next_free_vgpr 14
		.amdhsa_next_free_sgpr 23
		.amdhsa_reserve_vcc 1
		.amdhsa_float_round_mode_32 0
		.amdhsa_float_round_mode_16_64 0
		.amdhsa_float_denorm_mode_32 3
		.amdhsa_float_denorm_mode_16_64 3
		.amdhsa_dx10_clamp 1
		.amdhsa_ieee_mode 1
		.amdhsa_fp16_overflow 0
		.amdhsa_workgroup_processor_mode 1
		.amdhsa_memory_ordered 1
		.amdhsa_forward_progress 0
		.amdhsa_shared_vgpr_count 0
		.amdhsa_exception_fp_ieee_invalid_op 0
		.amdhsa_exception_fp_denorm_src 0
		.amdhsa_exception_fp_ieee_div_zero 0
		.amdhsa_exception_fp_ieee_overflow 0
		.amdhsa_exception_fp_ieee_underflow 0
		.amdhsa_exception_fp_ieee_inexact 0
		.amdhsa_exception_int_div_zero 0
	.end_amdhsa_kernel
	.section	.text._ZN5aiter20topk_softplus_kernelIffDv2_fLb1ELi2EEEvPKT_PKT0_PfPimiiif,"axG",@progbits,_ZN5aiter20topk_softplus_kernelIffDv2_fLb1ELi2EEEvPKT_PKT0_PfPimiiif,comdat
.Lfunc_end17:
	.size	_ZN5aiter20topk_softplus_kernelIffDv2_fLb1ELi2EEEvPKT_PKT0_PfPimiiif, .Lfunc_end17-_ZN5aiter20topk_softplus_kernelIffDv2_fLb1ELi2EEEvPKT_PKT0_PfPimiiif
                                        ; -- End function
	.section	.AMDGPU.csdata,"",@progbits
; Kernel info:
; codeLenInByte = 1984
; NumSgprs: 25
; NumVgprs: 14
; ScratchSize: 0
; MemoryBound: 0
; FloatMode: 240
; IeeeMode: 1
; LDSByteSize: 0 bytes/workgroup (compile time only)
; SGPRBlocks: 3
; VGPRBlocks: 1
; NumSGPRsForWavesPerEU: 25
; NumVGPRsForWavesPerEU: 14
; Occupancy: 16
; WaveLimiterHint : 0
; COMPUTE_PGM_RSRC2:SCRATCH_EN: 0
; COMPUTE_PGM_RSRC2:USER_SGPR: 15
; COMPUTE_PGM_RSRC2:TRAP_HANDLER: 0
; COMPUTE_PGM_RSRC2:TGID_X_EN: 1
; COMPUTE_PGM_RSRC2:TGID_Y_EN: 0
; COMPUTE_PGM_RSRC2:TGID_Z_EN: 0
; COMPUTE_PGM_RSRC2:TIDIG_COMP_CNT: 0
	.section	.text._ZN5aiter20topk_softplus_kernelIffDv2_fLb0ELi2EEEvPKT_PKT0_PfPimiiif,"axG",@progbits,_ZN5aiter20topk_softplus_kernelIffDv2_fLb0ELi2EEEvPKT_PKT0_PfPimiiif,comdat
	.protected	_ZN5aiter20topk_softplus_kernelIffDv2_fLb0ELi2EEEvPKT_PKT0_PfPimiiif ; -- Begin function _ZN5aiter20topk_softplus_kernelIffDv2_fLb0ELi2EEEvPKT_PKT0_PfPimiiif
	.globl	_ZN5aiter20topk_softplus_kernelIffDv2_fLb0ELi2EEEvPKT_PKT0_PfPimiiif
	.p2align	8
	.type	_ZN5aiter20topk_softplus_kernelIffDv2_fLb0ELi2EEEvPKT_PKT0_PfPimiiif,@function
_ZN5aiter20topk_softplus_kernelIffDv2_fLb0ELi2EEEvPKT_PKT0_PfPimiiif: ; @_ZN5aiter20topk_softplus_kernelIffDv2_fLb0ELi2EEEvPKT_PKT0_PfPimiiif
; %bb.0:
	s_clause 0x1
	s_load_b64 s[12:13], s[0:1], 0x28
	s_load_b256 s[4:11], s[0:1], 0x0
	s_waitcnt lgkmcnt(0)
	s_lshr_b32 s2, s12, 31
	s_mul_i32 s16, s15, s12
	s_add_i32 s2, s12, s2
	s_ashr_i32 s17, s16, 31
	s_ashr_i32 s14, s2, 1
	s_delay_alu instid0(SALU_CYCLE_1) | instskip(NEXT) | instid1(VALU_DEP_1)
	v_cmp_gt_i32_e64 s2, s14, v0
	s_and_saveexec_b32 s18, s2
	s_cbranch_execz .LBB18_3
; %bb.1:
	s_load_b32 s3, s[0:1], 0x44
	v_dual_mov_b32 v4, v0 :: v_dual_lshlrev_b32 v1, 3, v0
	s_lshl_b64 s[20:21], s[16:17], 2
	s_delay_alu instid0(VALU_DEP_1)
	v_add_nc_u32_e32 v3, 0, v1
	s_waitcnt lgkmcnt(0)
	s_and_b32 s19, s3, 0xffff
	s_add_u32 s3, s4, s20
	s_addc_u32 s20, s5, s21
	v_add_co_u32 v1, s3, s3, v1
	s_delay_alu instid0(VALU_DEP_1)
	v_add_co_ci_u32_e64 v2, null, s20, 0, s3
	s_mov_b32 s20, 0
	s_lshl_b32 s21, s19, 3
.LBB18_2:                               ; =>This Inner Loop Header: Depth=1
	global_load_b64 v[5:6], v[1:2], off
	v_add_nc_u32_e32 v4, s19, v4
	v_add_co_u32 v1, vcc_lo, v1, s21
	v_add_co_ci_u32_e32 v2, vcc_lo, 0, v2, vcc_lo
	s_delay_alu instid0(VALU_DEP_3) | instskip(NEXT) | instid1(VALU_DEP_1)
	v_cmp_le_i32_e64 s3, s14, v4
	s_or_b32 s20, s3, s20
	s_waitcnt vmcnt(0)
	ds_store_b64 v3, v[5:6]
	v_add_nc_u32_e32 v3, s21, v3
	s_and_not1_b32 exec_lo, exec_lo, s20
	s_cbranch_execnz .LBB18_2
.LBB18_3:
	s_or_b32 exec_lo, exec_lo, s18
	v_lshl_add_u32 v1, s14, 1, v0
	s_mov_b32 s3, exec_lo
	s_delay_alu instid0(VALU_DEP_1)
	v_cmpx_gt_i32_e64 s12, v1
	s_cbranch_execz .LBB18_6
; %bb.4:
	s_load_b32 s18, s[0:1], 0x44
	s_lshl_b64 s[16:17], s[16:17], 2
	v_lshlrev_b32_e32 v2, 2, v0
	s_add_u32 s4, s4, s16
	s_addc_u32 s5, s5, s17
	s_lshl_b32 s16, s14, 3
	s_mov_b32 s17, 0
	v_add3_u32 v3, 0, s16, v2
	s_waitcnt lgkmcnt(0)
	s_and_b32 s16, s18, 0xffff
	s_delay_alu instid0(SALU_CYCLE_1)
	s_lshl_b32 s18, s16, 2
.LBB18_5:                               ; =>This Inner Loop Header: Depth=1
	v_ashrrev_i32_e32 v2, 31, v1
	s_delay_alu instid0(VALU_DEP_1) | instskip(SKIP_1) | instid1(VALU_DEP_2)
	v_lshlrev_b64 v[4:5], 2, v[1:2]
	v_add_nc_u32_e32 v1, s16, v1
	v_add_co_u32 v4, vcc_lo, s4, v4
	s_delay_alu instid0(VALU_DEP_3) | instskip(NEXT) | instid1(VALU_DEP_3)
	v_add_co_ci_u32_e32 v5, vcc_lo, s5, v5, vcc_lo
	v_cmp_le_i32_e32 vcc_lo, s12, v1
	global_load_b32 v2, v[4:5], off
	s_or_b32 s17, vcc_lo, s17
	s_waitcnt vmcnt(0)
	ds_store_b32 v3, v2
	v_add_nc_u32_e32 v3, s18, v3
	s_and_not1_b32 exec_lo, exec_lo, s17
	s_cbranch_execnz .LBB18_5
.LBB18_6:
	s_or_b32 exec_lo, exec_lo, s3
	v_cmp_gt_i32_e32 vcc_lo, s12, v0
	v_mov_b32_e32 v2, 0xff800000
	s_waitcnt lgkmcnt(0)
	s_barrier
	buffer_gl0_inv
	s_and_saveexec_b32 s4, vcc_lo
	s_cbranch_execz .LBB18_10
; %bb.7:
	s_load_b32 s3, s[0:1], 0x44
	v_lshl_add_u32 v1, v0, 2, 0
	v_dual_mov_b32 v2, 0xff800000 :: v_dual_mov_b32 v3, v0
	s_mov_b32 s5, 0
	s_waitcnt lgkmcnt(0)
	s_and_b32 s16, s3, 0xffff
	s_delay_alu instid0(SALU_CYCLE_1)
	s_lshl_b32 s17, s16, 2
.LBB18_8:                               ; =>This Inner Loop Header: Depth=1
	ds_load_b32 v4, v1
	v_dual_max_f32 v2, v2, v2 :: v_dual_add_nc_u32 v3, s16, v3
	v_add_nc_u32_e32 v1, s17, v1
	s_delay_alu instid0(VALU_DEP_2) | instskip(NEXT) | instid1(VALU_DEP_1)
	v_cmp_le_i32_e64 s3, s12, v3
	s_or_b32 s5, s3, s5
	s_waitcnt lgkmcnt(0)
	v_max_f32_e32 v4, v4, v4
	s_delay_alu instid0(VALU_DEP_1)
	v_max_f32_e32 v2, v2, v4
	s_and_not1_b32 exec_lo, exec_lo, s5
	s_cbranch_execnz .LBB18_8
; %bb.9:
	s_or_b32 exec_lo, exec_lo, s5
.LBB18_10:
	s_delay_alu instid0(SALU_CYCLE_1)
	s_or_b32 exec_lo, exec_lo, s4
	v_mov_b32_e32 v1, 0
	;;#ASMSTART
	v_max_f32 v3, v2, v2 quad_perm:[1,0,3,2] row_mask:0xf bank_mask:0xf bound_ctrl:1
	;;#ASMEND
	;;#ASMSTART
	v_max_f32 v2, v3, v3 quad_perm:[2,3,0,1] row_mask:0xf bank_mask:0xf bound_ctrl:1
	;;#ASMEND
	;;#ASMSTART
	v_max_f32 v3, v2, v2 row_half_mirror row_mask:0xf bank_mask:0xf bound_ctrl:1
	;;#ASMEND
	;;#ASMSTART
	v_max_f32 v2, v3, v3 row_mirror row_mask:0xf bank_mask:0xf bound_ctrl:1
	;;#ASMEND
	s_and_saveexec_b32 s4, vcc_lo
	s_cbranch_execz .LBB18_14
; %bb.11:
	s_load_b32 s3, s[0:1], 0x44
	s_mov_b32 s5, 0x76543210
	v_lshl_add_u32 v3, v0, 2, 0
	v_permlanex16_b32 v1, v2, s5, 0xfedcba98 op_sel:[1,1]
	v_mov_b32_e32 v4, v0
	s_mov_b32 s5, 0
	s_delay_alu instid0(VALU_DEP_2) | instskip(NEXT) | instid1(VALU_DEP_1)
	v_dual_max_f32 v2, v2, v2 :: v_dual_max_f32 v1, v1, v1
	v_dual_max_f32 v2, v2, v1 :: v_dual_mov_b32 v1, 0
	s_waitcnt lgkmcnt(0)
	s_and_b32 s16, s3, 0xffff
	s_delay_alu instid0(SALU_CYCLE_1)
	s_lshl_b32 s17, s16, 2
	.p2align	6
.LBB18_12:                              ; =>This Inner Loop Header: Depth=1
	ds_load_b32 v5, v3
	s_waitcnt lgkmcnt(0)
	v_dual_sub_f32 v5, v5, v2 :: v_dual_add_nc_u32 v4, s16, v4
	s_delay_alu instid0(VALU_DEP_1) | instskip(NEXT) | instid1(VALU_DEP_1)
	v_mul_f32_e32 v6, 0x3fb8aa3b, v5
	v_cmp_gt_f32_e64 s3, 0xc2fc0000, v6
	s_delay_alu instid0(VALU_DEP_1) | instskip(NEXT) | instid1(VALU_DEP_1)
	v_cndmask_b32_e64 v6, 0, 0x42800000, s3
	v_fmac_f32_e32 v6, 0x3fb8aa3b, v5
	s_delay_alu instid0(VALU_DEP_1) | instskip(SKIP_2) | instid1(VALU_DEP_1)
	v_exp_f32_e32 v5, v6
	v_cndmask_b32_e64 v6, 1.0, 0x1f800000, s3
	v_cmp_le_i32_e64 s3, s12, v4
	s_or_b32 s5, s3, s5
	s_waitcnt_depctr 0xfff
	v_mul_f32_e32 v7, v5, v6
	v_fmac_f32_e32 v1, v5, v6
	ds_store_b32 v3, v7
	v_add_nc_u32_e32 v3, s17, v3
	s_and_not1_b32 exec_lo, exec_lo, s5
	s_cbranch_execnz .LBB18_12
; %bb.13:
	s_or_b32 exec_lo, exec_lo, s5
.LBB18_14:
	s_delay_alu instid0(SALU_CYCLE_1) | instskip(SKIP_1) | instid1(VALU_DEP_1)
	s_or_b32 exec_lo, exec_lo, s4
	v_mov_b32_dpp v2, v1 quad_perm:[1,0,3,2] row_mask:0xf bank_mask:0xf
	v_add_f32_e32 v1, v1, v2
	s_delay_alu instid0(VALU_DEP_1) | instskip(NEXT) | instid1(VALU_DEP_1)
	v_mov_b32_dpp v2, v1 quad_perm:[2,3,0,1] row_mask:0xf bank_mask:0xf
	v_add_f32_e32 v1, v1, v2
	s_delay_alu instid0(VALU_DEP_1) | instskip(NEXT) | instid1(VALU_DEP_1)
	v_mov_b32_dpp v2, v1 row_xmask:7 row_mask:0xf bank_mask:0xf
	v_add_f32_e32 v1, v1, v2
	s_delay_alu instid0(VALU_DEP_1)
	v_mov_b32_dpp v2, v1 row_xmask:15 row_mask:0xf bank_mask:0xf
	s_and_saveexec_b32 s3, vcc_lo
	s_cbranch_execz .LBB18_19
; %bb.15:
	s_delay_alu instid0(VALU_DEP_1)
	v_add_f32_e32 v1, v1, v2
	s_load_b32 s5, s[0:1], 0x44
	s_mov_b32 s4, 0x76543210
	s_cmp_lg_u64 s[6:7], 0
	v_lshl_add_u32 v4, v0, 2, 0
	v_permlanex16_b32 v2, v1, s4, 0xfedcba98 op_sel:[1,1]
	s_cselect_b32 s4, -1, 0
	s_mov_b32 s16, 0
	s_delay_alu instid0(VALU_DEP_1) | instskip(NEXT) | instid1(VALU_DEP_1)
	v_add_f32_e32 v1, v1, v2
	v_rcp_f32_e32 v3, v1
	v_mov_b32_e32 v1, v0
	s_waitcnt lgkmcnt(0)
	s_and_b32 s5, s5, 0xffff
	s_delay_alu instid0(SALU_CYCLE_1)
	s_lshl_b32 s17, s5, 2
	s_set_inst_prefetch_distance 0x1
	s_branch .LBB18_17
	.p2align	6
.LBB18_16:                              ;   in Loop: Header=BB18_17 Depth=1
	v_add_nc_u32_e32 v1, s5, v1
	v_add_nc_u32_e32 v4, s17, v4
	s_delay_alu instid0(VALU_DEP_2) | instskip(SKIP_1) | instid1(SALU_CYCLE_1)
	v_cmp_le_i32_e32 vcc_lo, s12, v1
	s_or_b32 s16, vcc_lo, s16
	s_and_not1_b32 exec_lo, exec_lo, s16
	s_cbranch_execz .LBB18_19
.LBB18_17:                              ; =>This Inner Loop Header: Depth=1
	ds_load_b32 v2, v4
	s_and_not1_b32 vcc_lo, exec_lo, s4
	s_waitcnt lgkmcnt(0)
	v_mul_f32_e32 v5, v3, v2
	ds_store_b32 v4, v5
	s_cbranch_vccnz .LBB18_16
; %bb.18:                               ;   in Loop: Header=BB18_17 Depth=1
	v_ashrrev_i32_e32 v2, 31, v1
	s_delay_alu instid0(VALU_DEP_1) | instskip(NEXT) | instid1(VALU_DEP_1)
	v_lshlrev_b64 v[6:7], 2, v[1:2]
	v_add_co_u32 v6, vcc_lo, s6, v6
	s_delay_alu instid0(VALU_DEP_2)
	v_add_co_ci_u32_e32 v7, vcc_lo, s7, v7, vcc_lo
	global_load_b32 v2, v[6:7], off
	s_waitcnt vmcnt(0)
	v_add_f32_e32 v2, v5, v2
	ds_store_b32 v4, v2
	s_branch .LBB18_16
.LBB18_19:
	s_set_inst_prefetch_distance 0x2
	s_or_b32 exec_lo, exec_lo, s3
	s_cmp_lt_i32 s13, 1
	s_waitcnt lgkmcnt(0)
	s_barrier
	buffer_gl0_inv
	s_cbranch_scc1 .LBB18_28
; %bb.20:
	s_add_u32 s4, s0, 56
	s_addc_u32 s5, s1, 0
	v_dual_mov_b32 v2, 0 :: v_dual_lshlrev_b32 v3, 1, v0
	v_lshl_add_u32 v4, v0, 3, 0
	v_mov_b32_e32 v1, 0
	v_mov_b32_e32 v5, 0xff800000
	s_cmp_lg_u64 s[6:7], 0
	s_mov_b32 s18, 0
	s_cselect_b32 s12, -1, 0
	s_mov_b32 s19, 0x76543210
	s_branch .LBB18_22
.LBB18_21:                              ;   in Loop: Header=BB18_22 Depth=1
	v_cmp_eq_u32_e32 vcc_lo, s18, v0
	s_delay_alu instid0(VALU_DEP_2)
	s_lshl_b32 s3, s16, 2
	s_add_i32 s18, s18, 1
	s_add_i32 s3, s3, 0
	s_cmp_eq_u32 s18, s13
	v_cndmask_b32_e64 v1, v1, s16, vcc_lo
	v_mov_b32_e32 v6, s3
	v_cndmask_b32_e32 v2, v2, v8, vcc_lo
	ds_store_b32 v6, v5
	s_cbranch_scc1 .LBB18_29
.LBB18_22:                              ; =>This Loop Header: Depth=1
                                        ;     Child Loop BB18_24 Depth 2
	v_dual_mov_b32 v6, s18 :: v_dual_mov_b32 v7, 0xff800000
	s_and_saveexec_b32 s16, s2
	s_cbranch_execz .LBB18_26
; %bb.23:                               ;   in Loop: Header=BB18_22 Depth=1
	s_load_b32 s3, s[4:5], 0xc
	v_dual_mov_b32 v6, s18 :: v_dual_mov_b32 v7, 0xff800000
	v_dual_mov_b32 v8, v4 :: v_dual_mov_b32 v9, v3
	v_mov_b32_e32 v10, v0
	s_mov_b32 s21, 0
	s_waitcnt lgkmcnt(0)
	s_and_b32 s17, s3, 0xffff
	s_delay_alu instid0(SALU_CYCLE_1)
	s_lshl_b32 s20, s17, 1
	s_lshl_b32 s22, s17, 3
	.p2align	6
.LBB18_24:                              ;   Parent Loop BB18_22 Depth=1
                                        ; =>  This Inner Loop Header: Depth=2
	ds_load_b64 v[11:12], v8
	v_add_nc_u32_e32 v8, s22, v8
	v_add_nc_u32_e32 v10, s17, v10
	s_delay_alu instid0(VALU_DEP_1) | instskip(NEXT) | instid1(VALU_DEP_1)
	v_cmp_le_i32_e64 s3, s14, v10
	s_or_b32 s21, s3, s21
	s_waitcnt lgkmcnt(0)
	v_cmp_gt_f32_e32 vcc_lo, v11, v7
	v_cndmask_b32_e32 v7, v7, v11, vcc_lo
	v_add_nc_u32_e32 v11, 1, v9
	v_cndmask_b32_e32 v6, v6, v9, vcc_lo
	s_delay_alu instid0(VALU_DEP_3) | instskip(SKIP_1) | instid1(VALU_DEP_3)
	v_cmp_gt_f32_e32 vcc_lo, v12, v7
	v_cndmask_b32_e32 v7, v7, v12, vcc_lo
	v_dual_cndmask_b32 v6, v6, v11 :: v_dual_add_nc_u32 v9, s20, v9
	s_and_not1_b32 exec_lo, exec_lo, s21
	s_cbranch_execnz .LBB18_24
; %bb.25:                               ;   in Loop: Header=BB18_22 Depth=1
	s_or_b32 exec_lo, exec_lo, s21
.LBB18_26:                              ;   in Loop: Header=BB18_22 Depth=1
	s_delay_alu instid0(SALU_CYCLE_1)
	s_or_b32 exec_lo, exec_lo, s16
	;;#ASMSTART
	v_max_f32 v8, v7, v7 quad_perm:[1,0,3,2] row_mask:0xf bank_mask:0xf bound_ctrl:1
	;;#ASMEND
	;;#ASMSTART
	v_max_f32 v9, v8, v8 quad_perm:[2,3,0,1] row_mask:0xf bank_mask:0xf bound_ctrl:1
	;;#ASMEND
	;;#ASMSTART
	v_max_f32 v8, v9, v9 row_half_mirror row_mask:0xf bank_mask:0xf bound_ctrl:1
	;;#ASMEND
	;;#ASMSTART
	v_max_f32 v9, v8, v8 row_mirror row_mask:0xf bank_mask:0xf bound_ctrl:1
	;;#ASMEND
	v_permlanex16_b32 v8, v9, s19, 0xfedcba98 op_sel:[1,1]
	s_delay_alu instid0(VALU_DEP_1) | instskip(NEXT) | instid1(VALU_DEP_1)
	v_dual_max_f32 v9, v9, v9 :: v_dual_max_f32 v8, v8, v8
	v_max_f32_e32 v8, v9, v8
	s_delay_alu instid0(VALU_DEP_1)
	v_cmp_eq_f32_e32 vcc_lo, v7, v8
	s_ctz_i32_b32 s3, vcc_lo
	s_cmp_lg_u32 vcc_lo, 0
	s_cselect_b32 s3, s3, 0
	s_and_b32 vcc_lo, exec_lo, s12
	v_readlane_b32 s16, v6, s3
	s_cbranch_vccz .LBB18_21
; %bb.27:                               ;   in Loop: Header=BB18_22 Depth=1
	s_delay_alu instid0(VALU_DEP_1) | instskip(NEXT) | instid1(SALU_CYCLE_1)
	s_ashr_i32 s17, s16, 31
	s_lshl_b64 s[20:21], s[16:17], 2
	s_delay_alu instid0(SALU_CYCLE_1)
	s_add_u32 s20, s6, s20
	s_addc_u32 s21, s7, s21
	s_load_b32 s3, s[20:21], 0x0
	s_waitcnt lgkmcnt(0)
	v_subrev_f32_e32 v8, s3, v8
	s_branch .LBB18_21
.LBB18_28:
	v_dual_mov_b32 v2, 0 :: v_dual_mov_b32 v1, 0
.LBB18_29:
	s_mov_b32 s2, exec_lo
	v_cmpx_gt_i32_e64 s13, v0
	s_cbranch_execz .LBB18_32
; %bb.30:
	s_clause 0x2
	s_load_b32 s4, s[0:1], 0x34
	s_load_b64 s[2:3], s[0:1], 0x20
	s_load_b32 s0, s[0:1], 0x44
	s_ashr_i32 s1, s15, 31
	s_waitcnt lgkmcnt(0)
	v_mul_f32_e32 v2, s4, v2
	s_mul_i32 s3, s15, s3
	s_mul_hi_u32 s4, s15, s2
	s_mul_i32 s5, s1, s2
	s_add_i32 s3, s4, s3
	s_mul_i32 s1, s15, s2
	s_and_b32 s2, s0, 0xffff
	s_add_i32 s3, s3, s5
	s_mov_b32 s4, 0
	.p2align	6
.LBB18_31:                              ; =>This Inner Loop Header: Depth=1
	v_ashrrev_i32_e32 v4, 31, v0
	v_add_co_u32 v3, vcc_lo, s1, v0
	v_add_nc_u32_e32 v0, s2, v0
	s_delay_alu instid0(VALU_DEP_3) | instskip(NEXT) | instid1(VALU_DEP_2)
	v_add_co_ci_u32_e32 v4, vcc_lo, s3, v4, vcc_lo
	v_cmp_le_i32_e32 vcc_lo, s13, v0
	s_delay_alu instid0(VALU_DEP_2) | instskip(SKIP_1) | instid1(VALU_DEP_1)
	v_lshlrev_b64 v[3:4], 2, v[3:4]
	s_or_b32 s4, vcc_lo, s4
	v_add_co_u32 v5, s0, s8, v3
	s_delay_alu instid0(VALU_DEP_1) | instskip(SKIP_1) | instid1(VALU_DEP_1)
	v_add_co_ci_u32_e64 v6, s0, s9, v4, s0
	v_add_co_u32 v3, s0, s10, v3
	v_add_co_ci_u32_e64 v4, s0, s11, v4, s0
	global_store_b32 v[5:6], v2, off
	global_store_b32 v[3:4], v1, off
	s_and_not1_b32 exec_lo, exec_lo, s4
	s_cbranch_execnz .LBB18_31
.LBB18_32:
	s_nop 0
	s_sendmsg sendmsg(MSG_DEALLOC_VGPRS)
	s_endpgm
	.section	.rodata,"a",@progbits
	.p2align	6, 0x0
	.amdhsa_kernel _ZN5aiter20topk_softplus_kernelIffDv2_fLb0ELi2EEEvPKT_PKT0_PfPimiiif
		.amdhsa_group_segment_fixed_size 0
		.amdhsa_private_segment_fixed_size 0
		.amdhsa_kernarg_size 312
		.amdhsa_user_sgpr_count 15
		.amdhsa_user_sgpr_dispatch_ptr 0
		.amdhsa_user_sgpr_queue_ptr 0
		.amdhsa_user_sgpr_kernarg_segment_ptr 1
		.amdhsa_user_sgpr_dispatch_id 0
		.amdhsa_user_sgpr_private_segment_size 0
		.amdhsa_wavefront_size32 1
		.amdhsa_uses_dynamic_stack 0
		.amdhsa_enable_private_segment 0
		.amdhsa_system_sgpr_workgroup_id_x 1
		.amdhsa_system_sgpr_workgroup_id_y 0
		.amdhsa_system_sgpr_workgroup_id_z 0
		.amdhsa_system_sgpr_workgroup_info 0
		.amdhsa_system_vgpr_workitem_id 0
		.amdhsa_next_free_vgpr 13
		.amdhsa_next_free_sgpr 23
		.amdhsa_reserve_vcc 1
		.amdhsa_float_round_mode_32 0
		.amdhsa_float_round_mode_16_64 0
		.amdhsa_float_denorm_mode_32 3
		.amdhsa_float_denorm_mode_16_64 3
		.amdhsa_dx10_clamp 1
		.amdhsa_ieee_mode 1
		.amdhsa_fp16_overflow 0
		.amdhsa_workgroup_processor_mode 1
		.amdhsa_memory_ordered 1
		.amdhsa_forward_progress 0
		.amdhsa_shared_vgpr_count 0
		.amdhsa_exception_fp_ieee_invalid_op 0
		.amdhsa_exception_fp_denorm_src 0
		.amdhsa_exception_fp_ieee_div_zero 0
		.amdhsa_exception_fp_ieee_overflow 0
		.amdhsa_exception_fp_ieee_underflow 0
		.amdhsa_exception_fp_ieee_inexact 0
		.amdhsa_exception_int_div_zero 0
	.end_amdhsa_kernel
	.section	.text._ZN5aiter20topk_softplus_kernelIffDv2_fLb0ELi2EEEvPKT_PKT0_PfPimiiif,"axG",@progbits,_ZN5aiter20topk_softplus_kernelIffDv2_fLb0ELi2EEEvPKT_PKT0_PfPimiiif,comdat
.Lfunc_end18:
	.size	_ZN5aiter20topk_softplus_kernelIffDv2_fLb0ELi2EEEvPKT_PKT0_PfPimiiif, .Lfunc_end18-_ZN5aiter20topk_softplus_kernelIffDv2_fLb0ELi2EEEvPKT_PKT0_PfPimiiif
                                        ; -- End function
	.section	.AMDGPU.csdata,"",@progbits
; Kernel info:
; codeLenInByte = 1860
; NumSgprs: 25
; NumVgprs: 13
; ScratchSize: 0
; MemoryBound: 0
; FloatMode: 240
; IeeeMode: 1
; LDSByteSize: 0 bytes/workgroup (compile time only)
; SGPRBlocks: 3
; VGPRBlocks: 1
; NumSGPRsForWavesPerEU: 25
; NumVGPRsForWavesPerEU: 13
; Occupancy: 16
; WaveLimiterHint : 0
; COMPUTE_PGM_RSRC2:SCRATCH_EN: 0
; COMPUTE_PGM_RSRC2:USER_SGPR: 15
; COMPUTE_PGM_RSRC2:TRAP_HANDLER: 0
; COMPUTE_PGM_RSRC2:TGID_X_EN: 1
; COMPUTE_PGM_RSRC2:TGID_Y_EN: 0
; COMPUTE_PGM_RSRC2:TGID_Z_EN: 0
; COMPUTE_PGM_RSRC2:TIDIG_COMP_CNT: 0
	.section	.text._ZN5aiter20topk_softplus_kernelIffDv1_fLb1ELi2EEEvPKT_PKT0_PfPimiiif,"axG",@progbits,_ZN5aiter20topk_softplus_kernelIffDv1_fLb1ELi2EEEvPKT_PKT0_PfPimiiif,comdat
	.protected	_ZN5aiter20topk_softplus_kernelIffDv1_fLb1ELi2EEEvPKT_PKT0_PfPimiiif ; -- Begin function _ZN5aiter20topk_softplus_kernelIffDv1_fLb1ELi2EEEvPKT_PKT0_PfPimiiif
	.globl	_ZN5aiter20topk_softplus_kernelIffDv1_fLb1ELi2EEEvPKT_PKT0_PfPimiiif
	.p2align	8
	.type	_ZN5aiter20topk_softplus_kernelIffDv1_fLb1ELi2EEEvPKT_PKT0_PfPimiiif,@function
_ZN5aiter20topk_softplus_kernelIffDv1_fLb1ELi2EEEvPKT_PKT0_PfPimiiif: ; @_ZN5aiter20topk_softplus_kernelIffDv1_fLb1ELi2EEEvPKT_PKT0_PfPimiiif
; %bb.0:
	s_clause 0x1
	s_load_b64 s[12:13], s[0:1], 0x28
	s_load_b256 s[4:11], s[0:1], 0x0
	v_lshl_add_u32 v3, v0, 2, 0
	s_waitcnt lgkmcnt(0)
	s_mul_i32 s16, s15, s12
	v_cmp_gt_i32_e64 s2, s12, v0
	s_ashr_i32 s17, s16, 31
	s_delay_alu instid0(SALU_CYCLE_1) | instskip(NEXT) | instid1(SALU_CYCLE_1)
	s_lshl_b64 s[16:17], s[16:17], 2
	s_add_u32 s3, s4, s16
	s_addc_u32 s4, s5, s17
	s_and_saveexec_b32 s5, s2
	s_cbranch_execz .LBB19_3
; %bb.1:
	s_load_b32 s14, s[0:1], 0x44
	v_lshl_add_u32 v4, v0, 2, 0
	v_mov_b32_e32 v1, v0
	s_mov_b32 s16, 0
	s_waitcnt lgkmcnt(0)
	s_and_b32 s14, s14, 0xffff
	s_delay_alu instid0(SALU_CYCLE_1)
	s_lshl_b32 s17, s14, 2
.LBB19_2:                               ; =>This Inner Loop Header: Depth=1
	v_ashrrev_i32_e32 v2, 31, v1
	s_delay_alu instid0(VALU_DEP_1) | instskip(SKIP_1) | instid1(VALU_DEP_2)
	v_lshlrev_b64 v[5:6], 2, v[1:2]
	v_add_nc_u32_e32 v1, s14, v1
	v_add_co_u32 v5, vcc_lo, s3, v5
	s_delay_alu instid0(VALU_DEP_3) | instskip(NEXT) | instid1(VALU_DEP_3)
	v_add_co_ci_u32_e32 v6, vcc_lo, s4, v6, vcc_lo
	v_cmp_le_i32_e32 vcc_lo, s12, v1
	global_load_b32 v2, v[5:6], off
	s_or_b32 s16, vcc_lo, s16
	s_waitcnt vmcnt(0)
	ds_store_b32 v4, v2
	v_add_nc_u32_e32 v4, s17, v4
	s_and_not1_b32 exec_lo, exec_lo, s16
	s_cbranch_execnz .LBB19_2
.LBB19_3:
	s_or_b32 exec_lo, exec_lo, s5
	v_add_nc_u32_e32 v1, s12, v0
	s_mov_b32 s5, exec_lo
	s_delay_alu instid0(VALU_DEP_1)
	v_cmpx_gt_i32_e64 s12, v1
	s_cbranch_execz .LBB19_6
; %bb.4:
	s_load_b32 s14, s[0:1], 0x44
	v_lshl_add_u32 v4, v1, 2, 0
	s_mov_b32 s16, 0
	s_waitcnt lgkmcnt(0)
	s_and_b32 s14, s14, 0xffff
	s_delay_alu instid0(SALU_CYCLE_1)
	s_lshl_b32 s17, s14, 2
.LBB19_5:                               ; =>This Inner Loop Header: Depth=1
	v_ashrrev_i32_e32 v2, 31, v1
	s_delay_alu instid0(VALU_DEP_1) | instskip(SKIP_1) | instid1(VALU_DEP_2)
	v_lshlrev_b64 v[5:6], 2, v[1:2]
	v_add_nc_u32_e32 v1, s14, v1
	v_add_co_u32 v5, vcc_lo, s3, v5
	s_delay_alu instid0(VALU_DEP_3) | instskip(NEXT) | instid1(VALU_DEP_3)
	v_add_co_ci_u32_e32 v6, vcc_lo, s4, v6, vcc_lo
	v_cmp_le_i32_e32 vcc_lo, s12, v1
	global_load_b32 v2, v[5:6], off
	s_or_b32 s16, vcc_lo, s16
	s_waitcnt vmcnt(0)
	ds_store_b32 v4, v2
	v_add_nc_u32_e32 v4, s17, v4
	s_and_not1_b32 exec_lo, exec_lo, s16
	s_cbranch_execnz .LBB19_5
.LBB19_6:
	s_or_b32 exec_lo, exec_lo, s5
	v_mov_b32_e32 v2, 0xff800000
	s_waitcnt lgkmcnt(0)
	s_barrier
	buffer_gl0_inv
	s_and_saveexec_b32 s3, s2
	s_cbranch_execz .LBB19_10
; %bb.7:
	s_load_b32 s4, s[0:1], 0x44
	v_lshl_add_u32 v1, v0, 2, 0
	v_mov_b32_e32 v2, 0xff800000
	v_mov_b32_e32 v4, v0
	s_waitcnt lgkmcnt(0)
	s_and_b32 s5, s4, 0xffff
	s_mov_b32 s4, 0
	s_lshl_b32 s14, s5, 2
.LBB19_8:                               ; =>This Inner Loop Header: Depth=1
	ds_load_b32 v5, v1
	v_add_nc_u32_e32 v4, s5, v4
	v_dual_max_f32 v2, v2, v2 :: v_dual_add_nc_u32 v1, s14, v1
	s_waitcnt lgkmcnt(0)
	v_max_f32_e32 v5, v5, v5
	s_delay_alu instid0(VALU_DEP_3) | instskip(NEXT) | instid1(VALU_DEP_2)
	v_cmp_le_i32_e32 vcc_lo, s12, v4
	v_max_f32_e32 v2, v2, v5
	s_or_b32 s4, vcc_lo, s4
	s_delay_alu instid0(SALU_CYCLE_1)
	s_and_not1_b32 exec_lo, exec_lo, s4
	s_cbranch_execnz .LBB19_8
; %bb.9:
	s_or_b32 exec_lo, exec_lo, s4
.LBB19_10:
	s_delay_alu instid0(SALU_CYCLE_1)
	s_or_b32 exec_lo, exec_lo, s3
	v_mov_b32_e32 v1, 0
	;;#ASMSTART
	v_max_f32 v4, v2, v2 quad_perm:[1,0,3,2] row_mask:0xf bank_mask:0xf bound_ctrl:1
	;;#ASMEND
	;;#ASMSTART
	v_max_f32 v2, v4, v4 quad_perm:[2,3,0,1] row_mask:0xf bank_mask:0xf bound_ctrl:1
	;;#ASMEND
	;;#ASMSTART
	v_max_f32 v4, v2, v2 row_half_mirror row_mask:0xf bank_mask:0xf bound_ctrl:1
	;;#ASMEND
	;;#ASMSTART
	v_max_f32 v2, v4, v4 row_mirror row_mask:0xf bank_mask:0xf bound_ctrl:1
	;;#ASMEND
	s_and_saveexec_b32 s3, s2
	s_cbranch_execz .LBB19_14
; %bb.11:
	s_load_b32 s4, s[0:1], 0x44
	s_mov_b32 s5, 0x76543210
	v_lshl_add_u32 v4, v0, 2, 0
	v_permlanex16_b32 v1, v2, s5, 0xfedcba98 op_sel:[1,1]
	v_dual_mov_b32 v5, v0 :: v_dual_max_f32 v2, v2, v2
	s_delay_alu instid0(VALU_DEP_2) | instskip(NEXT) | instid1(VALU_DEP_1)
	v_max_f32_e32 v1, v1, v1
	v_dual_max_f32 v2, v2, v1 :: v_dual_mov_b32 v1, 0
	s_waitcnt lgkmcnt(0)
	s_and_b32 s5, s4, 0xffff
	s_mov_b32 s4, 0
	s_lshl_b32 s14, s5, 2
	.p2align	6
.LBB19_12:                              ; =>This Inner Loop Header: Depth=1
	ds_load_b32 v6, v4
	s_waitcnt lgkmcnt(0)
	v_dual_sub_f32 v6, v6, v2 :: v_dual_add_nc_u32 v5, s5, v5
	s_delay_alu instid0(VALU_DEP_1) | instskip(NEXT) | instid1(VALU_DEP_1)
	v_mul_f32_e32 v7, 0x3fb8aa3b, v6
	v_cmp_gt_f32_e32 vcc_lo, 0xc2fc0000, v7
	v_cndmask_b32_e64 v7, 0, 0x42800000, vcc_lo
	s_delay_alu instid0(VALU_DEP_1) | instskip(NEXT) | instid1(VALU_DEP_1)
	v_fmac_f32_e32 v7, 0x3fb8aa3b, v6
	v_exp_f32_e32 v6, v7
	v_cndmask_b32_e64 v7, 1.0, 0x1f800000, vcc_lo
	v_cmp_le_i32_e32 vcc_lo, s12, v5
	s_or_b32 s4, vcc_lo, s4
	s_waitcnt_depctr 0xfff
	v_mul_f32_e32 v8, v6, v7
	v_fmac_f32_e32 v1, v6, v7
	ds_store_b32 v4, v8
	v_add_nc_u32_e32 v4, s14, v4
	s_and_not1_b32 exec_lo, exec_lo, s4
	s_cbranch_execnz .LBB19_12
; %bb.13:
	s_or_b32 exec_lo, exec_lo, s4
.LBB19_14:
	s_delay_alu instid0(SALU_CYCLE_1) | instskip(SKIP_1) | instid1(VALU_DEP_1)
	s_or_b32 exec_lo, exec_lo, s3
	v_mov_b32_dpp v2, v1 quad_perm:[1,0,3,2] row_mask:0xf bank_mask:0xf
	v_add_f32_e32 v1, v1, v2
	s_delay_alu instid0(VALU_DEP_1) | instskip(NEXT) | instid1(VALU_DEP_1)
	v_mov_b32_dpp v2, v1 quad_perm:[2,3,0,1] row_mask:0xf bank_mask:0xf
	v_add_f32_e32 v1, v1, v2
	s_delay_alu instid0(VALU_DEP_1) | instskip(NEXT) | instid1(VALU_DEP_1)
	v_mov_b32_dpp v2, v1 row_xmask:7 row_mask:0xf bank_mask:0xf
	v_add_f32_e32 v1, v1, v2
	s_delay_alu instid0(VALU_DEP_1)
	v_mov_b32_dpp v2, v1 row_xmask:15 row_mask:0xf bank_mask:0xf
	s_and_saveexec_b32 s3, s2
	s_cbranch_execz .LBB19_19
; %bb.15:
	s_delay_alu instid0(VALU_DEP_1)
	v_add_f32_e32 v1, v1, v2
	s_load_b32 s5, s[0:1], 0x44
	s_mov_b32 s4, 0x76543210
	s_cmp_lg_u64 s[6:7], 0
	v_lshl_add_u32 v5, v0, 2, 0
	v_permlanex16_b32 v2, v1, s4, 0xfedcba98 op_sel:[1,1]
	s_cselect_b32 s4, -1, 0
	s_mov_b32 s14, 0
	s_delay_alu instid0(VALU_DEP_1) | instskip(NEXT) | instid1(VALU_DEP_1)
	v_add_f32_e32 v1, v1, v2
	v_rcp_f32_e32 v4, v1
	v_mov_b32_e32 v1, v0
	s_waitcnt lgkmcnt(0)
	s_and_b32 s5, s5, 0xffff
	s_delay_alu instid0(SALU_CYCLE_1)
	s_lshl_b32 s16, s5, 2
	s_set_inst_prefetch_distance 0x1
	s_branch .LBB19_17
	.p2align	6
.LBB19_16:                              ;   in Loop: Header=BB19_17 Depth=1
	v_add_nc_u32_e32 v1, s5, v1
	v_add_nc_u32_e32 v5, s16, v5
	s_delay_alu instid0(VALU_DEP_2) | instskip(SKIP_1) | instid1(SALU_CYCLE_1)
	v_cmp_le_i32_e32 vcc_lo, s12, v1
	s_or_b32 s14, vcc_lo, s14
	s_and_not1_b32 exec_lo, exec_lo, s14
	s_cbranch_execz .LBB19_19
.LBB19_17:                              ; =>This Inner Loop Header: Depth=1
	ds_load_b32 v2, v5
	s_and_not1_b32 vcc_lo, exec_lo, s4
	s_waitcnt lgkmcnt(0)
	v_mul_f32_e32 v6, v4, v2
	ds_store_b32 v5, v6
	s_cbranch_vccnz .LBB19_16
; %bb.18:                               ;   in Loop: Header=BB19_17 Depth=1
	v_ashrrev_i32_e32 v2, 31, v1
	s_delay_alu instid0(VALU_DEP_1) | instskip(NEXT) | instid1(VALU_DEP_1)
	v_lshlrev_b64 v[7:8], 2, v[1:2]
	v_add_co_u32 v7, vcc_lo, s6, v7
	s_delay_alu instid0(VALU_DEP_2)
	v_add_co_ci_u32_e32 v8, vcc_lo, s7, v8, vcc_lo
	global_load_b32 v2, v[7:8], off
	s_waitcnt vmcnt(0)
	v_add_f32_e32 v2, v6, v2
	ds_store_b32 v5, v2
	s_branch .LBB19_16
.LBB19_19:
	s_set_inst_prefetch_distance 0x2
	s_or_b32 exec_lo, exec_lo, s3
	v_mov_b32_e32 v2, 0
	s_cmp_lt_i32 s13, 1
	s_waitcnt lgkmcnt(0)
	s_barrier
	buffer_gl0_inv
	s_cbranch_scc1 .LBB19_28
; %bb.20:
	s_add_u32 s4, s0, 56
	s_addc_u32 s5, s1, 0
	v_dual_mov_b32 v2, 0 :: v_dual_mov_b32 v5, 0xff800000
	v_dual_mov_b32 v1, 0 :: v_dual_mov_b32 v4, 0
	s_cmp_lg_u64 s[6:7], 0
	s_mov_b32 s14, 0
	s_cselect_b32 s3, -1, 0
	s_mov_b32 s18, 0x76543210
	s_branch .LBB19_22
.LBB19_21:                              ;   in Loop: Header=BB19_22 Depth=1
	v_cmp_eq_u32_e32 vcc_lo, s14, v0
	s_delay_alu instid0(VALU_DEP_2) | instskip(NEXT) | instid1(VALU_DEP_2)
	s_lshl_b32 s17, s16, 2
	v_add_f32_e32 v4, v4, v8
	s_add_i32 s17, s17, 0
	s_add_i32 s14, s14, 1
	v_cndmask_b32_e64 v1, v1, s16, vcc_lo
	v_mov_b32_e32 v6, s17
	v_cndmask_b32_e32 v2, v2, v8, vcc_lo
	s_cmp_eq_u32 s14, s13
	ds_store_b32 v6, v5
	s_cbranch_scc1 .LBB19_29
.LBB19_22:                              ; =>This Loop Header: Depth=1
                                        ;     Child Loop BB19_24 Depth 2
	v_dual_mov_b32 v6, s14 :: v_dual_mov_b32 v7, 0xff800000
	s_and_saveexec_b32 s16, s2
	s_cbranch_execz .LBB19_26
; %bb.23:                               ;   in Loop: Header=BB19_22 Depth=1
	s_load_b32 s17, s[4:5], 0xc
	v_dual_mov_b32 v6, s14 :: v_dual_mov_b32 v7, 0xff800000
	v_dual_mov_b32 v8, v3 :: v_dual_mov_b32 v9, v0
	s_mov_b32 s19, 0
	s_waitcnt lgkmcnt(0)
	s_and_b32 s17, s17, 0xffff
	s_delay_alu instid0(SALU_CYCLE_1)
	s_lshl_b32 s20, s17, 2
.LBB19_24:                              ;   Parent Loop BB19_22 Depth=1
                                        ; =>  This Inner Loop Header: Depth=2
	ds_load_b32 v10, v8
	v_add_nc_u32_e32 v8, s20, v8
	s_waitcnt lgkmcnt(0)
	v_cmp_gt_f32_e32 vcc_lo, v10, v7
	v_dual_cndmask_b32 v7, v7, v10 :: v_dual_cndmask_b32 v6, v6, v9
	v_add_nc_u32_e32 v9, s17, v9
	s_delay_alu instid0(VALU_DEP_1) | instskip(SKIP_1) | instid1(SALU_CYCLE_1)
	v_cmp_le_i32_e32 vcc_lo, s12, v9
	s_or_b32 s19, vcc_lo, s19
	s_and_not1_b32 exec_lo, exec_lo, s19
	s_cbranch_execnz .LBB19_24
; %bb.25:                               ;   in Loop: Header=BB19_22 Depth=1
	s_or_b32 exec_lo, exec_lo, s19
.LBB19_26:                              ;   in Loop: Header=BB19_22 Depth=1
	s_delay_alu instid0(SALU_CYCLE_1)
	s_or_b32 exec_lo, exec_lo, s16
	;;#ASMSTART
	v_max_f32 v8, v7, v7 quad_perm:[1,0,3,2] row_mask:0xf bank_mask:0xf bound_ctrl:1
	;;#ASMEND
	;;#ASMSTART
	v_max_f32 v9, v8, v8 quad_perm:[2,3,0,1] row_mask:0xf bank_mask:0xf bound_ctrl:1
	;;#ASMEND
	;;#ASMSTART
	v_max_f32 v8, v9, v9 row_half_mirror row_mask:0xf bank_mask:0xf bound_ctrl:1
	;;#ASMEND
	;;#ASMSTART
	v_max_f32 v9, v8, v8 row_mirror row_mask:0xf bank_mask:0xf bound_ctrl:1
	;;#ASMEND
	v_permlanex16_b32 v8, v9, s18, 0xfedcba98 op_sel:[1,1]
	s_delay_alu instid0(VALU_DEP_1) | instskip(NEXT) | instid1(VALU_DEP_1)
	v_dual_max_f32 v9, v9, v9 :: v_dual_max_f32 v8, v8, v8
	v_max_f32_e32 v8, v9, v8
	s_delay_alu instid0(VALU_DEP_1)
	v_cmp_eq_f32_e32 vcc_lo, v7, v8
	s_ctz_i32_b32 s16, vcc_lo
	s_cmp_lg_u32 vcc_lo, 0
	s_cselect_b32 s16, s16, 0
	s_and_b32 vcc_lo, exec_lo, s3
	v_readlane_b32 s16, v6, s16
	s_cbranch_vccz .LBB19_21
; %bb.27:                               ;   in Loop: Header=BB19_22 Depth=1
	s_delay_alu instid0(VALU_DEP_1) | instskip(NEXT) | instid1(SALU_CYCLE_1)
	s_ashr_i32 s17, s16, 31
	s_lshl_b64 s[20:21], s[16:17], 2
	s_delay_alu instid0(SALU_CYCLE_1)
	s_add_u32 s20, s6, s20
	s_addc_u32 s21, s7, s21
	s_load_b32 s17, s[20:21], 0x0
	s_waitcnt lgkmcnt(0)
	v_subrev_f32_e32 v8, s17, v8
	s_branch .LBB19_21
.LBB19_28:
	v_dual_mov_b32 v1, 0 :: v_dual_mov_b32 v4, 0
.LBB19_29:
	s_mov_b32 s2, exec_lo
	v_cmpx_gt_i32_e64 s13, v0
	s_cbranch_execz .LBB19_32
; %bb.30:
	s_clause 0x1
	s_load_b32 s2, s[0:1], 0x34
	s_load_b32 s3, s[0:1], 0x44
	v_max_f32_e32 v3, v4, v4
	s_load_b64 s[0:1], s[0:1], 0x20
	s_ashr_i32 s4, s15, 31
	s_delay_alu instid0(VALU_DEP_1) | instskip(SKIP_1) | instid1(VALU_DEP_1)
	v_max_f32_e32 v3, 0x1e3ce508, v3
	s_waitcnt lgkmcnt(0)
	v_div_scale_f32 v4, null, v3, v3, s2
	v_div_scale_f32 v7, vcc_lo, s2, v3, s2
	s_mul_i32 s1, s15, s1
	s_delay_alu instid0(VALU_DEP_2) | instskip(SKIP_4) | instid1(VALU_DEP_1)
	v_rcp_f32_e32 v5, v4
	s_mul_i32 s4, s4, s0
	s_and_b32 s3, s3, 0xffff
	s_waitcnt_depctr 0xfff
	v_fma_f32 v6, -v4, v5, 1.0
	v_fmac_f32_e32 v5, v6, v5
	s_delay_alu instid0(VALU_DEP_1) | instskip(NEXT) | instid1(VALU_DEP_1)
	v_mul_f32_e32 v6, v7, v5
	v_fma_f32 v8, -v4, v6, v7
	s_delay_alu instid0(VALU_DEP_1) | instskip(NEXT) | instid1(VALU_DEP_1)
	v_fmac_f32_e32 v6, v8, v5
	v_fma_f32 v4, -v4, v6, v7
	s_delay_alu instid0(VALU_DEP_1) | instskip(NEXT) | instid1(VALU_DEP_1)
	v_div_fmas_f32 v4, v4, v5, v6
	v_div_fixup_f32 v3, v4, v3, s2
	s_mul_hi_u32 s2, s15, s0
	s_delay_alu instid0(SALU_CYCLE_1) | instskip(SKIP_1) | instid1(VALU_DEP_1)
	s_add_i32 s1, s2, s1
	s_mul_i32 s2, s15, s0
	v_mul_f32_e32 v2, v2, v3
	s_add_i32 s1, s1, s4
	s_mov_b32 s4, 0
	.p2align	6
.LBB19_31:                              ; =>This Inner Loop Header: Depth=1
	v_ashrrev_i32_e32 v4, 31, v0
	v_add_co_u32 v3, vcc_lo, s2, v0
	v_add_nc_u32_e32 v0, s3, v0
	s_delay_alu instid0(VALU_DEP_3) | instskip(NEXT) | instid1(VALU_DEP_2)
	v_add_co_ci_u32_e32 v4, vcc_lo, s1, v4, vcc_lo
	v_cmp_le_i32_e32 vcc_lo, s13, v0
	s_delay_alu instid0(VALU_DEP_2) | instskip(SKIP_1) | instid1(VALU_DEP_1)
	v_lshlrev_b64 v[3:4], 2, v[3:4]
	s_or_b32 s4, vcc_lo, s4
	v_add_co_u32 v5, s0, s8, v3
	s_delay_alu instid0(VALU_DEP_1) | instskip(SKIP_1) | instid1(VALU_DEP_1)
	v_add_co_ci_u32_e64 v6, s0, s9, v4, s0
	v_add_co_u32 v3, s0, s10, v3
	v_add_co_ci_u32_e64 v4, s0, s11, v4, s0
	global_store_b32 v[5:6], v2, off
	global_store_b32 v[3:4], v1, off
	s_and_not1_b32 exec_lo, exec_lo, s4
	s_cbranch_execnz .LBB19_31
.LBB19_32:
	s_nop 0
	s_sendmsg sendmsg(MSG_DEALLOC_VGPRS)
	s_endpgm
	.section	.rodata,"a",@progbits
	.p2align	6, 0x0
	.amdhsa_kernel _ZN5aiter20topk_softplus_kernelIffDv1_fLb1ELi2EEEvPKT_PKT0_PfPimiiif
		.amdhsa_group_segment_fixed_size 0
		.amdhsa_private_segment_fixed_size 0
		.amdhsa_kernarg_size 312
		.amdhsa_user_sgpr_count 15
		.amdhsa_user_sgpr_dispatch_ptr 0
		.amdhsa_user_sgpr_queue_ptr 0
		.amdhsa_user_sgpr_kernarg_segment_ptr 1
		.amdhsa_user_sgpr_dispatch_id 0
		.amdhsa_user_sgpr_private_segment_size 0
		.amdhsa_wavefront_size32 1
		.amdhsa_uses_dynamic_stack 0
		.amdhsa_enable_private_segment 0
		.amdhsa_system_sgpr_workgroup_id_x 1
		.amdhsa_system_sgpr_workgroup_id_y 0
		.amdhsa_system_sgpr_workgroup_id_z 0
		.amdhsa_system_sgpr_workgroup_info 0
		.amdhsa_system_vgpr_workitem_id 0
		.amdhsa_next_free_vgpr 11
		.amdhsa_next_free_sgpr 22
		.amdhsa_reserve_vcc 1
		.amdhsa_float_round_mode_32 0
		.amdhsa_float_round_mode_16_64 0
		.amdhsa_float_denorm_mode_32 3
		.amdhsa_float_denorm_mode_16_64 3
		.amdhsa_dx10_clamp 1
		.amdhsa_ieee_mode 1
		.amdhsa_fp16_overflow 0
		.amdhsa_workgroup_processor_mode 1
		.amdhsa_memory_ordered 1
		.amdhsa_forward_progress 0
		.amdhsa_shared_vgpr_count 0
		.amdhsa_exception_fp_ieee_invalid_op 0
		.amdhsa_exception_fp_denorm_src 0
		.amdhsa_exception_fp_ieee_div_zero 0
		.amdhsa_exception_fp_ieee_overflow 0
		.amdhsa_exception_fp_ieee_underflow 0
		.amdhsa_exception_fp_ieee_inexact 0
		.amdhsa_exception_int_div_zero 0
	.end_amdhsa_kernel
	.section	.text._ZN5aiter20topk_softplus_kernelIffDv1_fLb1ELi2EEEvPKT_PKT0_PfPimiiif,"axG",@progbits,_ZN5aiter20topk_softplus_kernelIffDv1_fLb1ELi2EEEvPKT_PKT0_PfPimiiif,comdat
.Lfunc_end19:
	.size	_ZN5aiter20topk_softplus_kernelIffDv1_fLb1ELi2EEEvPKT_PKT0_PfPimiiif, .Lfunc_end19-_ZN5aiter20topk_softplus_kernelIffDv1_fLb1ELi2EEEvPKT_PKT0_PfPimiiif
                                        ; -- End function
	.section	.AMDGPU.csdata,"",@progbits
; Kernel info:
; codeLenInByte = 1872
; NumSgprs: 24
; NumVgprs: 11
; ScratchSize: 0
; MemoryBound: 0
; FloatMode: 240
; IeeeMode: 1
; LDSByteSize: 0 bytes/workgroup (compile time only)
; SGPRBlocks: 2
; VGPRBlocks: 1
; NumSGPRsForWavesPerEU: 24
; NumVGPRsForWavesPerEU: 11
; Occupancy: 16
; WaveLimiterHint : 0
; COMPUTE_PGM_RSRC2:SCRATCH_EN: 0
; COMPUTE_PGM_RSRC2:USER_SGPR: 15
; COMPUTE_PGM_RSRC2:TRAP_HANDLER: 0
; COMPUTE_PGM_RSRC2:TGID_X_EN: 1
; COMPUTE_PGM_RSRC2:TGID_Y_EN: 0
; COMPUTE_PGM_RSRC2:TGID_Z_EN: 0
; COMPUTE_PGM_RSRC2:TIDIG_COMP_CNT: 0
	.section	.text._ZN5aiter20topk_softplus_kernelIffDv1_fLb0ELi2EEEvPKT_PKT0_PfPimiiif,"axG",@progbits,_ZN5aiter20topk_softplus_kernelIffDv1_fLb0ELi2EEEvPKT_PKT0_PfPimiiif,comdat
	.protected	_ZN5aiter20topk_softplus_kernelIffDv1_fLb0ELi2EEEvPKT_PKT0_PfPimiiif ; -- Begin function _ZN5aiter20topk_softplus_kernelIffDv1_fLb0ELi2EEEvPKT_PKT0_PfPimiiif
	.globl	_ZN5aiter20topk_softplus_kernelIffDv1_fLb0ELi2EEEvPKT_PKT0_PfPimiiif
	.p2align	8
	.type	_ZN5aiter20topk_softplus_kernelIffDv1_fLb0ELi2EEEvPKT_PKT0_PfPimiiif,@function
_ZN5aiter20topk_softplus_kernelIffDv1_fLb0ELi2EEEvPKT_PKT0_PfPimiiif: ; @_ZN5aiter20topk_softplus_kernelIffDv1_fLb0ELi2EEEvPKT_PKT0_PfPimiiif
; %bb.0:
	s_clause 0x1
	s_load_b64 s[12:13], s[0:1], 0x28
	s_load_b256 s[4:11], s[0:1], 0x0
	v_lshl_add_u32 v3, v0, 2, 0
	s_waitcnt lgkmcnt(0)
	s_mul_i32 s16, s15, s12
	v_cmp_gt_i32_e64 s2, s12, v0
	s_ashr_i32 s17, s16, 31
	s_delay_alu instid0(SALU_CYCLE_1) | instskip(NEXT) | instid1(SALU_CYCLE_1)
	s_lshl_b64 s[16:17], s[16:17], 2
	s_add_u32 s3, s4, s16
	s_addc_u32 s4, s5, s17
	s_and_saveexec_b32 s5, s2
	s_cbranch_execz .LBB20_3
; %bb.1:
	s_load_b32 s14, s[0:1], 0x44
	v_lshl_add_u32 v4, v0, 2, 0
	v_mov_b32_e32 v1, v0
	s_mov_b32 s16, 0
	s_waitcnt lgkmcnt(0)
	s_and_b32 s14, s14, 0xffff
	s_delay_alu instid0(SALU_CYCLE_1)
	s_lshl_b32 s17, s14, 2
.LBB20_2:                               ; =>This Inner Loop Header: Depth=1
	v_ashrrev_i32_e32 v2, 31, v1
	s_delay_alu instid0(VALU_DEP_1) | instskip(SKIP_1) | instid1(VALU_DEP_2)
	v_lshlrev_b64 v[5:6], 2, v[1:2]
	v_add_nc_u32_e32 v1, s14, v1
	v_add_co_u32 v5, vcc_lo, s3, v5
	s_delay_alu instid0(VALU_DEP_3) | instskip(NEXT) | instid1(VALU_DEP_3)
	v_add_co_ci_u32_e32 v6, vcc_lo, s4, v6, vcc_lo
	v_cmp_le_i32_e32 vcc_lo, s12, v1
	global_load_b32 v2, v[5:6], off
	s_or_b32 s16, vcc_lo, s16
	s_waitcnt vmcnt(0)
	ds_store_b32 v4, v2
	v_add_nc_u32_e32 v4, s17, v4
	s_and_not1_b32 exec_lo, exec_lo, s16
	s_cbranch_execnz .LBB20_2
.LBB20_3:
	s_or_b32 exec_lo, exec_lo, s5
	v_add_nc_u32_e32 v1, s12, v0
	s_mov_b32 s5, exec_lo
	s_delay_alu instid0(VALU_DEP_1)
	v_cmpx_gt_i32_e64 s12, v1
	s_cbranch_execz .LBB20_6
; %bb.4:
	s_load_b32 s14, s[0:1], 0x44
	v_lshl_add_u32 v4, v1, 2, 0
	s_mov_b32 s16, 0
	s_waitcnt lgkmcnt(0)
	s_and_b32 s14, s14, 0xffff
	s_delay_alu instid0(SALU_CYCLE_1)
	s_lshl_b32 s17, s14, 2
.LBB20_5:                               ; =>This Inner Loop Header: Depth=1
	v_ashrrev_i32_e32 v2, 31, v1
	s_delay_alu instid0(VALU_DEP_1) | instskip(SKIP_1) | instid1(VALU_DEP_2)
	v_lshlrev_b64 v[5:6], 2, v[1:2]
	v_add_nc_u32_e32 v1, s14, v1
	v_add_co_u32 v5, vcc_lo, s3, v5
	s_delay_alu instid0(VALU_DEP_3) | instskip(NEXT) | instid1(VALU_DEP_3)
	v_add_co_ci_u32_e32 v6, vcc_lo, s4, v6, vcc_lo
	v_cmp_le_i32_e32 vcc_lo, s12, v1
	global_load_b32 v2, v[5:6], off
	s_or_b32 s16, vcc_lo, s16
	s_waitcnt vmcnt(0)
	ds_store_b32 v4, v2
	v_add_nc_u32_e32 v4, s17, v4
	s_and_not1_b32 exec_lo, exec_lo, s16
	s_cbranch_execnz .LBB20_5
.LBB20_6:
	s_or_b32 exec_lo, exec_lo, s5
	v_mov_b32_e32 v2, 0xff800000
	s_waitcnt lgkmcnt(0)
	s_barrier
	buffer_gl0_inv
	s_and_saveexec_b32 s3, s2
	s_cbranch_execz .LBB20_10
; %bb.7:
	s_load_b32 s4, s[0:1], 0x44
	v_lshl_add_u32 v1, v0, 2, 0
	v_mov_b32_e32 v2, 0xff800000
	v_mov_b32_e32 v4, v0
	s_waitcnt lgkmcnt(0)
	s_and_b32 s5, s4, 0xffff
	s_mov_b32 s4, 0
	s_lshl_b32 s14, s5, 2
.LBB20_8:                               ; =>This Inner Loop Header: Depth=1
	ds_load_b32 v5, v1
	v_add_nc_u32_e32 v4, s5, v4
	v_dual_max_f32 v2, v2, v2 :: v_dual_add_nc_u32 v1, s14, v1
	s_waitcnt lgkmcnt(0)
	v_max_f32_e32 v5, v5, v5
	s_delay_alu instid0(VALU_DEP_3) | instskip(NEXT) | instid1(VALU_DEP_2)
	v_cmp_le_i32_e32 vcc_lo, s12, v4
	v_max_f32_e32 v2, v2, v5
	s_or_b32 s4, vcc_lo, s4
	s_delay_alu instid0(SALU_CYCLE_1)
	s_and_not1_b32 exec_lo, exec_lo, s4
	s_cbranch_execnz .LBB20_8
; %bb.9:
	s_or_b32 exec_lo, exec_lo, s4
.LBB20_10:
	s_delay_alu instid0(SALU_CYCLE_1)
	s_or_b32 exec_lo, exec_lo, s3
	v_mov_b32_e32 v1, 0
	;;#ASMSTART
	v_max_f32 v4, v2, v2 quad_perm:[1,0,3,2] row_mask:0xf bank_mask:0xf bound_ctrl:1
	;;#ASMEND
	;;#ASMSTART
	v_max_f32 v2, v4, v4 quad_perm:[2,3,0,1] row_mask:0xf bank_mask:0xf bound_ctrl:1
	;;#ASMEND
	;;#ASMSTART
	v_max_f32 v4, v2, v2 row_half_mirror row_mask:0xf bank_mask:0xf bound_ctrl:1
	;;#ASMEND
	;;#ASMSTART
	v_max_f32 v2, v4, v4 row_mirror row_mask:0xf bank_mask:0xf bound_ctrl:1
	;;#ASMEND
	s_and_saveexec_b32 s3, s2
	s_cbranch_execz .LBB20_14
; %bb.11:
	s_load_b32 s4, s[0:1], 0x44
	s_mov_b32 s5, 0x76543210
	v_lshl_add_u32 v4, v0, 2, 0
	v_permlanex16_b32 v1, v2, s5, 0xfedcba98 op_sel:[1,1]
	v_dual_mov_b32 v5, v0 :: v_dual_max_f32 v2, v2, v2
	s_delay_alu instid0(VALU_DEP_2) | instskip(NEXT) | instid1(VALU_DEP_1)
	v_max_f32_e32 v1, v1, v1
	v_dual_max_f32 v2, v2, v1 :: v_dual_mov_b32 v1, 0
	s_waitcnt lgkmcnt(0)
	s_and_b32 s5, s4, 0xffff
	s_mov_b32 s4, 0
	s_lshl_b32 s14, s5, 2
	.p2align	6
.LBB20_12:                              ; =>This Inner Loop Header: Depth=1
	ds_load_b32 v6, v4
	s_waitcnt lgkmcnt(0)
	v_dual_sub_f32 v6, v6, v2 :: v_dual_add_nc_u32 v5, s5, v5
	s_delay_alu instid0(VALU_DEP_1) | instskip(NEXT) | instid1(VALU_DEP_1)
	v_mul_f32_e32 v7, 0x3fb8aa3b, v6
	v_cmp_gt_f32_e32 vcc_lo, 0xc2fc0000, v7
	v_cndmask_b32_e64 v7, 0, 0x42800000, vcc_lo
	s_delay_alu instid0(VALU_DEP_1) | instskip(NEXT) | instid1(VALU_DEP_1)
	v_fmac_f32_e32 v7, 0x3fb8aa3b, v6
	v_exp_f32_e32 v6, v7
	v_cndmask_b32_e64 v7, 1.0, 0x1f800000, vcc_lo
	v_cmp_le_i32_e32 vcc_lo, s12, v5
	s_or_b32 s4, vcc_lo, s4
	s_waitcnt_depctr 0xfff
	v_mul_f32_e32 v8, v6, v7
	v_fmac_f32_e32 v1, v6, v7
	ds_store_b32 v4, v8
	v_add_nc_u32_e32 v4, s14, v4
	s_and_not1_b32 exec_lo, exec_lo, s4
	s_cbranch_execnz .LBB20_12
; %bb.13:
	s_or_b32 exec_lo, exec_lo, s4
.LBB20_14:
	s_delay_alu instid0(SALU_CYCLE_1) | instskip(SKIP_1) | instid1(VALU_DEP_1)
	s_or_b32 exec_lo, exec_lo, s3
	v_mov_b32_dpp v2, v1 quad_perm:[1,0,3,2] row_mask:0xf bank_mask:0xf
	v_add_f32_e32 v1, v1, v2
	s_delay_alu instid0(VALU_DEP_1) | instskip(NEXT) | instid1(VALU_DEP_1)
	v_mov_b32_dpp v2, v1 quad_perm:[2,3,0,1] row_mask:0xf bank_mask:0xf
	v_add_f32_e32 v1, v1, v2
	s_delay_alu instid0(VALU_DEP_1) | instskip(NEXT) | instid1(VALU_DEP_1)
	v_mov_b32_dpp v2, v1 row_xmask:7 row_mask:0xf bank_mask:0xf
	v_add_f32_e32 v1, v1, v2
	s_delay_alu instid0(VALU_DEP_1)
	v_mov_b32_dpp v2, v1 row_xmask:15 row_mask:0xf bank_mask:0xf
	s_and_saveexec_b32 s3, s2
	s_cbranch_execz .LBB20_19
; %bb.15:
	s_delay_alu instid0(VALU_DEP_1)
	v_add_f32_e32 v1, v1, v2
	s_load_b32 s5, s[0:1], 0x44
	s_mov_b32 s4, 0x76543210
	s_cmp_lg_u64 s[6:7], 0
	v_lshl_add_u32 v5, v0, 2, 0
	v_permlanex16_b32 v2, v1, s4, 0xfedcba98 op_sel:[1,1]
	s_cselect_b32 s4, -1, 0
	s_mov_b32 s14, 0
	s_delay_alu instid0(VALU_DEP_1) | instskip(NEXT) | instid1(VALU_DEP_1)
	v_add_f32_e32 v1, v1, v2
	v_rcp_f32_e32 v4, v1
	v_mov_b32_e32 v1, v0
	s_waitcnt lgkmcnt(0)
	s_and_b32 s5, s5, 0xffff
	s_delay_alu instid0(SALU_CYCLE_1)
	s_lshl_b32 s16, s5, 2
	s_set_inst_prefetch_distance 0x1
	s_branch .LBB20_17
	.p2align	6
.LBB20_16:                              ;   in Loop: Header=BB20_17 Depth=1
	v_add_nc_u32_e32 v1, s5, v1
	v_add_nc_u32_e32 v5, s16, v5
	s_delay_alu instid0(VALU_DEP_2) | instskip(SKIP_1) | instid1(SALU_CYCLE_1)
	v_cmp_le_i32_e32 vcc_lo, s12, v1
	s_or_b32 s14, vcc_lo, s14
	s_and_not1_b32 exec_lo, exec_lo, s14
	s_cbranch_execz .LBB20_19
.LBB20_17:                              ; =>This Inner Loop Header: Depth=1
	ds_load_b32 v2, v5
	s_and_not1_b32 vcc_lo, exec_lo, s4
	s_waitcnt lgkmcnt(0)
	v_mul_f32_e32 v6, v4, v2
	ds_store_b32 v5, v6
	s_cbranch_vccnz .LBB20_16
; %bb.18:                               ;   in Loop: Header=BB20_17 Depth=1
	v_ashrrev_i32_e32 v2, 31, v1
	s_delay_alu instid0(VALU_DEP_1) | instskip(NEXT) | instid1(VALU_DEP_1)
	v_lshlrev_b64 v[7:8], 2, v[1:2]
	v_add_co_u32 v7, vcc_lo, s6, v7
	s_delay_alu instid0(VALU_DEP_2)
	v_add_co_ci_u32_e32 v8, vcc_lo, s7, v8, vcc_lo
	global_load_b32 v2, v[7:8], off
	s_waitcnt vmcnt(0)
	v_add_f32_e32 v2, v6, v2
	ds_store_b32 v5, v2
	s_branch .LBB20_16
.LBB20_19:
	s_set_inst_prefetch_distance 0x2
	s_or_b32 exec_lo, exec_lo, s3
	s_cmp_lt_i32 s13, 1
	s_waitcnt lgkmcnt(0)
	s_barrier
	buffer_gl0_inv
	s_cbranch_scc1 .LBB20_28
; %bb.20:
	s_add_u32 s4, s0, 56
	s_addc_u32 s5, s1, 0
	v_dual_mov_b32 v2, 0 :: v_dual_mov_b32 v1, 0
	v_mov_b32_e32 v4, 0xff800000
	s_cmp_lg_u64 s[6:7], 0
	s_mov_b32 s14, 0
	s_cselect_b32 s3, -1, 0
	s_mov_b32 s18, 0x76543210
	s_branch .LBB20_22
.LBB20_21:                              ;   in Loop: Header=BB20_22 Depth=1
	v_cmp_eq_u32_e32 vcc_lo, s14, v0
	s_delay_alu instid0(VALU_DEP_2)
	s_lshl_b32 s17, s16, 2
	s_add_i32 s14, s14, 1
	s_add_i32 s17, s17, 0
	s_cmp_eq_u32 s14, s13
	v_cndmask_b32_e64 v1, v1, s16, vcc_lo
	v_dual_mov_b32 v5, s17 :: v_dual_cndmask_b32 v2, v2, v7
	ds_store_b32 v5, v4
	s_cbranch_scc1 .LBB20_29
.LBB20_22:                              ; =>This Loop Header: Depth=1
                                        ;     Child Loop BB20_24 Depth 2
	v_dual_mov_b32 v5, s14 :: v_dual_mov_b32 v6, 0xff800000
	s_and_saveexec_b32 s16, s2
	s_cbranch_execz .LBB20_26
; %bb.23:                               ;   in Loop: Header=BB20_22 Depth=1
	s_load_b32 s17, s[4:5], 0xc
	v_dual_mov_b32 v5, s14 :: v_dual_mov_b32 v6, 0xff800000
	v_dual_mov_b32 v7, v3 :: v_dual_mov_b32 v8, v0
	s_mov_b32 s19, 0
	s_waitcnt lgkmcnt(0)
	s_and_b32 s17, s17, 0xffff
	s_delay_alu instid0(SALU_CYCLE_1)
	s_lshl_b32 s20, s17, 2
.LBB20_24:                              ;   Parent Loop BB20_22 Depth=1
                                        ; =>  This Inner Loop Header: Depth=2
	ds_load_b32 v9, v7
	v_add_nc_u32_e32 v7, s20, v7
	s_waitcnt lgkmcnt(0)
	v_cmp_gt_f32_e32 vcc_lo, v9, v6
	v_dual_cndmask_b32 v6, v6, v9 :: v_dual_cndmask_b32 v5, v5, v8
	v_add_nc_u32_e32 v8, s17, v8
	s_delay_alu instid0(VALU_DEP_1) | instskip(SKIP_1) | instid1(SALU_CYCLE_1)
	v_cmp_le_i32_e32 vcc_lo, s12, v8
	s_or_b32 s19, vcc_lo, s19
	s_and_not1_b32 exec_lo, exec_lo, s19
	s_cbranch_execnz .LBB20_24
; %bb.25:                               ;   in Loop: Header=BB20_22 Depth=1
	s_or_b32 exec_lo, exec_lo, s19
.LBB20_26:                              ;   in Loop: Header=BB20_22 Depth=1
	s_delay_alu instid0(SALU_CYCLE_1)
	s_or_b32 exec_lo, exec_lo, s16
	;;#ASMSTART
	v_max_f32 v7, v6, v6 quad_perm:[1,0,3,2] row_mask:0xf bank_mask:0xf bound_ctrl:1
	;;#ASMEND
	;;#ASMSTART
	v_max_f32 v8, v7, v7 quad_perm:[2,3,0,1] row_mask:0xf bank_mask:0xf bound_ctrl:1
	;;#ASMEND
	;;#ASMSTART
	v_max_f32 v7, v8, v8 row_half_mirror row_mask:0xf bank_mask:0xf bound_ctrl:1
	;;#ASMEND
	;;#ASMSTART
	v_max_f32 v8, v7, v7 row_mirror row_mask:0xf bank_mask:0xf bound_ctrl:1
	;;#ASMEND
	v_permlanex16_b32 v7, v8, s18, 0xfedcba98 op_sel:[1,1]
	s_delay_alu instid0(VALU_DEP_1) | instskip(NEXT) | instid1(VALU_DEP_1)
	v_dual_max_f32 v8, v8, v8 :: v_dual_max_f32 v7, v7, v7
	v_max_f32_e32 v7, v8, v7
	s_delay_alu instid0(VALU_DEP_1)
	v_cmp_eq_f32_e32 vcc_lo, v6, v7
	s_ctz_i32_b32 s16, vcc_lo
	s_cmp_lg_u32 vcc_lo, 0
	s_cselect_b32 s16, s16, 0
	s_and_b32 vcc_lo, exec_lo, s3
	v_readlane_b32 s16, v5, s16
	s_cbranch_vccz .LBB20_21
; %bb.27:                               ;   in Loop: Header=BB20_22 Depth=1
	s_delay_alu instid0(VALU_DEP_1) | instskip(NEXT) | instid1(SALU_CYCLE_1)
	s_ashr_i32 s17, s16, 31
	s_lshl_b64 s[20:21], s[16:17], 2
	s_delay_alu instid0(SALU_CYCLE_1)
	s_add_u32 s20, s6, s20
	s_addc_u32 s21, s7, s21
	s_load_b32 s17, s[20:21], 0x0
	s_waitcnt lgkmcnt(0)
	v_subrev_f32_e32 v7, s17, v7
	s_branch .LBB20_21
.LBB20_28:
	v_dual_mov_b32 v2, 0 :: v_dual_mov_b32 v1, 0
.LBB20_29:
	s_mov_b32 s2, exec_lo
	v_cmpx_gt_i32_e64 s13, v0
	s_cbranch_execz .LBB20_32
; %bb.30:
	s_clause 0x2
	s_load_b32 s4, s[0:1], 0x34
	s_load_b64 s[2:3], s[0:1], 0x20
	s_load_b32 s0, s[0:1], 0x44
	s_ashr_i32 s1, s15, 31
	s_waitcnt lgkmcnt(0)
	v_mul_f32_e32 v2, s4, v2
	s_mul_i32 s3, s15, s3
	s_mul_hi_u32 s4, s15, s2
	s_mul_i32 s5, s1, s2
	s_add_i32 s3, s4, s3
	s_mul_i32 s1, s15, s2
	s_and_b32 s2, s0, 0xffff
	s_add_i32 s3, s3, s5
	s_mov_b32 s4, 0
	.p2align	6
.LBB20_31:                              ; =>This Inner Loop Header: Depth=1
	v_ashrrev_i32_e32 v4, 31, v0
	v_add_co_u32 v3, vcc_lo, s1, v0
	v_add_nc_u32_e32 v0, s2, v0
	s_delay_alu instid0(VALU_DEP_3) | instskip(NEXT) | instid1(VALU_DEP_2)
	v_add_co_ci_u32_e32 v4, vcc_lo, s3, v4, vcc_lo
	v_cmp_le_i32_e32 vcc_lo, s13, v0
	s_delay_alu instid0(VALU_DEP_2) | instskip(SKIP_1) | instid1(VALU_DEP_1)
	v_lshlrev_b64 v[3:4], 2, v[3:4]
	s_or_b32 s4, vcc_lo, s4
	v_add_co_u32 v5, s0, s8, v3
	s_delay_alu instid0(VALU_DEP_1) | instskip(SKIP_1) | instid1(VALU_DEP_1)
	v_add_co_ci_u32_e64 v6, s0, s9, v4, s0
	v_add_co_u32 v3, s0, s10, v3
	v_add_co_ci_u32_e64 v4, s0, s11, v4, s0
	global_store_b32 v[5:6], v2, off
	global_store_b32 v[3:4], v1, off
	s_and_not1_b32 exec_lo, exec_lo, s4
	s_cbranch_execnz .LBB20_31
.LBB20_32:
	s_nop 0
	s_sendmsg sendmsg(MSG_DEALLOC_VGPRS)
	s_endpgm
	.section	.rodata,"a",@progbits
	.p2align	6, 0x0
	.amdhsa_kernel _ZN5aiter20topk_softplus_kernelIffDv1_fLb0ELi2EEEvPKT_PKT0_PfPimiiif
		.amdhsa_group_segment_fixed_size 0
		.amdhsa_private_segment_fixed_size 0
		.amdhsa_kernarg_size 312
		.amdhsa_user_sgpr_count 15
		.amdhsa_user_sgpr_dispatch_ptr 0
		.amdhsa_user_sgpr_queue_ptr 0
		.amdhsa_user_sgpr_kernarg_segment_ptr 1
		.amdhsa_user_sgpr_dispatch_id 0
		.amdhsa_user_sgpr_private_segment_size 0
		.amdhsa_wavefront_size32 1
		.amdhsa_uses_dynamic_stack 0
		.amdhsa_enable_private_segment 0
		.amdhsa_system_sgpr_workgroup_id_x 1
		.amdhsa_system_sgpr_workgroup_id_y 0
		.amdhsa_system_sgpr_workgroup_id_z 0
		.amdhsa_system_sgpr_workgroup_info 0
		.amdhsa_system_vgpr_workitem_id 0
		.amdhsa_next_free_vgpr 10
		.amdhsa_next_free_sgpr 22
		.amdhsa_reserve_vcc 1
		.amdhsa_float_round_mode_32 0
		.amdhsa_float_round_mode_16_64 0
		.amdhsa_float_denorm_mode_32 3
		.amdhsa_float_denorm_mode_16_64 3
		.amdhsa_dx10_clamp 1
		.amdhsa_ieee_mode 1
		.amdhsa_fp16_overflow 0
		.amdhsa_workgroup_processor_mode 1
		.amdhsa_memory_ordered 1
		.amdhsa_forward_progress 0
		.amdhsa_shared_vgpr_count 0
		.amdhsa_exception_fp_ieee_invalid_op 0
		.amdhsa_exception_fp_denorm_src 0
		.amdhsa_exception_fp_ieee_div_zero 0
		.amdhsa_exception_fp_ieee_overflow 0
		.amdhsa_exception_fp_ieee_underflow 0
		.amdhsa_exception_fp_ieee_inexact 0
		.amdhsa_exception_int_div_zero 0
	.end_amdhsa_kernel
	.section	.text._ZN5aiter20topk_softplus_kernelIffDv1_fLb0ELi2EEEvPKT_PKT0_PfPimiiif,"axG",@progbits,_ZN5aiter20topk_softplus_kernelIffDv1_fLb0ELi2EEEvPKT_PKT0_PfPimiiif,comdat
.Lfunc_end20:
	.size	_ZN5aiter20topk_softplus_kernelIffDv1_fLb0ELi2EEEvPKT_PKT0_PfPimiiif, .Lfunc_end20-_ZN5aiter20topk_softplus_kernelIffDv1_fLb0ELi2EEEvPKT_PKT0_PfPimiiif
                                        ; -- End function
	.section	.AMDGPU.csdata,"",@progbits
; Kernel info:
; codeLenInByte = 1748
; NumSgprs: 24
; NumVgprs: 10
; ScratchSize: 0
; MemoryBound: 0
; FloatMode: 240
; IeeeMode: 1
; LDSByteSize: 0 bytes/workgroup (compile time only)
; SGPRBlocks: 2
; VGPRBlocks: 1
; NumSGPRsForWavesPerEU: 24
; NumVGPRsForWavesPerEU: 10
; Occupancy: 16
; WaveLimiterHint : 0
; COMPUTE_PGM_RSRC2:SCRATCH_EN: 0
; COMPUTE_PGM_RSRC2:USER_SGPR: 15
; COMPUTE_PGM_RSRC2:TRAP_HANDLER: 0
; COMPUTE_PGM_RSRC2:TGID_X_EN: 1
; COMPUTE_PGM_RSRC2:TGID_Y_EN: 0
; COMPUTE_PGM_RSRC2:TGID_Z_EN: 0
; COMPUTE_PGM_RSRC2:TIDIG_COMP_CNT: 0
	.section	.text._ZN5aiter24topk_softplus_kernel_optIffLi64ELb1ELi0EEEvPKT_PKT0_PfPimiif,"axG",@progbits,_ZN5aiter24topk_softplus_kernel_optIffLi64ELb1ELi0EEEvPKT_PKT0_PfPimiif,comdat
	.protected	_ZN5aiter24topk_softplus_kernel_optIffLi64ELb1ELi0EEEvPKT_PKT0_PfPimiif ; -- Begin function _ZN5aiter24topk_softplus_kernel_optIffLi64ELb1ELi0EEEvPKT_PKT0_PfPimiif
	.globl	_ZN5aiter24topk_softplus_kernel_optIffLi64ELb1ELi0EEEvPKT_PKT0_PfPimiif
	.p2align	8
	.type	_ZN5aiter24topk_softplus_kernel_optIffLi64ELb1ELi0EEEvPKT_PKT0_PfPimiif,@function
_ZN5aiter24topk_softplus_kernel_optIffLi64ELb1ELi0EEEvPKT_PKT0_PfPimiif: ; @_ZN5aiter24topk_softplus_kernel_optIffLi64ELb1ELi0EEEvPKT_PKT0_PfPimiif
; %bb.0:
	s_load_b128 s[4:7], s[0:1], 0x0
	s_lshl_b32 s2, s15, 6
	v_lshlrev_b32_e32 v3, 2, v0
	s_ashr_i32 s3, s2, 31
	s_delay_alu instid0(SALU_CYCLE_1)
	s_lshl_b64 s[2:3], s[2:3], 2
	s_waitcnt lgkmcnt(0)
	s_add_u32 s4, s4, s2
	s_addc_u32 s5, s5, s3
	s_cmp_lg_u64 s[6:7], 0
	global_load_b32 v1, v3, s[4:5]
	s_cselect_b32 s3, -1, 0
	s_waitcnt vmcnt(0)
	v_mul_f32_e32 v2, 0x3fb8aa3b, v1
	s_delay_alu instid0(VALU_DEP_1) | instskip(SKIP_2) | instid1(VALU_DEP_2)
	v_cmp_gt_f32_e32 vcc_lo, 0xc2fc0000, v2
	v_cndmask_b32_e64 v2, 0, 0x42800000, vcc_lo
	v_cndmask_b32_e64 v4, 1.0, 0x1f800000, vcc_lo
	v_fmac_f32_e32 v2, 0x3fb8aa3b, v1
	s_delay_alu instid0(VALU_DEP_1) | instskip(SKIP_2) | instid1(VALU_DEP_1)
	v_exp_f32_e32 v2, v2
	s_waitcnt_depctr 0xfff
	v_fma_f32 v2, v2, v4, 1.0
	v_cmp_gt_f32_e32 vcc_lo, 0x800000, v2
	v_cndmask_b32_e64 v4, 1.0, 0x4f800000, vcc_lo
	s_delay_alu instid0(VALU_DEP_1) | instskip(SKIP_2) | instid1(VALU_DEP_3)
	v_mul_f32_e32 v2, v2, v4
	v_cndmask_b32_e64 v4, 0, 0x42000000, vcc_lo
	v_cmp_lt_f32_e32 vcc_lo, 0x41a00000, v1
	v_log_f32_e32 v2, v2
	s_waitcnt_depctr 0xfff
	v_sub_f32_e32 v2, v2, v4
	s_delay_alu instid0(VALU_DEP_1) | instskip(NEXT) | instid1(VALU_DEP_1)
	v_mul_f32_e32 v2, 0x3f317218, v2
	v_cndmask_b32_e32 v1, v2, v1, vcc_lo
	s_delay_alu instid0(VALU_DEP_1) | instskip(SKIP_1) | instid1(VALU_DEP_2)
	v_mul_f32_e32 v2, 0x4f800000, v1
	v_cmp_gt_f32_e32 vcc_lo, 0xf800000, v1
	v_cndmask_b32_e32 v1, v1, v2, vcc_lo
	s_delay_alu instid0(VALU_DEP_1) | instskip(SKIP_3) | instid1(VALU_DEP_2)
	v_sqrt_f32_e32 v2, v1
	s_waitcnt_depctr 0xfff
	v_add_nc_u32_e32 v4, -1, v2
	v_add_nc_u32_e32 v5, 1, v2
	v_fma_f32 v6, -v4, v2, v1
	s_delay_alu instid0(VALU_DEP_2) | instskip(NEXT) | instid1(VALU_DEP_2)
	v_fma_f32 v7, -v5, v2, v1
	v_cmp_ge_f32_e64 s2, 0, v6
	s_delay_alu instid0(VALU_DEP_1) | instskip(NEXT) | instid1(VALU_DEP_3)
	v_cndmask_b32_e64 v2, v2, v4, s2
	v_cmp_lt_f32_e64 s2, 0, v7
	s_delay_alu instid0(VALU_DEP_1) | instskip(NEXT) | instid1(VALU_DEP_1)
	v_cndmask_b32_e64 v2, v2, v5, s2
	v_mul_f32_e32 v4, 0x37800000, v2
	s_delay_alu instid0(VALU_DEP_1) | instskip(SKIP_1) | instid1(VALU_DEP_2)
	v_cndmask_b32_e32 v2, v2, v4, vcc_lo
	v_cmp_class_f32_e64 vcc_lo, v1, 0x260
	v_cndmask_b32_e32 v4, v2, v1, vcc_lo
	v_add_co_u32 v1, s2, s4, v3
	s_delay_alu instid0(VALU_DEP_1) | instskip(NEXT) | instid1(VALU_DEP_3)
	v_add_co_ci_u32_e64 v2, null, s5, 0, s2
	v_mov_b32_e32 v6, v4
	s_and_b32 vcc_lo, exec_lo, s3
	s_cbranch_vccz .LBB21_2
; %bb.1:
	global_load_b32 v5, v3, s[6:7]
	s_waitcnt vmcnt(0)
	v_add_f32_e32 v6, v4, v5
.LBB21_2:
	global_load_b32 v1, v[1:2], off offset:128
	s_waitcnt vmcnt(0)
	v_mul_f32_e32 v2, 0x3fb8aa3b, v1
	s_delay_alu instid0(VALU_DEP_1) | instskip(SKIP_2) | instid1(VALU_DEP_2)
	v_cmp_gt_f32_e32 vcc_lo, 0xc2fc0000, v2
	v_cndmask_b32_e64 v5, 0, 0x42800000, vcc_lo
	v_cndmask_b32_e64 v2, 1.0, 0x1f800000, vcc_lo
	v_fmac_f32_e32 v5, 0x3fb8aa3b, v1
	s_delay_alu instid0(VALU_DEP_1) | instskip(SKIP_2) | instid1(VALU_DEP_1)
	v_exp_f32_e32 v5, v5
	s_waitcnt_depctr 0xfff
	v_fma_f32 v2, v5, v2, 1.0
	v_cmp_gt_f32_e32 vcc_lo, 0x800000, v2
	v_cndmask_b32_e64 v5, 1.0, 0x4f800000, vcc_lo
	s_delay_alu instid0(VALU_DEP_1) | instskip(SKIP_2) | instid1(VALU_DEP_3)
	v_mul_f32_e32 v2, v2, v5
	v_cndmask_b32_e64 v5, 0, 0x42000000, vcc_lo
	v_cmp_lt_f32_e32 vcc_lo, 0x41a00000, v1
	v_log_f32_e32 v2, v2
	s_waitcnt_depctr 0xfff
	v_sub_f32_e32 v2, v2, v5
	s_delay_alu instid0(VALU_DEP_1) | instskip(NEXT) | instid1(VALU_DEP_1)
	v_mul_f32_e32 v2, 0x3f317218, v2
	v_cndmask_b32_e32 v1, v2, v1, vcc_lo
	s_delay_alu instid0(VALU_DEP_1) | instskip(SKIP_1) | instid1(VALU_DEP_2)
	v_mul_f32_e32 v2, 0x4f800000, v1
	v_cmp_gt_f32_e32 vcc_lo, 0xf800000, v1
	v_cndmask_b32_e32 v1, v1, v2, vcc_lo
	s_delay_alu instid0(VALU_DEP_1) | instskip(SKIP_3) | instid1(VALU_DEP_2)
	v_sqrt_f32_e32 v2, v1
	s_waitcnt_depctr 0xfff
	v_add_nc_u32_e32 v5, -1, v2
	v_add_nc_u32_e32 v7, 1, v2
	v_fma_f32 v8, -v5, v2, v1
	s_delay_alu instid0(VALU_DEP_2) | instskip(NEXT) | instid1(VALU_DEP_2)
	v_fma_f32 v9, -v7, v2, v1
	v_cmp_ge_f32_e64 s2, 0, v8
	s_delay_alu instid0(VALU_DEP_1) | instskip(NEXT) | instid1(VALU_DEP_3)
	v_cndmask_b32_e64 v2, v2, v5, s2
	v_cmp_lt_f32_e64 s2, 0, v9
	s_delay_alu instid0(VALU_DEP_1) | instskip(NEXT) | instid1(VALU_DEP_1)
	v_cndmask_b32_e64 v2, v2, v7, s2
	v_mul_f32_e32 v5, 0x37800000, v2
	s_delay_alu instid0(VALU_DEP_1) | instskip(SKIP_1) | instid1(VALU_DEP_2)
	v_cndmask_b32_e32 v2, v2, v5, vcc_lo
	v_cmp_class_f32_e64 vcc_lo, v1, 0x260
	v_cndmask_b32_e32 v11, v2, v1, vcc_lo
	s_and_not1_b32 vcc_lo, exec_lo, s3
	s_delay_alu instid0(VALU_DEP_1)
	v_mov_b32_e32 v10, v11
	s_cbranch_vccnz .LBB21_4
; %bb.3:
	global_load_b32 v1, v3, s[6:7] offset:128
	s_waitcnt vmcnt(0)
	v_add_f32_e32 v10, v11, v1
.LBB21_4:
	s_clause 0x1
	s_load_b32 s8, s[0:1], 0x28
	s_load_b128 s[4:7], s[0:1], 0x10
	v_dual_mov_b32 v5, 0 :: v_dual_mov_b32 v2, 0
	v_mov_b32_e32 v1, 0
	s_waitcnt lgkmcnt(0)
	s_cmp_gt_i32 s8, 0
	s_cbranch_scc0 .LBB21_7
; %bb.5:
	v_cmp_lt_f32_e32 vcc_lo, v6, v10
	v_add_nc_u32_e32 v1, 32, v0
	s_mov_b32 s9, 0x76543210
	s_mov_b32 s10, s8
	v_mov_b32_e32 v5, 0
	v_cndmask_b32_e32 v9, v10, v6, vcc_lo
	v_cndmask_b32_e32 v6, v6, v10, vcc_lo
	;; [unrolled: 1-line block ×3, first 2 shown]
	v_dual_cndmask_b32 v7, v1, v0 :: v_dual_cndmask_b32 v8, v0, v1
	v_dual_cndmask_b32 v4, v4, v11 :: v_dual_mov_b32 v11, 0
	v_dual_mov_b32 v12, v0 :: v_dual_mov_b32 v1, 0
	v_mov_b32_e32 v2, 0
.LBB21_6:                               ; =>This Inner Loop Header: Depth=1
	s_delay_alu instid0(VALU_DEP_3) | instskip(SKIP_2) | instid1(VALU_DEP_1)
	v_cmp_eq_u32_e32 vcc_lo, 1, v11
	v_cmp_gt_u32_e64 s2, 2, v11
	v_dual_cndmask_b32 v13, v6, v9 :: v_dual_cndmask_b32 v14, v8, v7
	v_cndmask_b32_e64 v13, 0xff800000, v13, s2
	;;#ASMSTART
	v_max_f32 v16, v13, v13 quad_perm:[1,0,3,2] row_mask:0xf bank_mask:0xf bound_ctrl:1
	;;#ASMEND
	;;#ASMSTART
	v_max_f32 v17, v16, v16 quad_perm:[2,3,0,1] row_mask:0xf bank_mask:0xf bound_ctrl:1
	;;#ASMEND
	;;#ASMSTART
	v_max_f32 v16, v17, v17 row_half_mirror row_mask:0xf bank_mask:0xf bound_ctrl:1
	;;#ASMEND
	;;#ASMSTART
	v_max_f32 v17, v16, v16 row_mirror row_mask:0xf bank_mask:0xf bound_ctrl:1
	;;#ASMEND
	v_permlanex16_b32 v16, v17, s9, 0xfedcba98 op_sel:[1,1]
	v_max_f32_e32 v17, v17, v17
	v_cndmask_b32_e64 v15, 0, v14, s2
	s_delay_alu instid0(VALU_DEP_3) | instskip(NEXT) | instid1(VALU_DEP_1)
	v_max_f32_e32 v16, v16, v16
	v_max_f32_e32 v16, v17, v16
	s_delay_alu instid0(VALU_DEP_1) | instskip(SKIP_1) | instid1(VALU_DEP_2)
	v_cmp_eq_f32_e64 s3, v13, v16
	v_cndmask_b32_e32 v13, v4, v10, vcc_lo
	s_ctz_i32_b32 s11, s3
	s_cmp_lg_u32 s3, 0
	s_cselect_b32 s3, s11, 0
	s_add_i32 s10, s10, -1
	v_readlane_b32 s3, v15, s3
	s_delay_alu instid0(VALU_DEP_1)
	v_cmp_eq_u32_e32 vcc_lo, s3, v14
	s_and_b32 vcc_lo, s2, vcc_lo
	s_and_b32 s2, s3, 31
	v_cndmask_b32_e32 v13, 0, v13, vcc_lo
	v_add_co_ci_u32_e32 v11, vcc_lo, 0, v11, vcc_lo
	s_cmp_eq_u32 s10, 0
	s_delay_alu instid0(VALU_DEP_2) | instskip(SKIP_1) | instid1(VALU_DEP_2)
	v_readlane_b32 s11, v13, s2
	v_cmp_eq_u32_e64 s2, 0, v12
	v_dual_add_f32 v5, s11, v5 :: v_dual_add_nc_u32 v12, -1, v12
	s_delay_alu instid0(VALU_DEP_2)
	v_cndmask_b32_e64 v2, v2, s11, s2
	v_cndmask_b32_e64 v1, v1, s3, s2
	s_cbranch_scc0 .LBB21_6
.LBB21_7:
	s_mov_b32 s2, exec_lo
	v_cmpx_gt_i32_e64 s8, v0
	s_cbranch_execz .LBB21_9
; %bb.8:
	s_load_b32 s2, s[0:1], 0x30
	v_max_f32_e32 v0, v5, v5
	s_load_b64 s[0:1], s[0:1], 0x20
	s_ashr_i32 s3, s15, 31
	s_delay_alu instid0(VALU_DEP_1) | instskip(SKIP_1) | instid1(VALU_DEP_1)
	v_max_f32_e32 v0, 0x1e3ce508, v0
	s_waitcnt lgkmcnt(0)
	v_div_scale_f32 v4, null, v0, v0, s2
	s_mul_i32 s1, s15, s1
	s_mul_hi_u32 s8, s15, s0
	s_mul_i32 s3, s3, s0
	s_delay_alu instid0(VALU_DEP_1) | instskip(SKIP_3) | instid1(SALU_CYCLE_1)
	v_rcp_f32_e32 v5, v4
	s_add_i32 s1, s8, s1
	s_mul_i32 s0, s15, s0
	s_add_i32 s1, s1, s3
	s_lshl_b64 s[0:1], s[0:1], 2
	s_waitcnt_depctr 0xfff
	v_fma_f32 v6, -v4, v5, 1.0
	s_delay_alu instid0(VALU_DEP_1) | instskip(SKIP_1) | instid1(VALU_DEP_1)
	v_fmac_f32_e32 v5, v6, v5
	v_div_scale_f32 v7, vcc_lo, s2, v0, s2
	v_mul_f32_e32 v6, v7, v5
	s_delay_alu instid0(VALU_DEP_1) | instskip(NEXT) | instid1(VALU_DEP_1)
	v_fma_f32 v8, -v4, v6, v7
	v_fmac_f32_e32 v6, v8, v5
	s_delay_alu instid0(VALU_DEP_1) | instskip(NEXT) | instid1(VALU_DEP_1)
	v_fma_f32 v4, -v4, v6, v7
	v_div_fmas_f32 v4, v4, v5, v6
	s_delay_alu instid0(VALU_DEP_1)
	v_div_fixup_f32 v0, v4, v0, s2
	s_add_u32 s2, s4, s0
	s_addc_u32 s3, s5, s1
	s_add_u32 s0, s6, s0
	s_addc_u32 s1, s7, s1
	v_mul_f32_e32 v0, v2, v0
	s_clause 0x1
	global_store_b32 v3, v0, s[2:3]
	global_store_b32 v3, v1, s[0:1]
.LBB21_9:
	s_nop 0
	s_sendmsg sendmsg(MSG_DEALLOC_VGPRS)
	s_endpgm
	.section	.rodata,"a",@progbits
	.p2align	6, 0x0
	.amdhsa_kernel _ZN5aiter24topk_softplus_kernel_optIffLi64ELb1ELi0EEEvPKT_PKT0_PfPimiif
		.amdhsa_group_segment_fixed_size 0
		.amdhsa_private_segment_fixed_size 0
		.amdhsa_kernarg_size 52
		.amdhsa_user_sgpr_count 15
		.amdhsa_user_sgpr_dispatch_ptr 0
		.amdhsa_user_sgpr_queue_ptr 0
		.amdhsa_user_sgpr_kernarg_segment_ptr 1
		.amdhsa_user_sgpr_dispatch_id 0
		.amdhsa_user_sgpr_private_segment_size 0
		.amdhsa_wavefront_size32 1
		.amdhsa_uses_dynamic_stack 0
		.amdhsa_enable_private_segment 0
		.amdhsa_system_sgpr_workgroup_id_x 1
		.amdhsa_system_sgpr_workgroup_id_y 0
		.amdhsa_system_sgpr_workgroup_id_z 0
		.amdhsa_system_sgpr_workgroup_info 0
		.amdhsa_system_vgpr_workitem_id 0
		.amdhsa_next_free_vgpr 18
		.amdhsa_next_free_sgpr 16
		.amdhsa_reserve_vcc 1
		.amdhsa_float_round_mode_32 0
		.amdhsa_float_round_mode_16_64 0
		.amdhsa_float_denorm_mode_32 3
		.amdhsa_float_denorm_mode_16_64 3
		.amdhsa_dx10_clamp 1
		.amdhsa_ieee_mode 1
		.amdhsa_fp16_overflow 0
		.amdhsa_workgroup_processor_mode 1
		.amdhsa_memory_ordered 1
		.amdhsa_forward_progress 0
		.amdhsa_shared_vgpr_count 0
		.amdhsa_exception_fp_ieee_invalid_op 0
		.amdhsa_exception_fp_denorm_src 0
		.amdhsa_exception_fp_ieee_div_zero 0
		.amdhsa_exception_fp_ieee_overflow 0
		.amdhsa_exception_fp_ieee_underflow 0
		.amdhsa_exception_fp_ieee_inexact 0
		.amdhsa_exception_int_div_zero 0
	.end_amdhsa_kernel
	.section	.text._ZN5aiter24topk_softplus_kernel_optIffLi64ELb1ELi0EEEvPKT_PKT0_PfPimiif,"axG",@progbits,_ZN5aiter24topk_softplus_kernel_optIffLi64ELb1ELi0EEEvPKT_PKT0_PfPimiif,comdat
.Lfunc_end21:
	.size	_ZN5aiter24topk_softplus_kernel_optIffLi64ELb1ELi0EEEvPKT_PKT0_PfPimiif, .Lfunc_end21-_ZN5aiter24topk_softplus_kernel_optIffLi64ELb1ELi0EEEvPKT_PKT0_PfPimiif
                                        ; -- End function
	.section	.AMDGPU.csdata,"",@progbits
; Kernel info:
; codeLenInByte = 1332
; NumSgprs: 18
; NumVgprs: 18
; ScratchSize: 0
; MemoryBound: 0
; FloatMode: 240
; IeeeMode: 1
; LDSByteSize: 0 bytes/workgroup (compile time only)
; SGPRBlocks: 2
; VGPRBlocks: 2
; NumSGPRsForWavesPerEU: 18
; NumVGPRsForWavesPerEU: 18
; Occupancy: 16
; WaveLimiterHint : 0
; COMPUTE_PGM_RSRC2:SCRATCH_EN: 0
; COMPUTE_PGM_RSRC2:USER_SGPR: 15
; COMPUTE_PGM_RSRC2:TRAP_HANDLER: 0
; COMPUTE_PGM_RSRC2:TGID_X_EN: 1
; COMPUTE_PGM_RSRC2:TGID_Y_EN: 0
; COMPUTE_PGM_RSRC2:TGID_Z_EN: 0
; COMPUTE_PGM_RSRC2:TIDIG_COMP_CNT: 0
	.section	.text._ZN5aiter24topk_softplus_kernel_optIffLi64ELb0ELi0EEEvPKT_PKT0_PfPimiif,"axG",@progbits,_ZN5aiter24topk_softplus_kernel_optIffLi64ELb0ELi0EEEvPKT_PKT0_PfPimiif,comdat
	.protected	_ZN5aiter24topk_softplus_kernel_optIffLi64ELb0ELi0EEEvPKT_PKT0_PfPimiif ; -- Begin function _ZN5aiter24topk_softplus_kernel_optIffLi64ELb0ELi0EEEvPKT_PKT0_PfPimiif
	.globl	_ZN5aiter24topk_softplus_kernel_optIffLi64ELb0ELi0EEEvPKT_PKT0_PfPimiif
	.p2align	8
	.type	_ZN5aiter24topk_softplus_kernel_optIffLi64ELb0ELi0EEEvPKT_PKT0_PfPimiif,@function
_ZN5aiter24topk_softplus_kernel_optIffLi64ELb0ELi0EEEvPKT_PKT0_PfPimiif: ; @_ZN5aiter24topk_softplus_kernel_optIffLi64ELb0ELi0EEEvPKT_PKT0_PfPimiif
; %bb.0:
	s_load_b128 s[4:7], s[0:1], 0x0
	s_lshl_b32 s2, s15, 6
	v_lshlrev_b32_e32 v3, 2, v0
	s_ashr_i32 s3, s2, 31
	s_delay_alu instid0(SALU_CYCLE_1)
	s_lshl_b64 s[2:3], s[2:3], 2
	s_waitcnt lgkmcnt(0)
	s_add_u32 s4, s4, s2
	s_addc_u32 s5, s5, s3
	s_cmp_lg_u64 s[6:7], 0
	global_load_b32 v1, v3, s[4:5]
	s_cselect_b32 s3, -1, 0
	s_waitcnt vmcnt(0)
	v_mul_f32_e32 v2, 0x3fb8aa3b, v1
	s_delay_alu instid0(VALU_DEP_1) | instskip(SKIP_2) | instid1(VALU_DEP_2)
	v_cmp_gt_f32_e32 vcc_lo, 0xc2fc0000, v2
	v_cndmask_b32_e64 v2, 0, 0x42800000, vcc_lo
	v_cndmask_b32_e64 v4, 1.0, 0x1f800000, vcc_lo
	v_fmac_f32_e32 v2, 0x3fb8aa3b, v1
	s_delay_alu instid0(VALU_DEP_1) | instskip(SKIP_2) | instid1(VALU_DEP_1)
	v_exp_f32_e32 v2, v2
	s_waitcnt_depctr 0xfff
	v_fma_f32 v2, v2, v4, 1.0
	v_cmp_gt_f32_e32 vcc_lo, 0x800000, v2
	v_cndmask_b32_e64 v4, 1.0, 0x4f800000, vcc_lo
	s_delay_alu instid0(VALU_DEP_1) | instskip(SKIP_2) | instid1(VALU_DEP_3)
	v_mul_f32_e32 v2, v2, v4
	v_cndmask_b32_e64 v4, 0, 0x42000000, vcc_lo
	v_cmp_lt_f32_e32 vcc_lo, 0x41a00000, v1
	v_log_f32_e32 v2, v2
	s_waitcnt_depctr 0xfff
	v_sub_f32_e32 v2, v2, v4
	s_delay_alu instid0(VALU_DEP_1) | instskip(NEXT) | instid1(VALU_DEP_1)
	v_mul_f32_e32 v2, 0x3f317218, v2
	v_cndmask_b32_e32 v1, v2, v1, vcc_lo
	s_delay_alu instid0(VALU_DEP_1) | instskip(SKIP_1) | instid1(VALU_DEP_2)
	v_mul_f32_e32 v2, 0x4f800000, v1
	v_cmp_gt_f32_e32 vcc_lo, 0xf800000, v1
	v_cndmask_b32_e32 v1, v1, v2, vcc_lo
	s_delay_alu instid0(VALU_DEP_1) | instskip(SKIP_3) | instid1(VALU_DEP_2)
	v_sqrt_f32_e32 v2, v1
	s_waitcnt_depctr 0xfff
	v_add_nc_u32_e32 v4, -1, v2
	v_add_nc_u32_e32 v5, 1, v2
	v_fma_f32 v6, -v4, v2, v1
	s_delay_alu instid0(VALU_DEP_2) | instskip(NEXT) | instid1(VALU_DEP_2)
	v_fma_f32 v7, -v5, v2, v1
	v_cmp_ge_f32_e64 s2, 0, v6
	s_delay_alu instid0(VALU_DEP_1) | instskip(NEXT) | instid1(VALU_DEP_3)
	v_cndmask_b32_e64 v2, v2, v4, s2
	v_cmp_lt_f32_e64 s2, 0, v7
	s_delay_alu instid0(VALU_DEP_1) | instskip(NEXT) | instid1(VALU_DEP_1)
	v_cndmask_b32_e64 v2, v2, v5, s2
	v_mul_f32_e32 v4, 0x37800000, v2
	s_delay_alu instid0(VALU_DEP_1) | instskip(SKIP_1) | instid1(VALU_DEP_2)
	v_cndmask_b32_e32 v2, v2, v4, vcc_lo
	v_cmp_class_f32_e64 vcc_lo, v1, 0x260
	v_cndmask_b32_e32 v4, v2, v1, vcc_lo
	v_add_co_u32 v1, s2, s4, v3
	s_delay_alu instid0(VALU_DEP_1) | instskip(NEXT) | instid1(VALU_DEP_3)
	v_add_co_ci_u32_e64 v2, null, s5, 0, s2
	v_mov_b32_e32 v5, v4
	s_and_b32 vcc_lo, exec_lo, s3
	s_cbranch_vccz .LBB22_2
; %bb.1:
	global_load_b32 v5, v3, s[6:7]
	s_waitcnt vmcnt(0)
	v_add_f32_e32 v5, v4, v5
.LBB22_2:
	global_load_b32 v1, v[1:2], off offset:128
	s_waitcnt vmcnt(0)
	v_mul_f32_e32 v2, 0x3fb8aa3b, v1
	s_delay_alu instid0(VALU_DEP_1) | instskip(SKIP_2) | instid1(VALU_DEP_2)
	v_cmp_gt_f32_e32 vcc_lo, 0xc2fc0000, v2
	v_cndmask_b32_e64 v6, 0, 0x42800000, vcc_lo
	v_cndmask_b32_e64 v2, 1.0, 0x1f800000, vcc_lo
	v_fmac_f32_e32 v6, 0x3fb8aa3b, v1
	s_delay_alu instid0(VALU_DEP_1) | instskip(SKIP_2) | instid1(VALU_DEP_1)
	v_exp_f32_e32 v6, v6
	s_waitcnt_depctr 0xfff
	v_fma_f32 v2, v6, v2, 1.0
	v_cmp_gt_f32_e32 vcc_lo, 0x800000, v2
	v_cndmask_b32_e64 v6, 1.0, 0x4f800000, vcc_lo
	s_delay_alu instid0(VALU_DEP_1) | instskip(SKIP_2) | instid1(VALU_DEP_3)
	v_mul_f32_e32 v2, v2, v6
	v_cndmask_b32_e64 v6, 0, 0x42000000, vcc_lo
	v_cmp_lt_f32_e32 vcc_lo, 0x41a00000, v1
	v_log_f32_e32 v2, v2
	s_waitcnt_depctr 0xfff
	v_sub_f32_e32 v2, v2, v6
	s_delay_alu instid0(VALU_DEP_1) | instskip(NEXT) | instid1(VALU_DEP_1)
	v_mul_f32_e32 v2, 0x3f317218, v2
	v_cndmask_b32_e32 v1, v2, v1, vcc_lo
	s_delay_alu instid0(VALU_DEP_1) | instskip(SKIP_1) | instid1(VALU_DEP_2)
	v_mul_f32_e32 v2, 0x4f800000, v1
	v_cmp_gt_f32_e32 vcc_lo, 0xf800000, v1
	v_cndmask_b32_e32 v1, v1, v2, vcc_lo
	s_delay_alu instid0(VALU_DEP_1) | instskip(SKIP_3) | instid1(VALU_DEP_2)
	v_sqrt_f32_e32 v2, v1
	s_waitcnt_depctr 0xfff
	v_add_nc_u32_e32 v6, -1, v2
	v_add_nc_u32_e32 v7, 1, v2
	v_fma_f32 v8, -v6, v2, v1
	s_delay_alu instid0(VALU_DEP_2) | instskip(NEXT) | instid1(VALU_DEP_2)
	v_fma_f32 v9, -v7, v2, v1
	v_cmp_ge_f32_e64 s2, 0, v8
	s_delay_alu instid0(VALU_DEP_1) | instskip(NEXT) | instid1(VALU_DEP_3)
	v_cndmask_b32_e64 v2, v2, v6, s2
	v_cmp_lt_f32_e64 s2, 0, v9
	s_delay_alu instid0(VALU_DEP_1) | instskip(NEXT) | instid1(VALU_DEP_1)
	v_cndmask_b32_e64 v2, v2, v7, s2
	v_mul_f32_e32 v6, 0x37800000, v2
	s_delay_alu instid0(VALU_DEP_1) | instskip(SKIP_1) | instid1(VALU_DEP_2)
	v_cndmask_b32_e32 v2, v2, v6, vcc_lo
	v_cmp_class_f32_e64 vcc_lo, v1, 0x260
	v_cndmask_b32_e32 v2, v2, v1, vcc_lo
	s_and_not1_b32 vcc_lo, exec_lo, s3
	s_delay_alu instid0(VALU_DEP_1)
	v_mov_b32_e32 v9, v2
	s_cbranch_vccnz .LBB22_4
; %bb.3:
	global_load_b32 v1, v3, s[6:7] offset:128
	s_waitcnt vmcnt(0)
	v_add_f32_e32 v9, v2, v1
.LBB22_4:
	s_clause 0x1
	s_load_b32 s8, s[0:1], 0x28
	s_load_b128 s[4:7], s[0:1], 0x10
	v_mov_b32_e32 v1, 0
	s_waitcnt lgkmcnt(0)
	s_cmp_gt_i32 s8, 0
	s_cbranch_scc0 .LBB22_10
; %bb.5:
	v_cmp_lt_f32_e32 vcc_lo, v5, v9
	v_add_nc_u32_e32 v1, 32, v0
	s_mov_b32 s9, 0x76543210
	s_mov_b32 s10, s8
	v_mov_b32_e32 v10, 0
	v_cndmask_b32_e32 v8, v9, v5, vcc_lo
	v_dual_cndmask_b32 v6, v1, v0 :: v_dual_cndmask_b32 v7, v0, v1
	v_cndmask_b32_e32 v5, v5, v9, vcc_lo
	v_dual_cndmask_b32 v9, v2, v4 :: v_dual_cndmask_b32 v4, v4, v2
	v_dual_mov_b32 v2, 0 :: v_dual_mov_b32 v11, v0
	v_mov_b32_e32 v1, 0
.LBB22_6:                               ; =>This Inner Loop Header: Depth=1
	v_cmp_eq_u32_e32 vcc_lo, 1, v10
	v_cmp_gt_u32_e64 s2, 2, v10
	v_cndmask_b32_e32 v12, v5, v8, vcc_lo
	s_delay_alu instid0(VALU_DEP_1)
	v_cndmask_b32_e64 v12, 0xff800000, v12, s2
	;;#ASMSTART
	v_max_f32 v13, v12, v12 quad_perm:[1,0,3,2] row_mask:0xf bank_mask:0xf bound_ctrl:1
	;;#ASMEND
	;;#ASMSTART
	v_max_f32 v14, v13, v13 quad_perm:[2,3,0,1] row_mask:0xf bank_mask:0xf bound_ctrl:1
	;;#ASMEND
	;;#ASMSTART
	v_max_f32 v13, v14, v14 row_half_mirror row_mask:0xf bank_mask:0xf bound_ctrl:1
	;;#ASMEND
	;;#ASMSTART
	v_max_f32 v14, v13, v13 row_mirror row_mask:0xf bank_mask:0xf bound_ctrl:1
	;;#ASMEND
	v_permlanex16_b32 v13, v14, s9, 0xfedcba98 op_sel:[1,1]
	s_delay_alu instid0(VALU_DEP_1) | instskip(NEXT) | instid1(VALU_DEP_1)
	v_dual_max_f32 v14, v14, v14 :: v_dual_max_f32 v13, v13, v13
	v_dual_max_f32 v13, v14, v13 :: v_dual_cndmask_b32 v14, v7, v6
	s_delay_alu instid0(VALU_DEP_1) | instskip(NEXT) | instid1(VALU_DEP_2)
	v_cmp_eq_f32_e64 s3, v12, v13
	v_cndmask_b32_e64 v12, 0, v14, s2
	s_delay_alu instid0(VALU_DEP_2)
	s_ctz_i32_b32 s11, s3
	s_cmp_lg_u32 s3, 0
	s_cselect_b32 s3, s11, 0
	s_add_i32 s10, s10, -1
	v_readlane_b32 s3, v12, s3
	v_cndmask_b32_e32 v12, v4, v9, vcc_lo
	s_delay_alu instid0(VALU_DEP_2) | instskip(SKIP_2) | instid1(VALU_DEP_2)
	v_cmp_eq_u32_e32 vcc_lo, s3, v14
	s_and_b32 vcc_lo, s2, vcc_lo
	s_and_b32 s2, s3, 31
	v_cndmask_b32_e32 v12, 0, v12, vcc_lo
	v_add_co_ci_u32_e32 v10, vcc_lo, 0, v10, vcc_lo
	s_cmp_eq_u32 s10, 0
	s_delay_alu instid0(VALU_DEP_2) | instskip(SKIP_2) | instid1(VALU_DEP_2)
	v_readlane_b32 s11, v12, s2
	v_cmp_eq_u32_e64 s2, 0, v11
	v_add_nc_u32_e32 v11, -1, v11
	v_cndmask_b32_e64 v2, v2, s11, s2
	v_cndmask_b32_e64 v1, v1, s3, s2
	s_cbranch_scc0 .LBB22_6
; %bb.7:
	s_mov_b32 s2, exec_lo
	v_cmpx_gt_i32_e64 s8, v0
	s_cbranch_execz .LBB22_9
.LBB22_8:
	s_clause 0x1
	s_load_b64 s[2:3], s[0:1], 0x20
	s_load_b32 s8, s[0:1], 0x30
	s_ashr_i32 s0, s15, 31
	s_waitcnt lgkmcnt(0)
	s_mul_i32 s1, s15, s3
	s_mul_hi_u32 s3, s15, s2
	s_mul_i32 s0, s0, s2
	s_add_i32 s1, s3, s1
	v_mul_f32_e32 v0, s8, v2
	s_add_i32 s1, s1, s0
	s_mul_i32 s0, s15, s2
	s_delay_alu instid0(SALU_CYCLE_1) | instskip(NEXT) | instid1(SALU_CYCLE_1)
	s_lshl_b64 s[0:1], s[0:1], 2
	s_add_u32 s2, s4, s0
	s_addc_u32 s3, s5, s1
	s_add_u32 s0, s6, s0
	s_addc_u32 s1, s7, s1
	s_clause 0x1
	global_store_b32 v3, v0, s[2:3]
	global_store_b32 v3, v1, s[0:1]
.LBB22_9:
	s_nop 0
	s_sendmsg sendmsg(MSG_DEALLOC_VGPRS)
	s_endpgm
.LBB22_10:
	v_mov_b32_e32 v2, 0
	s_mov_b32 s2, exec_lo
	v_cmpx_gt_i32_e64 s8, v0
	s_cbranch_execnz .LBB22_8
	s_branch .LBB22_9
	.section	.rodata,"a",@progbits
	.p2align	6, 0x0
	.amdhsa_kernel _ZN5aiter24topk_softplus_kernel_optIffLi64ELb0ELi0EEEvPKT_PKT0_PfPimiif
		.amdhsa_group_segment_fixed_size 0
		.amdhsa_private_segment_fixed_size 0
		.amdhsa_kernarg_size 52
		.amdhsa_user_sgpr_count 15
		.amdhsa_user_sgpr_dispatch_ptr 0
		.amdhsa_user_sgpr_queue_ptr 0
		.amdhsa_user_sgpr_kernarg_segment_ptr 1
		.amdhsa_user_sgpr_dispatch_id 0
		.amdhsa_user_sgpr_private_segment_size 0
		.amdhsa_wavefront_size32 1
		.amdhsa_uses_dynamic_stack 0
		.amdhsa_enable_private_segment 0
		.amdhsa_system_sgpr_workgroup_id_x 1
		.amdhsa_system_sgpr_workgroup_id_y 0
		.amdhsa_system_sgpr_workgroup_id_z 0
		.amdhsa_system_sgpr_workgroup_info 0
		.amdhsa_system_vgpr_workitem_id 0
		.amdhsa_next_free_vgpr 15
		.amdhsa_next_free_sgpr 16
		.amdhsa_reserve_vcc 1
		.amdhsa_float_round_mode_32 0
		.amdhsa_float_round_mode_16_64 0
		.amdhsa_float_denorm_mode_32 3
		.amdhsa_float_denorm_mode_16_64 3
		.amdhsa_dx10_clamp 1
		.amdhsa_ieee_mode 1
		.amdhsa_fp16_overflow 0
		.amdhsa_workgroup_processor_mode 1
		.amdhsa_memory_ordered 1
		.amdhsa_forward_progress 0
		.amdhsa_shared_vgpr_count 0
		.amdhsa_exception_fp_ieee_invalid_op 0
		.amdhsa_exception_fp_denorm_src 0
		.amdhsa_exception_fp_ieee_div_zero 0
		.amdhsa_exception_fp_ieee_overflow 0
		.amdhsa_exception_fp_ieee_underflow 0
		.amdhsa_exception_fp_ieee_inexact 0
		.amdhsa_exception_int_div_zero 0
	.end_amdhsa_kernel
	.section	.text._ZN5aiter24topk_softplus_kernel_optIffLi64ELb0ELi0EEEvPKT_PKT0_PfPimiif,"axG",@progbits,_ZN5aiter24topk_softplus_kernel_optIffLi64ELb0ELi0EEEvPKT_PKT0_PfPimiif,comdat
.Lfunc_end22:
	.size	_ZN5aiter24topk_softplus_kernel_optIffLi64ELb0ELi0EEEvPKT_PKT0_PfPimiif, .Lfunc_end22-_ZN5aiter24topk_softplus_kernel_optIffLi64ELb0ELi0EEEvPKT_PKT0_PfPimiif
                                        ; -- End function
	.section	.AMDGPU.csdata,"",@progbits
; Kernel info:
; codeLenInByte = 1236
; NumSgprs: 18
; NumVgprs: 15
; ScratchSize: 0
; MemoryBound: 0
; FloatMode: 240
; IeeeMode: 1
; LDSByteSize: 0 bytes/workgroup (compile time only)
; SGPRBlocks: 2
; VGPRBlocks: 1
; NumSGPRsForWavesPerEU: 18
; NumVGPRsForWavesPerEU: 15
; Occupancy: 16
; WaveLimiterHint : 0
; COMPUTE_PGM_RSRC2:SCRATCH_EN: 0
; COMPUTE_PGM_RSRC2:USER_SGPR: 15
; COMPUTE_PGM_RSRC2:TRAP_HANDLER: 0
; COMPUTE_PGM_RSRC2:TGID_X_EN: 1
; COMPUTE_PGM_RSRC2:TGID_Y_EN: 0
; COMPUTE_PGM_RSRC2:TGID_Z_EN: 0
; COMPUTE_PGM_RSRC2:TIDIG_COMP_CNT: 0
	.section	.text._ZN5aiter24topk_softplus_kernel_optIffLi128ELb1ELi0EEEvPKT_PKT0_PfPimiif,"axG",@progbits,_ZN5aiter24topk_softplus_kernel_optIffLi128ELb1ELi0EEEvPKT_PKT0_PfPimiif,comdat
	.protected	_ZN5aiter24topk_softplus_kernel_optIffLi128ELb1ELi0EEEvPKT_PKT0_PfPimiif ; -- Begin function _ZN5aiter24topk_softplus_kernel_optIffLi128ELb1ELi0EEEvPKT_PKT0_PfPimiif
	.globl	_ZN5aiter24topk_softplus_kernel_optIffLi128ELb1ELi0EEEvPKT_PKT0_PfPimiif
	.p2align	8
	.type	_ZN5aiter24topk_softplus_kernel_optIffLi128ELb1ELi0EEEvPKT_PKT0_PfPimiif,@function
_ZN5aiter24topk_softplus_kernel_optIffLi128ELb1ELi0EEEvPKT_PKT0_PfPimiif: ; @_ZN5aiter24topk_softplus_kernel_optIffLi128ELb1ELi0EEEvPKT_PKT0_PfPimiif
; %bb.0:
	s_load_b128 s[4:7], s[0:1], 0x0
	s_lshl_b32 s2, s15, 7
	v_lshlrev_b32_e32 v3, 2, v0
	s_ashr_i32 s3, s2, 31
	s_delay_alu instid0(SALU_CYCLE_1)
	s_lshl_b64 s[2:3], s[2:3], 2
	s_waitcnt lgkmcnt(0)
	s_add_u32 s4, s4, s2
	s_addc_u32 s5, s5, s3
	s_cmp_lg_u64 s[6:7], 0
	global_load_b32 v1, v3, s[4:5]
	s_cselect_b32 s3, -1, 0
	s_waitcnt vmcnt(0)
	v_mul_f32_e32 v2, 0x3fb8aa3b, v1
	s_delay_alu instid0(VALU_DEP_1) | instskip(SKIP_2) | instid1(VALU_DEP_2)
	v_cmp_gt_f32_e32 vcc_lo, 0xc2fc0000, v2
	v_cndmask_b32_e64 v2, 0, 0x42800000, vcc_lo
	v_cndmask_b32_e64 v4, 1.0, 0x1f800000, vcc_lo
	v_fmac_f32_e32 v2, 0x3fb8aa3b, v1
	s_delay_alu instid0(VALU_DEP_1) | instskip(SKIP_2) | instid1(VALU_DEP_1)
	v_exp_f32_e32 v2, v2
	s_waitcnt_depctr 0xfff
	v_fma_f32 v2, v2, v4, 1.0
	v_cmp_gt_f32_e32 vcc_lo, 0x800000, v2
	v_cndmask_b32_e64 v4, 1.0, 0x4f800000, vcc_lo
	s_delay_alu instid0(VALU_DEP_1) | instskip(SKIP_2) | instid1(VALU_DEP_3)
	v_mul_f32_e32 v2, v2, v4
	v_cndmask_b32_e64 v4, 0, 0x42000000, vcc_lo
	v_cmp_lt_f32_e32 vcc_lo, 0x41a00000, v1
	v_log_f32_e32 v2, v2
	s_waitcnt_depctr 0xfff
	v_sub_f32_e32 v2, v2, v4
	s_delay_alu instid0(VALU_DEP_1) | instskip(NEXT) | instid1(VALU_DEP_1)
	v_mul_f32_e32 v2, 0x3f317218, v2
	v_cndmask_b32_e32 v1, v2, v1, vcc_lo
	s_delay_alu instid0(VALU_DEP_1) | instskip(SKIP_1) | instid1(VALU_DEP_2)
	v_mul_f32_e32 v2, 0x4f800000, v1
	v_cmp_gt_f32_e32 vcc_lo, 0xf800000, v1
	v_cndmask_b32_e32 v1, v1, v2, vcc_lo
	s_delay_alu instid0(VALU_DEP_1) | instskip(SKIP_3) | instid1(VALU_DEP_2)
	v_sqrt_f32_e32 v2, v1
	s_waitcnt_depctr 0xfff
	v_add_nc_u32_e32 v4, -1, v2
	v_add_nc_u32_e32 v5, 1, v2
	v_fma_f32 v6, -v4, v2, v1
	s_delay_alu instid0(VALU_DEP_2) | instskip(NEXT) | instid1(VALU_DEP_2)
	v_fma_f32 v7, -v5, v2, v1
	v_cmp_ge_f32_e64 s2, 0, v6
	s_delay_alu instid0(VALU_DEP_1) | instskip(NEXT) | instid1(VALU_DEP_3)
	v_cndmask_b32_e64 v2, v2, v4, s2
	v_cmp_lt_f32_e64 s2, 0, v7
	s_delay_alu instid0(VALU_DEP_1) | instskip(NEXT) | instid1(VALU_DEP_1)
	v_cndmask_b32_e64 v2, v2, v5, s2
	v_mul_f32_e32 v4, 0x37800000, v2
	s_delay_alu instid0(VALU_DEP_1) | instskip(SKIP_1) | instid1(VALU_DEP_2)
	v_cndmask_b32_e32 v2, v2, v4, vcc_lo
	v_cmp_class_f32_e64 vcc_lo, v1, 0x260
	v_cndmask_b32_e32 v5, v2, v1, vcc_lo
	v_add_co_u32 v1, s2, s4, v3
	s_delay_alu instid0(VALU_DEP_1) | instskip(NEXT) | instid1(VALU_DEP_3)
	v_add_co_ci_u32_e64 v2, null, s5, 0, s2
	v_mov_b32_e32 v6, v5
	s_and_b32 vcc_lo, exec_lo, s3
	s_cbranch_vccz .LBB23_2
; %bb.1:
	global_load_b32 v4, v3, s[6:7]
	s_waitcnt vmcnt(0)
	v_add_f32_e32 v6, v5, v4
.LBB23_2:
	global_load_b32 v4, v[1:2], off offset:128
	s_waitcnt vmcnt(0)
	v_mul_f32_e32 v7, 0x3fb8aa3b, v4
	s_delay_alu instid0(VALU_DEP_1) | instskip(SKIP_2) | instid1(VALU_DEP_2)
	v_cmp_gt_f32_e32 vcc_lo, 0xc2fc0000, v7
	v_cndmask_b32_e64 v8, 0, 0x42800000, vcc_lo
	v_cndmask_b32_e64 v7, 1.0, 0x1f800000, vcc_lo
	v_fmac_f32_e32 v8, 0x3fb8aa3b, v4
	s_delay_alu instid0(VALU_DEP_1) | instskip(SKIP_2) | instid1(VALU_DEP_1)
	v_exp_f32_e32 v8, v8
	s_waitcnt_depctr 0xfff
	v_fma_f32 v7, v8, v7, 1.0
	v_cmp_gt_f32_e32 vcc_lo, 0x800000, v7
	v_cndmask_b32_e64 v8, 1.0, 0x4f800000, vcc_lo
	s_delay_alu instid0(VALU_DEP_1) | instskip(SKIP_2) | instid1(VALU_DEP_3)
	v_mul_f32_e32 v7, v7, v8
	v_cndmask_b32_e64 v8, 0, 0x42000000, vcc_lo
	v_cmp_lt_f32_e32 vcc_lo, 0x41a00000, v4
	v_log_f32_e32 v7, v7
	s_waitcnt_depctr 0xfff
	v_sub_f32_e32 v7, v7, v8
	s_delay_alu instid0(VALU_DEP_1) | instskip(NEXT) | instid1(VALU_DEP_1)
	v_mul_f32_e32 v7, 0x3f317218, v7
	v_cndmask_b32_e32 v4, v7, v4, vcc_lo
	s_delay_alu instid0(VALU_DEP_1) | instskip(SKIP_1) | instid1(VALU_DEP_2)
	v_mul_f32_e32 v7, 0x4f800000, v4
	v_cmp_gt_f32_e32 vcc_lo, 0xf800000, v4
	v_cndmask_b32_e32 v7, v4, v7, vcc_lo
	s_delay_alu instid0(VALU_DEP_1) | instskip(SKIP_3) | instid1(VALU_DEP_2)
	v_sqrt_f32_e32 v4, v7
	s_waitcnt_depctr 0xfff
	v_add_nc_u32_e32 v8, -1, v4
	v_add_nc_u32_e32 v9, 1, v4
	v_fma_f32 v10, -v8, v4, v7
	s_delay_alu instid0(VALU_DEP_2) | instskip(NEXT) | instid1(VALU_DEP_2)
	v_fma_f32 v11, -v9, v4, v7
	v_cmp_ge_f32_e64 s2, 0, v10
	s_delay_alu instid0(VALU_DEP_1) | instskip(NEXT) | instid1(VALU_DEP_3)
	v_cndmask_b32_e64 v4, v4, v8, s2
	v_cmp_lt_f32_e64 s2, 0, v11
	s_delay_alu instid0(VALU_DEP_1) | instskip(NEXT) | instid1(VALU_DEP_1)
	v_cndmask_b32_e64 v4, v4, v9, s2
	v_mul_f32_e32 v8, 0x37800000, v4
	s_delay_alu instid0(VALU_DEP_1) | instskip(SKIP_2) | instid1(VALU_DEP_3)
	v_cndmask_b32_e32 v8, v4, v8, vcc_lo
	v_cmp_class_f32_e64 vcc_lo, v7, 0x260
	v_cndmask_b32_e64 v4, 0, 1, s3
	v_cndmask_b32_e32 v9, v8, v7, vcc_lo
	s_and_not1_b32 vcc_lo, exec_lo, s3
	s_delay_alu instid0(VALU_DEP_1)
	v_mov_b32_e32 v10, v9
	s_cbranch_vccnz .LBB23_4
; %bb.3:
	global_load_b32 v7, v3, s[6:7] offset:128
	s_waitcnt vmcnt(0)
	v_add_f32_e32 v10, v9, v7
.LBB23_4:
	global_load_b32 v7, v[1:2], off offset:256
	s_waitcnt vmcnt(0)
	v_mul_f32_e32 v8, 0x3fb8aa3b, v7
	s_delay_alu instid0(VALU_DEP_1) | instskip(SKIP_2) | instid1(VALU_DEP_2)
	v_cmp_gt_f32_e32 vcc_lo, 0xc2fc0000, v8
	v_cndmask_b32_e64 v11, 0, 0x42800000, vcc_lo
	v_cndmask_b32_e64 v8, 1.0, 0x1f800000, vcc_lo
	v_fmac_f32_e32 v11, 0x3fb8aa3b, v7
	s_delay_alu instid0(VALU_DEP_1) | instskip(SKIP_2) | instid1(VALU_DEP_1)
	v_exp_f32_e32 v11, v11
	s_waitcnt_depctr 0xfff
	v_fma_f32 v8, v11, v8, 1.0
	v_cmp_gt_f32_e32 vcc_lo, 0x800000, v8
	v_cndmask_b32_e64 v11, 1.0, 0x4f800000, vcc_lo
	s_delay_alu instid0(VALU_DEP_1) | instskip(SKIP_2) | instid1(VALU_DEP_3)
	v_mul_f32_e32 v8, v8, v11
	v_cndmask_b32_e64 v11, 0, 0x42000000, vcc_lo
	v_cmp_lt_f32_e32 vcc_lo, 0x41a00000, v7
	v_log_f32_e32 v8, v8
	s_waitcnt_depctr 0xfff
	v_sub_f32_e32 v8, v8, v11
	s_delay_alu instid0(VALU_DEP_1) | instskip(NEXT) | instid1(VALU_DEP_1)
	v_mul_f32_e32 v8, 0x3f317218, v8
	v_cndmask_b32_e32 v7, v8, v7, vcc_lo
	s_delay_alu instid0(VALU_DEP_1) | instskip(SKIP_1) | instid1(VALU_DEP_2)
	v_mul_f32_e32 v8, 0x4f800000, v7
	v_cmp_gt_f32_e32 vcc_lo, 0xf800000, v7
	v_cndmask_b32_e32 v7, v7, v8, vcc_lo
	s_delay_alu instid0(VALU_DEP_1) | instskip(SKIP_3) | instid1(VALU_DEP_2)
	v_sqrt_f32_e32 v8, v7
	s_waitcnt_depctr 0xfff
	v_add_nc_u32_e32 v11, -1, v8
	v_add_nc_u32_e32 v12, 1, v8
	v_fma_f32 v13, -v11, v8, v7
	s_delay_alu instid0(VALU_DEP_2) | instskip(NEXT) | instid1(VALU_DEP_2)
	v_fma_f32 v14, -v12, v8, v7
	v_cmp_ge_f32_e64 s2, 0, v13
	s_delay_alu instid0(VALU_DEP_1) | instskip(NEXT) | instid1(VALU_DEP_3)
	v_cndmask_b32_e64 v8, v8, v11, s2
	v_cmp_lt_f32_e64 s2, 0, v14
	s_delay_alu instid0(VALU_DEP_1) | instskip(NEXT) | instid1(VALU_DEP_1)
	v_cndmask_b32_e64 v8, v8, v12, s2
	v_mul_f32_e32 v11, 0x37800000, v8
	s_delay_alu instid0(VALU_DEP_1) | instskip(SKIP_1) | instid1(VALU_DEP_2)
	v_cndmask_b32_e32 v8, v8, v11, vcc_lo
	v_cmp_class_f32_e64 vcc_lo, v7, 0x260
	v_cndmask_b32_e32 v12, v8, v7, vcc_lo
	v_cmp_ne_u32_e32 vcc_lo, 1, v4
	s_delay_alu instid0(VALU_DEP_2)
	v_mov_b32_e32 v7, v12
	s_cbranch_vccnz .LBB23_6
; %bb.5:
	global_load_b32 v7, v3, s[6:7] offset:256
	s_waitcnt vmcnt(0)
	v_add_f32_e32 v7, v12, v7
.LBB23_6:
	global_load_b32 v1, v[1:2], off offset:384
	s_waitcnt vmcnt(0)
	v_mul_f32_e32 v2, 0x3fb8aa3b, v1
	s_delay_alu instid0(VALU_DEP_1) | instskip(SKIP_2) | instid1(VALU_DEP_2)
	v_cmp_gt_f32_e32 vcc_lo, 0xc2fc0000, v2
	v_cndmask_b32_e64 v8, 0, 0x42800000, vcc_lo
	v_cndmask_b32_e64 v2, 1.0, 0x1f800000, vcc_lo
	v_fmac_f32_e32 v8, 0x3fb8aa3b, v1
	s_delay_alu instid0(VALU_DEP_1) | instskip(SKIP_2) | instid1(VALU_DEP_1)
	v_exp_f32_e32 v8, v8
	s_waitcnt_depctr 0xfff
	v_fma_f32 v2, v8, v2, 1.0
	v_cmp_gt_f32_e32 vcc_lo, 0x800000, v2
	v_cndmask_b32_e64 v8, 1.0, 0x4f800000, vcc_lo
	s_delay_alu instid0(VALU_DEP_1) | instskip(SKIP_2) | instid1(VALU_DEP_3)
	v_mul_f32_e32 v2, v2, v8
	v_cndmask_b32_e64 v8, 0, 0x42000000, vcc_lo
	v_cmp_lt_f32_e32 vcc_lo, 0x41a00000, v1
	v_log_f32_e32 v2, v2
	s_waitcnt_depctr 0xfff
	v_sub_f32_e32 v2, v2, v8
	s_delay_alu instid0(VALU_DEP_1) | instskip(NEXT) | instid1(VALU_DEP_1)
	v_mul_f32_e32 v2, 0x3f317218, v2
	v_cndmask_b32_e32 v1, v2, v1, vcc_lo
	s_delay_alu instid0(VALU_DEP_1) | instskip(SKIP_1) | instid1(VALU_DEP_2)
	v_mul_f32_e32 v2, 0x4f800000, v1
	v_cmp_gt_f32_e32 vcc_lo, 0xf800000, v1
	v_cndmask_b32_e32 v1, v1, v2, vcc_lo
	s_delay_alu instid0(VALU_DEP_1) | instskip(SKIP_3) | instid1(VALU_DEP_2)
	v_sqrt_f32_e32 v2, v1
	s_waitcnt_depctr 0xfff
	v_add_nc_u32_e32 v8, -1, v2
	v_add_nc_u32_e32 v11, 1, v2
	v_fma_f32 v13, -v8, v2, v1
	s_delay_alu instid0(VALU_DEP_2) | instskip(NEXT) | instid1(VALU_DEP_2)
	v_fma_f32 v14, -v11, v2, v1
	v_cmp_ge_f32_e64 s2, 0, v13
	s_delay_alu instid0(VALU_DEP_1) | instskip(NEXT) | instid1(VALU_DEP_3)
	v_cndmask_b32_e64 v2, v2, v8, s2
	v_cmp_lt_f32_e64 s2, 0, v14
	s_delay_alu instid0(VALU_DEP_1) | instskip(NEXT) | instid1(VALU_DEP_1)
	v_cndmask_b32_e64 v2, v2, v11, s2
	v_mul_f32_e32 v8, 0x37800000, v2
	s_delay_alu instid0(VALU_DEP_1) | instskip(SKIP_1) | instid1(VALU_DEP_2)
	v_cndmask_b32_e32 v2, v2, v8, vcc_lo
	v_cmp_class_f32_e64 vcc_lo, v1, 0x260
	v_cndmask_b32_e32 v1, v2, v1, vcc_lo
	v_cmp_ne_u32_e32 vcc_lo, 1, v4
	s_delay_alu instid0(VALU_DEP_2)
	v_mov_b32_e32 v2, v1
	s_cbranch_vccnz .LBB23_8
; %bb.7:
	global_load_b32 v2, v3, s[6:7] offset:384
	s_waitcnt vmcnt(0)
	v_add_f32_e32 v2, v1, v2
.LBB23_8:
	v_cmp_lt_f32_e32 vcc_lo, v6, v10
	v_add_nc_u32_e32 v13, 32, v0
	v_dual_mov_b32 v17, v7 :: v_dual_add_nc_u32 v4, 0x60, v0
	s_mov_b32 s2, exec_lo
	v_cndmask_b32_e32 v8, v9, v5, vcc_lo
	v_cndmask_b32_e32 v5, v5, v9, vcc_lo
	v_dual_cndmask_b32 v14, v0, v13 :: v_dual_add_nc_u32 v15, 64, v0
	v_cndmask_b32_e32 v11, v13, v0, vcc_lo
	v_cndmask_b32_e32 v9, v10, v6, vcc_lo
	;; [unrolled: 1-line block ×3, first 2 shown]
	v_cmpx_lt_f32_e32 v7, v2
	s_xor_b32 s2, exec_lo, s2
; %bb.9:
	v_dual_mov_b32 v16, v7 :: v_dual_mov_b32 v7, v2
	v_dual_mov_b32 v6, v12 :: v_dual_mov_b32 v13, v15
	v_swap_b32 v12, v1
	v_swap_b32 v15, v4
	s_delay_alu instid0(VALU_DEP_4)
	v_dual_mov_b32 v17, v2 :: v_dual_mov_b32 v2, v16
; %bb.10:
	s_or_b32 exec_lo, exec_lo, s2
	v_cmp_lt_f32_e32 vcc_lo, v10, v7
	s_mov_b32 s2, exec_lo
	v_dual_cndmask_b32 v16, v12, v5 :: v_dual_cndmask_b32 v5, v5, v12
	v_dual_cndmask_b32 v13, v15, v14 :: v_dual_cndmask_b32 v6, v14, v15
	v_dual_cndmask_b32 v14, v17, v10 :: v_dual_cndmask_b32 v7, v10, v7
	v_mov_b32_e32 v15, v9
	v_cmpx_lt_f32_e32 v9, v2
; %bb.11:
	v_dual_mov_b32 v10, v8 :: v_dual_mov_b32 v17, v9
	v_dual_mov_b32 v12, v11 :: v_dual_mov_b32 v9, v2
	v_swap_b32 v8, v1
	v_swap_b32 v11, v4
	s_delay_alu instid0(VALU_DEP_4)
	v_dual_mov_b32 v15, v2 :: v_dual_mov_b32 v2, v17
; %bb.12:
	s_or_b32 exec_lo, exec_lo, s2
	s_clause 0x1
	s_load_b32 s8, s[0:1], 0x28
	s_load_b128 s[4:7], s[0:1], 0x10
	v_mov_b32_e32 v10, 0
	s_waitcnt lgkmcnt(0)
	s_cmp_lt_i32 s8, 1
	s_cbranch_scc1 .LBB23_18
; %bb.13:
	v_cmp_lt_f32_e32 vcc_lo, v9, v14
	v_mov_b32_e32 v18, v0
	s_mov_b32 s9, 0x76543210
	s_mov_b32 s10, s8
	v_mov_b32_e32 v10, 0
	v_dual_cndmask_b32 v12, v13, v11 :: v_dual_cndmask_b32 v11, v11, v13
	v_dual_cndmask_b32 v13, v14, v9 :: v_dual_cndmask_b32 v14, v15, v14
	v_cndmask_b32_e32 v15, v16, v8, vcc_lo
	v_dual_cndmask_b32 v16, v8, v16 :: v_dual_mov_b32 v17, 0
	v_dual_mov_b32 v8, 0 :: v_dual_mov_b32 v9, 0
.LBB23_14:                              ; =>This Inner Loop Header: Depth=1
	s_delay_alu instid0(VALU_DEP_2) | instskip(SKIP_4) | instid1(VALU_DEP_3)
	v_cmp_eq_u32_e32 vcc_lo, 1, v17
	v_cmp_eq_u32_e64 s2, 2, v17
	v_dual_cndmask_b32 v19, v7, v14 :: v_dual_cndmask_b32 v20, v6, v11
	v_cndmask_b32_e32 v21, v5, v16, vcc_lo
	v_cmp_eq_u32_e32 vcc_lo, 3, v17
	v_cndmask_b32_e64 v19, v19, v13, s2
	s_delay_alu instid0(VALU_DEP_4) | instskip(NEXT) | instid1(VALU_DEP_4)
	v_cndmask_b32_e64 v20, v20, v12, s2
	v_cndmask_b32_e64 v21, v21, v15, s2
	v_cmp_gt_u32_e64 s2, 4, v17
	s_delay_alu instid0(VALU_DEP_3) | instskip(NEXT) | instid1(VALU_DEP_1)
	v_dual_cndmask_b32 v19, v19, v2 :: v_dual_cndmask_b32 v20, v20, v4
	v_cndmask_b32_e64 v19, 0xff800000, v19, s2
	;;#ASMSTART
	v_max_f32 v23, v19, v19 quad_perm:[1,0,3,2] row_mask:0xf bank_mask:0xf bound_ctrl:1
	;;#ASMEND
	;;#ASMSTART
	v_max_f32 v24, v23, v23 quad_perm:[2,3,0,1] row_mask:0xf bank_mask:0xf bound_ctrl:1
	;;#ASMEND
	;;#ASMSTART
	v_max_f32 v23, v24, v24 row_half_mirror row_mask:0xf bank_mask:0xf bound_ctrl:1
	;;#ASMEND
	;;#ASMSTART
	v_max_f32 v24, v23, v23 row_mirror row_mask:0xf bank_mask:0xf bound_ctrl:1
	;;#ASMEND
	v_permlanex16_b32 v23, v24, s9, 0xfedcba98 op_sel:[1,1]
	v_max_f32_e32 v24, v24, v24
	v_cndmask_b32_e64 v22, 0, v20, s2
	s_delay_alu instid0(VALU_DEP_3) | instskip(NEXT) | instid1(VALU_DEP_1)
	v_max_f32_e32 v23, v23, v23
	v_max_f32_e32 v23, v24, v23
	s_delay_alu instid0(VALU_DEP_1) | instskip(SKIP_1) | instid1(VALU_DEP_2)
	v_cmp_eq_f32_e64 s3, v19, v23
	v_cndmask_b32_e32 v19, v21, v1, vcc_lo
	s_ctz_i32_b32 s11, s3
	s_cmp_lg_u32 s3, 0
	s_cselect_b32 s3, s11, 0
	s_add_i32 s10, s10, -1
	v_readlane_b32 s3, v22, s3
	s_delay_alu instid0(VALU_DEP_1)
	v_cmp_eq_u32_e32 vcc_lo, s3, v20
	s_and_b32 vcc_lo, s2, vcc_lo
	s_and_b32 s2, s3, 31
	v_cndmask_b32_e32 v19, 0, v19, vcc_lo
	v_add_co_ci_u32_e32 v17, vcc_lo, 0, v17, vcc_lo
	s_cmp_eq_u32 s10, 0
	s_delay_alu instid0(VALU_DEP_2) | instskip(SKIP_2) | instid1(VALU_DEP_3)
	v_readlane_b32 s11, v19, s2
	v_cmp_eq_u32_e64 s2, 0, v18
	v_add_nc_u32_e32 v18, -1, v18
	v_add_f32_e32 v10, s11, v10
	s_delay_alu instid0(VALU_DEP_3)
	v_cndmask_b32_e64 v9, v9, s11, s2
	v_cndmask_b32_e64 v8, v8, s3, s2
	s_cbranch_scc0 .LBB23_14
; %bb.15:
	s_mov_b32 s2, exec_lo
	v_cmpx_gt_i32_e64 s8, v0
	s_cbranch_execz .LBB23_17
.LBB23_16:
	s_load_b32 s2, s[0:1], 0x30
	v_max_f32_e32 v0, v10, v10
	s_load_b64 s[0:1], s[0:1], 0x20
	s_ashr_i32 s3, s15, 31
	s_delay_alu instid0(VALU_DEP_1) | instskip(SKIP_1) | instid1(VALU_DEP_1)
	v_max_f32_e32 v0, 0x1e3ce508, v0
	s_waitcnt lgkmcnt(0)
	v_div_scale_f32 v1, null, v0, v0, s2
	v_div_scale_f32 v5, vcc_lo, s2, v0, s2
	s_mul_i32 s1, s15, s1
	s_delay_alu instid0(VALU_DEP_2)
	v_rcp_f32_e32 v2, v1
	s_mul_hi_u32 s8, s15, s0
	s_mul_i32 s3, s3, s0
	s_add_i32 s1, s8, s1
	s_mul_i32 s0, s15, s0
	s_add_i32 s1, s1, s3
	s_delay_alu instid0(SALU_CYCLE_1) | instskip(SKIP_2) | instid1(VALU_DEP_1)
	s_lshl_b64 s[0:1], s[0:1], 2
	s_waitcnt_depctr 0xfff
	v_fma_f32 v4, -v1, v2, 1.0
	v_fmac_f32_e32 v2, v4, v2
	s_delay_alu instid0(VALU_DEP_1) | instskip(NEXT) | instid1(VALU_DEP_1)
	v_mul_f32_e32 v4, v5, v2
	v_fma_f32 v6, -v1, v4, v5
	s_delay_alu instid0(VALU_DEP_1) | instskip(NEXT) | instid1(VALU_DEP_1)
	v_fmac_f32_e32 v4, v6, v2
	v_fma_f32 v1, -v1, v4, v5
	s_delay_alu instid0(VALU_DEP_1) | instskip(NEXT) | instid1(VALU_DEP_1)
	v_div_fmas_f32 v1, v1, v2, v4
	v_div_fixup_f32 v0, v1, v0, s2
	s_add_u32 s2, s4, s0
	s_addc_u32 s3, s5, s1
	s_add_u32 s0, s6, s0
	s_addc_u32 s1, s7, s1
	v_mul_f32_e32 v0, v9, v0
	s_clause 0x1
	global_store_b32 v3, v0, s[2:3]
	global_store_b32 v3, v8, s[0:1]
.LBB23_17:
	s_nop 0
	s_sendmsg sendmsg(MSG_DEALLOC_VGPRS)
	s_endpgm
.LBB23_18:
	v_dual_mov_b32 v8, 0 :: v_dual_mov_b32 v9, 0
	s_mov_b32 s2, exec_lo
	v_cmpx_gt_i32_e64 s8, v0
	s_cbranch_execnz .LBB23_16
	s_branch .LBB23_17
	.section	.rodata,"a",@progbits
	.p2align	6, 0x0
	.amdhsa_kernel _ZN5aiter24topk_softplus_kernel_optIffLi128ELb1ELi0EEEvPKT_PKT0_PfPimiif
		.amdhsa_group_segment_fixed_size 0
		.amdhsa_private_segment_fixed_size 0
		.amdhsa_kernarg_size 52
		.amdhsa_user_sgpr_count 15
		.amdhsa_user_sgpr_dispatch_ptr 0
		.amdhsa_user_sgpr_queue_ptr 0
		.amdhsa_user_sgpr_kernarg_segment_ptr 1
		.amdhsa_user_sgpr_dispatch_id 0
		.amdhsa_user_sgpr_private_segment_size 0
		.amdhsa_wavefront_size32 1
		.amdhsa_uses_dynamic_stack 0
		.amdhsa_enable_private_segment 0
		.amdhsa_system_sgpr_workgroup_id_x 1
		.amdhsa_system_sgpr_workgroup_id_y 0
		.amdhsa_system_sgpr_workgroup_id_z 0
		.amdhsa_system_sgpr_workgroup_info 0
		.amdhsa_system_vgpr_workitem_id 0
		.amdhsa_next_free_vgpr 25
		.amdhsa_next_free_sgpr 16
		.amdhsa_reserve_vcc 1
		.amdhsa_float_round_mode_32 0
		.amdhsa_float_round_mode_16_64 0
		.amdhsa_float_denorm_mode_32 3
		.amdhsa_float_denorm_mode_16_64 3
		.amdhsa_dx10_clamp 1
		.amdhsa_ieee_mode 1
		.amdhsa_fp16_overflow 0
		.amdhsa_workgroup_processor_mode 1
		.amdhsa_memory_ordered 1
		.amdhsa_forward_progress 0
		.amdhsa_shared_vgpr_count 0
		.amdhsa_exception_fp_ieee_invalid_op 0
		.amdhsa_exception_fp_denorm_src 0
		.amdhsa_exception_fp_ieee_div_zero 0
		.amdhsa_exception_fp_ieee_overflow 0
		.amdhsa_exception_fp_ieee_underflow 0
		.amdhsa_exception_fp_ieee_inexact 0
		.amdhsa_exception_int_div_zero 0
	.end_amdhsa_kernel
	.section	.text._ZN5aiter24topk_softplus_kernel_optIffLi128ELb1ELi0EEEvPKT_PKT0_PfPimiif,"axG",@progbits,_ZN5aiter24topk_softplus_kernel_optIffLi128ELb1ELi0EEEvPKT_PKT0_PfPimiif,comdat
.Lfunc_end23:
	.size	_ZN5aiter24topk_softplus_kernel_optIffLi128ELb1ELi0EEEvPKT_PKT0_PfPimiif, .Lfunc_end23-_ZN5aiter24topk_softplus_kernel_optIffLi128ELb1ELi0EEEvPKT_PKT0_PfPimiif
                                        ; -- End function
	.section	.AMDGPU.csdata,"",@progbits
; Kernel info:
; codeLenInByte = 2248
; NumSgprs: 18
; NumVgprs: 25
; ScratchSize: 0
; MemoryBound: 0
; FloatMode: 240
; IeeeMode: 1
; LDSByteSize: 0 bytes/workgroup (compile time only)
; SGPRBlocks: 2
; VGPRBlocks: 3
; NumSGPRsForWavesPerEU: 18
; NumVGPRsForWavesPerEU: 25
; Occupancy: 16
; WaveLimiterHint : 0
; COMPUTE_PGM_RSRC2:SCRATCH_EN: 0
; COMPUTE_PGM_RSRC2:USER_SGPR: 15
; COMPUTE_PGM_RSRC2:TRAP_HANDLER: 0
; COMPUTE_PGM_RSRC2:TGID_X_EN: 1
; COMPUTE_PGM_RSRC2:TGID_Y_EN: 0
; COMPUTE_PGM_RSRC2:TGID_Z_EN: 0
; COMPUTE_PGM_RSRC2:TIDIG_COMP_CNT: 0
	.section	.text._ZN5aiter24topk_softplus_kernel_optIffLi128ELb0ELi0EEEvPKT_PKT0_PfPimiif,"axG",@progbits,_ZN5aiter24topk_softplus_kernel_optIffLi128ELb0ELi0EEEvPKT_PKT0_PfPimiif,comdat
	.protected	_ZN5aiter24topk_softplus_kernel_optIffLi128ELb0ELi0EEEvPKT_PKT0_PfPimiif ; -- Begin function _ZN5aiter24topk_softplus_kernel_optIffLi128ELb0ELi0EEEvPKT_PKT0_PfPimiif
	.globl	_ZN5aiter24topk_softplus_kernel_optIffLi128ELb0ELi0EEEvPKT_PKT0_PfPimiif
	.p2align	8
	.type	_ZN5aiter24topk_softplus_kernel_optIffLi128ELb0ELi0EEEvPKT_PKT0_PfPimiif,@function
_ZN5aiter24topk_softplus_kernel_optIffLi128ELb0ELi0EEEvPKT_PKT0_PfPimiif: ; @_ZN5aiter24topk_softplus_kernel_optIffLi128ELb0ELi0EEEvPKT_PKT0_PfPimiif
; %bb.0:
	s_load_b128 s[4:7], s[0:1], 0x0
	s_lshl_b32 s2, s15, 7
	v_lshlrev_b32_e32 v3, 2, v0
	s_ashr_i32 s3, s2, 31
	s_delay_alu instid0(SALU_CYCLE_1)
	s_lshl_b64 s[2:3], s[2:3], 2
	s_waitcnt lgkmcnt(0)
	s_add_u32 s4, s4, s2
	s_addc_u32 s5, s5, s3
	s_cmp_lg_u64 s[6:7], 0
	global_load_b32 v1, v3, s[4:5]
	s_cselect_b32 s3, -1, 0
	s_waitcnt vmcnt(0)
	v_mul_f32_e32 v2, 0x3fb8aa3b, v1
	s_delay_alu instid0(VALU_DEP_1) | instskip(SKIP_2) | instid1(VALU_DEP_2)
	v_cmp_gt_f32_e32 vcc_lo, 0xc2fc0000, v2
	v_cndmask_b32_e64 v2, 0, 0x42800000, vcc_lo
	v_cndmask_b32_e64 v4, 1.0, 0x1f800000, vcc_lo
	v_fmac_f32_e32 v2, 0x3fb8aa3b, v1
	s_delay_alu instid0(VALU_DEP_1) | instskip(SKIP_2) | instid1(VALU_DEP_1)
	v_exp_f32_e32 v2, v2
	s_waitcnt_depctr 0xfff
	v_fma_f32 v2, v2, v4, 1.0
	v_cmp_gt_f32_e32 vcc_lo, 0x800000, v2
	v_cndmask_b32_e64 v4, 1.0, 0x4f800000, vcc_lo
	s_delay_alu instid0(VALU_DEP_1) | instskip(SKIP_2) | instid1(VALU_DEP_3)
	v_mul_f32_e32 v2, v2, v4
	v_cndmask_b32_e64 v4, 0, 0x42000000, vcc_lo
	v_cmp_lt_f32_e32 vcc_lo, 0x41a00000, v1
	v_log_f32_e32 v2, v2
	s_waitcnt_depctr 0xfff
	v_sub_f32_e32 v2, v2, v4
	s_delay_alu instid0(VALU_DEP_1) | instskip(NEXT) | instid1(VALU_DEP_1)
	v_mul_f32_e32 v2, 0x3f317218, v2
	v_cndmask_b32_e32 v1, v2, v1, vcc_lo
	s_delay_alu instid0(VALU_DEP_1) | instskip(SKIP_1) | instid1(VALU_DEP_2)
	v_mul_f32_e32 v2, 0x4f800000, v1
	v_cmp_gt_f32_e32 vcc_lo, 0xf800000, v1
	v_cndmask_b32_e32 v1, v1, v2, vcc_lo
	s_delay_alu instid0(VALU_DEP_1) | instskip(SKIP_3) | instid1(VALU_DEP_2)
	v_sqrt_f32_e32 v2, v1
	s_waitcnt_depctr 0xfff
	v_add_nc_u32_e32 v4, -1, v2
	v_add_nc_u32_e32 v5, 1, v2
	v_fma_f32 v6, -v4, v2, v1
	s_delay_alu instid0(VALU_DEP_2) | instskip(NEXT) | instid1(VALU_DEP_2)
	v_fma_f32 v7, -v5, v2, v1
	v_cmp_ge_f32_e64 s2, 0, v6
	s_delay_alu instid0(VALU_DEP_1) | instskip(NEXT) | instid1(VALU_DEP_3)
	v_cndmask_b32_e64 v2, v2, v4, s2
	v_cmp_lt_f32_e64 s2, 0, v7
	s_delay_alu instid0(VALU_DEP_1) | instskip(NEXT) | instid1(VALU_DEP_1)
	v_cndmask_b32_e64 v2, v2, v5, s2
	v_mul_f32_e32 v4, 0x37800000, v2
	s_delay_alu instid0(VALU_DEP_1) | instskip(SKIP_1) | instid1(VALU_DEP_2)
	v_cndmask_b32_e32 v2, v2, v4, vcc_lo
	v_cmp_class_f32_e64 vcc_lo, v1, 0x260
	v_cndmask_b32_e32 v5, v2, v1, vcc_lo
	v_add_co_u32 v1, s2, s4, v3
	s_delay_alu instid0(VALU_DEP_1) | instskip(NEXT) | instid1(VALU_DEP_3)
	v_add_co_ci_u32_e64 v2, null, s5, 0, s2
	v_mov_b32_e32 v6, v5
	s_and_b32 vcc_lo, exec_lo, s3
	s_cbranch_vccz .LBB24_2
; %bb.1:
	global_load_b32 v4, v3, s[6:7]
	s_waitcnt vmcnt(0)
	v_add_f32_e32 v6, v5, v4
.LBB24_2:
	global_load_b32 v4, v[1:2], off offset:128
	s_waitcnt vmcnt(0)
	v_mul_f32_e32 v7, 0x3fb8aa3b, v4
	s_delay_alu instid0(VALU_DEP_1) | instskip(SKIP_2) | instid1(VALU_DEP_2)
	v_cmp_gt_f32_e32 vcc_lo, 0xc2fc0000, v7
	v_cndmask_b32_e64 v8, 0, 0x42800000, vcc_lo
	v_cndmask_b32_e64 v7, 1.0, 0x1f800000, vcc_lo
	v_fmac_f32_e32 v8, 0x3fb8aa3b, v4
	s_delay_alu instid0(VALU_DEP_1) | instskip(SKIP_2) | instid1(VALU_DEP_1)
	v_exp_f32_e32 v8, v8
	s_waitcnt_depctr 0xfff
	v_fma_f32 v7, v8, v7, 1.0
	v_cmp_gt_f32_e32 vcc_lo, 0x800000, v7
	v_cndmask_b32_e64 v8, 1.0, 0x4f800000, vcc_lo
	s_delay_alu instid0(VALU_DEP_1) | instskip(SKIP_2) | instid1(VALU_DEP_3)
	v_mul_f32_e32 v7, v7, v8
	v_cndmask_b32_e64 v8, 0, 0x42000000, vcc_lo
	v_cmp_lt_f32_e32 vcc_lo, 0x41a00000, v4
	v_log_f32_e32 v7, v7
	s_waitcnt_depctr 0xfff
	v_sub_f32_e32 v7, v7, v8
	s_delay_alu instid0(VALU_DEP_1) | instskip(NEXT) | instid1(VALU_DEP_1)
	v_mul_f32_e32 v7, 0x3f317218, v7
	v_cndmask_b32_e32 v4, v7, v4, vcc_lo
	s_delay_alu instid0(VALU_DEP_1) | instskip(SKIP_1) | instid1(VALU_DEP_2)
	v_mul_f32_e32 v7, 0x4f800000, v4
	v_cmp_gt_f32_e32 vcc_lo, 0xf800000, v4
	v_cndmask_b32_e32 v7, v4, v7, vcc_lo
	s_delay_alu instid0(VALU_DEP_1) | instskip(SKIP_3) | instid1(VALU_DEP_2)
	v_sqrt_f32_e32 v4, v7
	s_waitcnt_depctr 0xfff
	v_add_nc_u32_e32 v8, -1, v4
	v_add_nc_u32_e32 v9, 1, v4
	v_fma_f32 v10, -v8, v4, v7
	s_delay_alu instid0(VALU_DEP_2) | instskip(NEXT) | instid1(VALU_DEP_2)
	v_fma_f32 v11, -v9, v4, v7
	v_cmp_ge_f32_e64 s2, 0, v10
	s_delay_alu instid0(VALU_DEP_1) | instskip(NEXT) | instid1(VALU_DEP_3)
	v_cndmask_b32_e64 v4, v4, v8, s2
	v_cmp_lt_f32_e64 s2, 0, v11
	s_delay_alu instid0(VALU_DEP_1) | instskip(NEXT) | instid1(VALU_DEP_1)
	v_cndmask_b32_e64 v4, v4, v9, s2
	v_mul_f32_e32 v8, 0x37800000, v4
	s_delay_alu instid0(VALU_DEP_1) | instskip(SKIP_2) | instid1(VALU_DEP_3)
	v_cndmask_b32_e32 v8, v4, v8, vcc_lo
	v_cmp_class_f32_e64 vcc_lo, v7, 0x260
	v_cndmask_b32_e64 v4, 0, 1, s3
	v_cndmask_b32_e32 v9, v8, v7, vcc_lo
	s_and_not1_b32 vcc_lo, exec_lo, s3
	s_delay_alu instid0(VALU_DEP_1)
	v_mov_b32_e32 v10, v9
	s_cbranch_vccnz .LBB24_4
; %bb.3:
	global_load_b32 v7, v3, s[6:7] offset:128
	s_waitcnt vmcnt(0)
	v_add_f32_e32 v10, v9, v7
.LBB24_4:
	global_load_b32 v7, v[1:2], off offset:256
	s_waitcnt vmcnt(0)
	v_mul_f32_e32 v8, 0x3fb8aa3b, v7
	s_delay_alu instid0(VALU_DEP_1) | instskip(SKIP_2) | instid1(VALU_DEP_2)
	v_cmp_gt_f32_e32 vcc_lo, 0xc2fc0000, v8
	v_cndmask_b32_e64 v11, 0, 0x42800000, vcc_lo
	v_cndmask_b32_e64 v8, 1.0, 0x1f800000, vcc_lo
	v_fmac_f32_e32 v11, 0x3fb8aa3b, v7
	s_delay_alu instid0(VALU_DEP_1) | instskip(SKIP_2) | instid1(VALU_DEP_1)
	v_exp_f32_e32 v11, v11
	s_waitcnt_depctr 0xfff
	v_fma_f32 v8, v11, v8, 1.0
	v_cmp_gt_f32_e32 vcc_lo, 0x800000, v8
	v_cndmask_b32_e64 v11, 1.0, 0x4f800000, vcc_lo
	s_delay_alu instid0(VALU_DEP_1) | instskip(SKIP_2) | instid1(VALU_DEP_3)
	v_mul_f32_e32 v8, v8, v11
	v_cndmask_b32_e64 v11, 0, 0x42000000, vcc_lo
	v_cmp_lt_f32_e32 vcc_lo, 0x41a00000, v7
	v_log_f32_e32 v8, v8
	s_waitcnt_depctr 0xfff
	v_sub_f32_e32 v8, v8, v11
	s_delay_alu instid0(VALU_DEP_1) | instskip(NEXT) | instid1(VALU_DEP_1)
	v_mul_f32_e32 v8, 0x3f317218, v8
	v_cndmask_b32_e32 v7, v8, v7, vcc_lo
	s_delay_alu instid0(VALU_DEP_1) | instskip(SKIP_1) | instid1(VALU_DEP_2)
	v_mul_f32_e32 v8, 0x4f800000, v7
	v_cmp_gt_f32_e32 vcc_lo, 0xf800000, v7
	v_cndmask_b32_e32 v7, v7, v8, vcc_lo
	s_delay_alu instid0(VALU_DEP_1) | instskip(SKIP_3) | instid1(VALU_DEP_2)
	v_sqrt_f32_e32 v8, v7
	s_waitcnt_depctr 0xfff
	v_add_nc_u32_e32 v11, -1, v8
	v_add_nc_u32_e32 v12, 1, v8
	v_fma_f32 v13, -v11, v8, v7
	s_delay_alu instid0(VALU_DEP_2) | instskip(NEXT) | instid1(VALU_DEP_2)
	v_fma_f32 v14, -v12, v8, v7
	v_cmp_ge_f32_e64 s2, 0, v13
	s_delay_alu instid0(VALU_DEP_1) | instskip(NEXT) | instid1(VALU_DEP_3)
	v_cndmask_b32_e64 v8, v8, v11, s2
	v_cmp_lt_f32_e64 s2, 0, v14
	s_delay_alu instid0(VALU_DEP_1) | instskip(NEXT) | instid1(VALU_DEP_1)
	v_cndmask_b32_e64 v8, v8, v12, s2
	v_mul_f32_e32 v11, 0x37800000, v8
	s_delay_alu instid0(VALU_DEP_1) | instskip(SKIP_1) | instid1(VALU_DEP_2)
	v_cndmask_b32_e32 v8, v8, v11, vcc_lo
	v_cmp_class_f32_e64 vcc_lo, v7, 0x260
	v_cndmask_b32_e32 v12, v8, v7, vcc_lo
	v_cmp_ne_u32_e32 vcc_lo, 1, v4
	s_delay_alu instid0(VALU_DEP_2)
	v_mov_b32_e32 v7, v12
	s_cbranch_vccnz .LBB24_6
; %bb.5:
	global_load_b32 v7, v3, s[6:7] offset:256
	s_waitcnt vmcnt(0)
	v_add_f32_e32 v7, v12, v7
.LBB24_6:
	global_load_b32 v1, v[1:2], off offset:384
	s_waitcnt vmcnt(0)
	v_mul_f32_e32 v2, 0x3fb8aa3b, v1
	s_delay_alu instid0(VALU_DEP_1) | instskip(SKIP_2) | instid1(VALU_DEP_2)
	v_cmp_gt_f32_e32 vcc_lo, 0xc2fc0000, v2
	v_cndmask_b32_e64 v8, 0, 0x42800000, vcc_lo
	v_cndmask_b32_e64 v2, 1.0, 0x1f800000, vcc_lo
	v_fmac_f32_e32 v8, 0x3fb8aa3b, v1
	s_delay_alu instid0(VALU_DEP_1) | instskip(SKIP_2) | instid1(VALU_DEP_1)
	v_exp_f32_e32 v8, v8
	s_waitcnt_depctr 0xfff
	v_fma_f32 v2, v8, v2, 1.0
	v_cmp_gt_f32_e32 vcc_lo, 0x800000, v2
	v_cndmask_b32_e64 v8, 1.0, 0x4f800000, vcc_lo
	s_delay_alu instid0(VALU_DEP_1) | instskip(SKIP_2) | instid1(VALU_DEP_3)
	v_mul_f32_e32 v2, v2, v8
	v_cndmask_b32_e64 v8, 0, 0x42000000, vcc_lo
	v_cmp_lt_f32_e32 vcc_lo, 0x41a00000, v1
	v_log_f32_e32 v2, v2
	s_waitcnt_depctr 0xfff
	v_sub_f32_e32 v2, v2, v8
	s_delay_alu instid0(VALU_DEP_1) | instskip(NEXT) | instid1(VALU_DEP_1)
	v_mul_f32_e32 v2, 0x3f317218, v2
	v_cndmask_b32_e32 v1, v2, v1, vcc_lo
	s_delay_alu instid0(VALU_DEP_1) | instskip(SKIP_1) | instid1(VALU_DEP_2)
	v_mul_f32_e32 v2, 0x4f800000, v1
	v_cmp_gt_f32_e32 vcc_lo, 0xf800000, v1
	v_cndmask_b32_e32 v1, v1, v2, vcc_lo
	s_delay_alu instid0(VALU_DEP_1) | instskip(SKIP_3) | instid1(VALU_DEP_2)
	v_sqrt_f32_e32 v2, v1
	s_waitcnt_depctr 0xfff
	v_add_nc_u32_e32 v8, -1, v2
	v_add_nc_u32_e32 v11, 1, v2
	v_fma_f32 v13, -v8, v2, v1
	s_delay_alu instid0(VALU_DEP_2) | instskip(NEXT) | instid1(VALU_DEP_2)
	v_fma_f32 v14, -v11, v2, v1
	v_cmp_ge_f32_e64 s2, 0, v13
	s_delay_alu instid0(VALU_DEP_1) | instskip(NEXT) | instid1(VALU_DEP_3)
	v_cndmask_b32_e64 v2, v2, v8, s2
	v_cmp_lt_f32_e64 s2, 0, v14
	s_delay_alu instid0(VALU_DEP_1) | instskip(NEXT) | instid1(VALU_DEP_1)
	v_cndmask_b32_e64 v2, v2, v11, s2
	v_mul_f32_e32 v8, 0x37800000, v2
	s_delay_alu instid0(VALU_DEP_1) | instskip(SKIP_1) | instid1(VALU_DEP_2)
	v_cndmask_b32_e32 v2, v2, v8, vcc_lo
	v_cmp_class_f32_e64 vcc_lo, v1, 0x260
	v_cndmask_b32_e32 v1, v2, v1, vcc_lo
	v_cmp_ne_u32_e32 vcc_lo, 1, v4
	s_delay_alu instid0(VALU_DEP_2)
	v_mov_b32_e32 v2, v1
	s_cbranch_vccnz .LBB24_8
; %bb.7:
	global_load_b32 v2, v3, s[6:7] offset:384
	s_waitcnt vmcnt(0)
	v_add_f32_e32 v2, v1, v2
.LBB24_8:
	v_cmp_lt_f32_e32 vcc_lo, v6, v10
	v_add_nc_u32_e32 v13, 32, v0
	v_add_nc_u32_e32 v14, 64, v0
	s_mov_b32 s2, exec_lo
	v_mov_b32_e32 v16, v7
	v_cndmask_b32_e32 v8, v9, v5, vcc_lo
	v_dual_cndmask_b32 v5, v5, v9 :: v_dual_add_nc_u32 v4, 0x60, v0
	v_cndmask_b32_e32 v11, v13, v0, vcc_lo
	v_cndmask_b32_e32 v13, v0, v13, vcc_lo
	;; [unrolled: 1-line block ×4, first 2 shown]
	v_cmpx_lt_f32_e32 v7, v2
	s_xor_b32 s2, exec_lo, s2
; %bb.9:
	v_dual_mov_b32 v17, v7 :: v_dual_mov_b32 v16, v2
	v_dual_mov_b32 v6, v12 :: v_dual_mov_b32 v15, v14
	v_swap_b32 v12, v1
	v_swap_b32 v14, v4
	s_delay_alu instid0(VALU_DEP_4)
	v_dual_mov_b32 v7, v2 :: v_dual_mov_b32 v2, v17
; %bb.10:
	s_or_b32 exec_lo, exec_lo, s2
	s_delay_alu instid0(VALU_DEP_1) | instskip(SKIP_1) | instid1(VALU_DEP_3)
	v_cmp_lt_f32_e32 vcc_lo, v10, v7
	s_mov_b32 s2, exec_lo
	v_dual_cndmask_b32 v15, v12, v5 :: v_dual_cndmask_b32 v6, v13, v14
	v_dual_cndmask_b32 v5, v5, v12 :: v_dual_cndmask_b32 v12, v14, v13
	v_dual_cndmask_b32 v13, v16, v10 :: v_dual_mov_b32 v14, v9
	v_cndmask_b32_e32 v7, v10, v7, vcc_lo
	v_cmpx_lt_f32_e32 v9, v2
; %bb.11:
	v_mov_b32_e32 v16, v9
	v_dual_mov_b32 v10, v8 :: v_dual_mov_b32 v9, v2
	v_mov_b32_e32 v14, v11
	v_swap_b32 v8, v1
	v_swap_b32 v11, v4
	v_mov_b32_e32 v14, v2
	v_mov_b32_e32 v2, v16
; %bb.12:
	s_or_b32 exec_lo, exec_lo, s2
	s_clause 0x1
	s_load_b32 s8, s[0:1], 0x28
	s_load_b128 s[4:7], s[0:1], 0x10
	s_waitcnt lgkmcnt(0)
	s_cmp_lt_i32 s8, 1
	s_cbranch_scc1 .LBB24_18
; %bb.13:
	v_cmp_lt_f32_e32 vcc_lo, v9, v13
	v_dual_mov_b32 v16, 0 :: v_dual_mov_b32 v17, v0
	s_mov_b32 s9, 0x76543210
	s_mov_b32 s10, s8
	v_dual_cndmask_b32 v10, v12, v11 :: v_dual_cndmask_b32 v11, v11, v12
	v_cndmask_b32_e32 v12, v13, v9, vcc_lo
	v_dual_cndmask_b32 v13, v14, v13 :: v_dual_cndmask_b32 v14, v15, v8
	v_cndmask_b32_e32 v15, v8, v15, vcc_lo
	v_dual_mov_b32 v9, 0 :: v_dual_mov_b32 v8, 0
.LBB24_14:                              ; =>This Inner Loop Header: Depth=1
	v_cmp_eq_u32_e32 vcc_lo, 1, v16
	v_cmp_eq_u32_e64 s2, 2, v16
	v_cmp_gt_u32_e64 s3, 4, v16
	v_dual_cndmask_b32 v18, v7, v13 :: v_dual_cndmask_b32 v19, v6, v11
	v_cndmask_b32_e32 v20, v5, v15, vcc_lo
	v_cmp_eq_u32_e32 vcc_lo, 3, v16
	s_delay_alu instid0(VALU_DEP_3) | instskip(NEXT) | instid1(VALU_DEP_4)
	v_cndmask_b32_e64 v18, v18, v12, s2
	v_cndmask_b32_e64 v19, v19, v10, s2
	s_delay_alu instid0(VALU_DEP_1) | instskip(NEXT) | instid1(VALU_DEP_1)
	v_dual_cndmask_b32 v18, v18, v2 :: v_dual_cndmask_b32 v19, v19, v4
	v_cndmask_b32_e64 v18, 0xff800000, v18, s3
	;;#ASMSTART
	v_max_f32 v21, v18, v18 quad_perm:[1,0,3,2] row_mask:0xf bank_mask:0xf bound_ctrl:1
	;;#ASMEND
	;;#ASMSTART
	v_max_f32 v22, v21, v21 quad_perm:[2,3,0,1] row_mask:0xf bank_mask:0xf bound_ctrl:1
	;;#ASMEND
	;;#ASMSTART
	v_max_f32 v21, v22, v22 row_half_mirror row_mask:0xf bank_mask:0xf bound_ctrl:1
	;;#ASMEND
	;;#ASMSTART
	v_max_f32 v22, v21, v21 row_mirror row_mask:0xf bank_mask:0xf bound_ctrl:1
	;;#ASMEND
	v_permlanex16_b32 v21, v22, s9, 0xfedcba98 op_sel:[1,1]
	s_delay_alu instid0(VALU_DEP_1) | instskip(NEXT) | instid1(VALU_DEP_1)
	v_dual_max_f32 v22, v22, v22 :: v_dual_max_f32 v21, v21, v21
	v_max_f32_e32 v21, v22, v21
	v_cndmask_b32_e64 v20, v20, v14, s2
	s_delay_alu instid0(VALU_DEP_2) | instskip(SKIP_1) | instid1(VALU_DEP_2)
	v_cmp_eq_f32_e64 s2, v18, v21
	v_cndmask_b32_e64 v18, 0, v19, s3
	s_ctz_i32_b32 s11, s2
	s_cmp_lg_u32 s2, 0
	s_cselect_b32 s2, s11, 0
	s_add_i32 s10, s10, -1
	v_readlane_b32 s11, v18, s2
	v_cndmask_b32_e32 v18, v20, v1, vcc_lo
	s_delay_alu instid0(VALU_DEP_2)
	v_cmp_eq_u32_e32 vcc_lo, s11, v19
	s_and_b32 s2, s11, 31
	s_and_b32 vcc_lo, s3, vcc_lo
	s_cmp_eq_u32 s10, 0
	v_cndmask_b32_e32 v18, 0, v18, vcc_lo
	v_add_co_ci_u32_e32 v16, vcc_lo, 0, v16, vcc_lo
	s_delay_alu instid0(VALU_DEP_2) | instskip(SKIP_2) | instid1(VALU_DEP_2)
	v_readlane_b32 s3, v18, s2
	v_cmp_eq_u32_e64 s2, 0, v17
	v_add_nc_u32_e32 v17, -1, v17
	v_cndmask_b32_e64 v9, v9, s3, s2
	v_cndmask_b32_e64 v8, v8, s11, s2
	s_cbranch_scc0 .LBB24_14
; %bb.15:
	s_mov_b32 s2, exec_lo
	v_cmpx_gt_i32_e64 s8, v0
	s_cbranch_execz .LBB24_17
.LBB24_16:
	s_clause 0x1
	s_load_b64 s[2:3], s[0:1], 0x20
	s_load_b32 s8, s[0:1], 0x30
	s_ashr_i32 s0, s15, 31
	s_waitcnt lgkmcnt(0)
	s_mul_i32 s1, s15, s3
	s_mul_hi_u32 s3, s15, s2
	s_mul_i32 s0, s0, s2
	s_add_i32 s1, s3, s1
	v_mul_f32_e32 v0, s8, v9
	s_add_i32 s1, s1, s0
	s_mul_i32 s0, s15, s2
	s_delay_alu instid0(SALU_CYCLE_1) | instskip(NEXT) | instid1(SALU_CYCLE_1)
	s_lshl_b64 s[0:1], s[0:1], 2
	s_add_u32 s2, s4, s0
	s_addc_u32 s3, s5, s1
	s_add_u32 s0, s6, s0
	s_addc_u32 s1, s7, s1
	s_clause 0x1
	global_store_b32 v3, v0, s[2:3]
	global_store_b32 v3, v8, s[0:1]
.LBB24_17:
	s_nop 0
	s_sendmsg sendmsg(MSG_DEALLOC_VGPRS)
	s_endpgm
.LBB24_18:
	v_dual_mov_b32 v8, 0 :: v_dual_mov_b32 v9, 0
	s_mov_b32 s2, exec_lo
	v_cmpx_gt_i32_e64 s8, v0
	s_cbranch_execnz .LBB24_16
	s_branch .LBB24_17
	.section	.rodata,"a",@progbits
	.p2align	6, 0x0
	.amdhsa_kernel _ZN5aiter24topk_softplus_kernel_optIffLi128ELb0ELi0EEEvPKT_PKT0_PfPimiif
		.amdhsa_group_segment_fixed_size 0
		.amdhsa_private_segment_fixed_size 0
		.amdhsa_kernarg_size 52
		.amdhsa_user_sgpr_count 15
		.amdhsa_user_sgpr_dispatch_ptr 0
		.amdhsa_user_sgpr_queue_ptr 0
		.amdhsa_user_sgpr_kernarg_segment_ptr 1
		.amdhsa_user_sgpr_dispatch_id 0
		.amdhsa_user_sgpr_private_segment_size 0
		.amdhsa_wavefront_size32 1
		.amdhsa_uses_dynamic_stack 0
		.amdhsa_enable_private_segment 0
		.amdhsa_system_sgpr_workgroup_id_x 1
		.amdhsa_system_sgpr_workgroup_id_y 0
		.amdhsa_system_sgpr_workgroup_id_z 0
		.amdhsa_system_sgpr_workgroup_info 0
		.amdhsa_system_vgpr_workitem_id 0
		.amdhsa_next_free_vgpr 23
		.amdhsa_next_free_sgpr 16
		.amdhsa_reserve_vcc 1
		.amdhsa_float_round_mode_32 0
		.amdhsa_float_round_mode_16_64 0
		.amdhsa_float_denorm_mode_32 3
		.amdhsa_float_denorm_mode_16_64 3
		.amdhsa_dx10_clamp 1
		.amdhsa_ieee_mode 1
		.amdhsa_fp16_overflow 0
		.amdhsa_workgroup_processor_mode 1
		.amdhsa_memory_ordered 1
		.amdhsa_forward_progress 0
		.amdhsa_shared_vgpr_count 0
		.amdhsa_exception_fp_ieee_invalid_op 0
		.amdhsa_exception_fp_denorm_src 0
		.amdhsa_exception_fp_ieee_div_zero 0
		.amdhsa_exception_fp_ieee_overflow 0
		.amdhsa_exception_fp_ieee_underflow 0
		.amdhsa_exception_fp_ieee_inexact 0
		.amdhsa_exception_int_div_zero 0
	.end_amdhsa_kernel
	.section	.text._ZN5aiter24topk_softplus_kernel_optIffLi128ELb0ELi0EEEvPKT_PKT0_PfPimiif,"axG",@progbits,_ZN5aiter24topk_softplus_kernel_optIffLi128ELb0ELi0EEEvPKT_PKT0_PfPimiif,comdat
.Lfunc_end24:
	.size	_ZN5aiter24topk_softplus_kernel_optIffLi128ELb0ELi0EEEvPKT_PKT0_PfPimiif, .Lfunc_end24-_ZN5aiter24topk_softplus_kernel_optIffLi128ELb0ELi0EEEvPKT_PKT0_PfPimiif
                                        ; -- End function
	.section	.AMDGPU.csdata,"",@progbits
; Kernel info:
; codeLenInByte = 2124
; NumSgprs: 18
; NumVgprs: 23
; ScratchSize: 0
; MemoryBound: 0
; FloatMode: 240
; IeeeMode: 1
; LDSByteSize: 0 bytes/workgroup (compile time only)
; SGPRBlocks: 2
; VGPRBlocks: 2
; NumSGPRsForWavesPerEU: 18
; NumVGPRsForWavesPerEU: 23
; Occupancy: 16
; WaveLimiterHint : 0
; COMPUTE_PGM_RSRC2:SCRATCH_EN: 0
; COMPUTE_PGM_RSRC2:USER_SGPR: 15
; COMPUTE_PGM_RSRC2:TRAP_HANDLER: 0
; COMPUTE_PGM_RSRC2:TGID_X_EN: 1
; COMPUTE_PGM_RSRC2:TGID_Y_EN: 0
; COMPUTE_PGM_RSRC2:TGID_Z_EN: 0
; COMPUTE_PGM_RSRC2:TIDIG_COMP_CNT: 0
	.section	.text._ZN5aiter24topk_softplus_kernel_optIffLi256ELb1ELi0EEEvPKT_PKT0_PfPimiif,"axG",@progbits,_ZN5aiter24topk_softplus_kernel_optIffLi256ELb1ELi0EEEvPKT_PKT0_PfPimiif,comdat
	.protected	_ZN5aiter24topk_softplus_kernel_optIffLi256ELb1ELi0EEEvPKT_PKT0_PfPimiif ; -- Begin function _ZN5aiter24topk_softplus_kernel_optIffLi256ELb1ELi0EEEvPKT_PKT0_PfPimiif
	.globl	_ZN5aiter24topk_softplus_kernel_optIffLi256ELb1ELi0EEEvPKT_PKT0_PfPimiif
	.p2align	8
	.type	_ZN5aiter24topk_softplus_kernel_optIffLi256ELb1ELi0EEEvPKT_PKT0_PfPimiif,@function
_ZN5aiter24topk_softplus_kernel_optIffLi256ELb1ELi0EEEvPKT_PKT0_PfPimiif: ; @_ZN5aiter24topk_softplus_kernel_optIffLi256ELb1ELi0EEEvPKT_PKT0_PfPimiif
; %bb.0:
	s_load_b128 s[4:7], s[0:1], 0x0
	s_lshl_b32 s2, s15, 8
	v_lshlrev_b32_e32 v96, 2, v0
	s_ashr_i32 s3, s2, 31
	s_delay_alu instid0(SALU_CYCLE_1)
	s_lshl_b64 s[2:3], s[2:3], 2
	s_waitcnt lgkmcnt(0)
	s_add_u32 s4, s4, s2
	s_addc_u32 s5, s5, s3
	s_cmp_lg_u64 s[6:7], 0
	global_load_b32 v1, v96, s[4:5]
	s_cselect_b32 s3, -1, 0
	s_waitcnt vmcnt(0)
	v_mul_f32_e32 v2, 0x3fb8aa3b, v1
	s_delay_alu instid0(VALU_DEP_1) | instskip(SKIP_2) | instid1(VALU_DEP_2)
	v_cmp_gt_f32_e32 vcc_lo, 0xc2fc0000, v2
	v_cndmask_b32_e64 v2, 0, 0x42800000, vcc_lo
	v_cndmask_b32_e64 v3, 1.0, 0x1f800000, vcc_lo
	v_fmac_f32_e32 v2, 0x3fb8aa3b, v1
	s_delay_alu instid0(VALU_DEP_1) | instskip(SKIP_2) | instid1(VALU_DEP_1)
	v_exp_f32_e32 v2, v2
	s_waitcnt_depctr 0xfff
	v_fma_f32 v2, v2, v3, 1.0
	v_cmp_gt_f32_e32 vcc_lo, 0x800000, v2
	v_cndmask_b32_e64 v3, 1.0, 0x4f800000, vcc_lo
	s_delay_alu instid0(VALU_DEP_1) | instskip(SKIP_2) | instid1(VALU_DEP_3)
	v_mul_f32_e32 v2, v2, v3
	v_cndmask_b32_e64 v3, 0, 0x42000000, vcc_lo
	v_cmp_lt_f32_e32 vcc_lo, 0x41a00000, v1
	v_log_f32_e32 v2, v2
	s_waitcnt_depctr 0xfff
	v_sub_f32_e32 v2, v2, v3
	s_delay_alu instid0(VALU_DEP_1) | instskip(NEXT) | instid1(VALU_DEP_1)
	v_mul_f32_e32 v2, 0x3f317218, v2
	v_cndmask_b32_e32 v1, v2, v1, vcc_lo
	s_delay_alu instid0(VALU_DEP_1) | instskip(SKIP_1) | instid1(VALU_DEP_2)
	v_mul_f32_e32 v2, 0x4f800000, v1
	v_cmp_gt_f32_e32 vcc_lo, 0xf800000, v1
	v_cndmask_b32_e32 v1, v1, v2, vcc_lo
	s_delay_alu instid0(VALU_DEP_1) | instskip(SKIP_3) | instid1(VALU_DEP_2)
	v_sqrt_f32_e32 v2, v1
	s_waitcnt_depctr 0xfff
	v_add_nc_u32_e32 v3, -1, v2
	v_add_nc_u32_e32 v4, 1, v2
	v_fma_f32 v5, -v3, v2, v1
	s_delay_alu instid0(VALU_DEP_2) | instskip(NEXT) | instid1(VALU_DEP_2)
	v_fma_f32 v6, -v4, v2, v1
	v_cmp_ge_f32_e64 s2, 0, v5
	s_delay_alu instid0(VALU_DEP_1) | instskip(NEXT) | instid1(VALU_DEP_3)
	v_cndmask_b32_e64 v2, v2, v3, s2
	v_cmp_lt_f32_e64 s2, 0, v6
	s_delay_alu instid0(VALU_DEP_1) | instskip(NEXT) | instid1(VALU_DEP_1)
	v_cndmask_b32_e64 v2, v2, v4, s2
	v_mul_f32_e32 v3, 0x37800000, v2
	s_delay_alu instid0(VALU_DEP_1) | instskip(SKIP_1) | instid1(VALU_DEP_2)
	v_cndmask_b32_e32 v2, v2, v3, vcc_lo
	v_cmp_class_f32_e64 vcc_lo, v1, 0x260
	v_cndmask_b32_e32 v56, v2, v1, vcc_lo
	v_add_co_u32 v1, s2, s4, v96
	s_delay_alu instid0(VALU_DEP_1) | instskip(NEXT) | instid1(VALU_DEP_3)
	v_add_co_ci_u32_e64 v2, null, s5, 0, s2
	v_mov_b32_e32 v24, v56
	s_and_b32 vcc_lo, exec_lo, s3
	s_cbranch_vccz .LBB25_2
; %bb.1:
	global_load_b32 v3, v96, s[6:7]
	s_waitcnt vmcnt(0)
	v_add_f32_e32 v24, v56, v3
.LBB25_2:
	global_load_b32 v3, v[1:2], off offset:128
	s_waitcnt vmcnt(0)
	v_mul_f32_e32 v4, 0x3fb8aa3b, v3
	s_delay_alu instid0(VALU_DEP_1) | instskip(SKIP_2) | instid1(VALU_DEP_2)
	v_cmp_gt_f32_e32 vcc_lo, 0xc2fc0000, v4
	v_cndmask_b32_e64 v5, 0, 0x42800000, vcc_lo
	v_cndmask_b32_e64 v4, 1.0, 0x1f800000, vcc_lo
	v_fmac_f32_e32 v5, 0x3fb8aa3b, v3
	s_delay_alu instid0(VALU_DEP_1) | instskip(SKIP_2) | instid1(VALU_DEP_1)
	v_exp_f32_e32 v5, v5
	s_waitcnt_depctr 0xfff
	v_fma_f32 v4, v5, v4, 1.0
	v_cmp_gt_f32_e32 vcc_lo, 0x800000, v4
	v_cndmask_b32_e64 v5, 1.0, 0x4f800000, vcc_lo
	s_delay_alu instid0(VALU_DEP_1) | instskip(SKIP_2) | instid1(VALU_DEP_3)
	v_mul_f32_e32 v4, v4, v5
	v_cndmask_b32_e64 v5, 0, 0x42000000, vcc_lo
	v_cmp_lt_f32_e32 vcc_lo, 0x41a00000, v3
	v_log_f32_e32 v4, v4
	s_waitcnt_depctr 0xfff
	v_sub_f32_e32 v4, v4, v5
	s_delay_alu instid0(VALU_DEP_1) | instskip(NEXT) | instid1(VALU_DEP_1)
	v_mul_f32_e32 v4, 0x3f317218, v4
	v_cndmask_b32_e32 v3, v4, v3, vcc_lo
	s_delay_alu instid0(VALU_DEP_1) | instskip(SKIP_1) | instid1(VALU_DEP_2)
	v_mul_f32_e32 v4, 0x4f800000, v3
	v_cmp_gt_f32_e32 vcc_lo, 0xf800000, v3
	v_cndmask_b32_e32 v4, v3, v4, vcc_lo
	s_delay_alu instid0(VALU_DEP_1) | instskip(SKIP_3) | instid1(VALU_DEP_2)
	v_sqrt_f32_e32 v3, v4
	s_waitcnt_depctr 0xfff
	v_add_nc_u32_e32 v5, -1, v3
	v_add_nc_u32_e32 v6, 1, v3
	v_fma_f32 v7, -v5, v3, v4
	s_delay_alu instid0(VALU_DEP_2) | instskip(NEXT) | instid1(VALU_DEP_2)
	v_fma_f32 v8, -v6, v3, v4
	v_cmp_ge_f32_e64 s2, 0, v7
	s_delay_alu instid0(VALU_DEP_1) | instskip(NEXT) | instid1(VALU_DEP_3)
	v_cndmask_b32_e64 v3, v3, v5, s2
	v_cmp_lt_f32_e64 s2, 0, v8
	s_delay_alu instid0(VALU_DEP_1) | instskip(NEXT) | instid1(VALU_DEP_1)
	v_cndmask_b32_e64 v3, v3, v6, s2
	v_mul_f32_e32 v5, 0x37800000, v3
	s_delay_alu instid0(VALU_DEP_1) | instskip(SKIP_2) | instid1(VALU_DEP_3)
	v_cndmask_b32_e32 v5, v3, v5, vcc_lo
	v_cmp_class_f32_e64 vcc_lo, v4, 0x260
	v_cndmask_b32_e64 v3, 0, 1, s3
	v_cndmask_b32_e32 v9, v5, v4, vcc_lo
	s_and_not1_b32 vcc_lo, exec_lo, s3
	s_delay_alu instid0(VALU_DEP_1)
	v_mov_b32_e32 v25, v9
	s_cbranch_vccnz .LBB25_4
; %bb.3:
	global_load_b32 v4, v96, s[6:7] offset:128
	s_waitcnt vmcnt(0)
	v_add_f32_e32 v25, v9, v4
.LBB25_4:
	global_load_b32 v4, v[1:2], off offset:256
	s_waitcnt vmcnt(0)
	v_mul_f32_e32 v5, 0x3fb8aa3b, v4
	s_delay_alu instid0(VALU_DEP_1) | instskip(SKIP_2) | instid1(VALU_DEP_2)
	v_cmp_gt_f32_e32 vcc_lo, 0xc2fc0000, v5
	v_cndmask_b32_e64 v6, 0, 0x42800000, vcc_lo
	v_cndmask_b32_e64 v5, 1.0, 0x1f800000, vcc_lo
	v_fmac_f32_e32 v6, 0x3fb8aa3b, v4
	s_delay_alu instid0(VALU_DEP_1) | instskip(SKIP_2) | instid1(VALU_DEP_1)
	v_exp_f32_e32 v6, v6
	s_waitcnt_depctr 0xfff
	v_fma_f32 v5, v6, v5, 1.0
	v_cmp_gt_f32_e32 vcc_lo, 0x800000, v5
	v_cndmask_b32_e64 v6, 1.0, 0x4f800000, vcc_lo
	s_delay_alu instid0(VALU_DEP_1) | instskip(SKIP_2) | instid1(VALU_DEP_3)
	v_mul_f32_e32 v5, v5, v6
	v_cndmask_b32_e64 v6, 0, 0x42000000, vcc_lo
	v_cmp_lt_f32_e32 vcc_lo, 0x41a00000, v4
	v_log_f32_e32 v5, v5
	s_waitcnt_depctr 0xfff
	v_sub_f32_e32 v5, v5, v6
	s_delay_alu instid0(VALU_DEP_1) | instskip(NEXT) | instid1(VALU_DEP_1)
	v_mul_f32_e32 v5, 0x3f317218, v5
	v_cndmask_b32_e32 v4, v5, v4, vcc_lo
	s_delay_alu instid0(VALU_DEP_1) | instskip(SKIP_1) | instid1(VALU_DEP_2)
	v_mul_f32_e32 v5, 0x4f800000, v4
	v_cmp_gt_f32_e32 vcc_lo, 0xf800000, v4
	v_cndmask_b32_e32 v4, v4, v5, vcc_lo
	s_delay_alu instid0(VALU_DEP_1) | instskip(SKIP_3) | instid1(VALU_DEP_2)
	v_sqrt_f32_e32 v5, v4
	s_waitcnt_depctr 0xfff
	v_add_nc_u32_e32 v6, -1, v5
	v_add_nc_u32_e32 v7, 1, v5
	v_fma_f32 v8, -v6, v5, v4
	s_delay_alu instid0(VALU_DEP_2) | instskip(NEXT) | instid1(VALU_DEP_2)
	v_fma_f32 v10, -v7, v5, v4
	v_cmp_ge_f32_e64 s2, 0, v8
	s_delay_alu instid0(VALU_DEP_1) | instskip(NEXT) | instid1(VALU_DEP_3)
	v_cndmask_b32_e64 v5, v5, v6, s2
	v_cmp_lt_f32_e64 s2, 0, v10
	s_delay_alu instid0(VALU_DEP_1) | instskip(NEXT) | instid1(VALU_DEP_1)
	v_cndmask_b32_e64 v5, v5, v7, s2
	v_mul_f32_e32 v6, 0x37800000, v5
	s_delay_alu instid0(VALU_DEP_1) | instskip(SKIP_1) | instid1(VALU_DEP_2)
	v_cndmask_b32_e32 v5, v5, v6, vcc_lo
	v_cmp_class_f32_e64 vcc_lo, v4, 0x260
	v_cndmask_b32_e32 v10, v5, v4, vcc_lo
	v_cmp_ne_u32_e32 vcc_lo, 1, v3
	s_delay_alu instid0(VALU_DEP_2)
	v_mov_b32_e32 v26, v10
	s_cbranch_vccnz .LBB25_6
; %bb.5:
	global_load_b32 v4, v96, s[6:7] offset:256
	s_waitcnt vmcnt(0)
	v_add_f32_e32 v26, v10, v4
.LBB25_6:
	global_load_b32 v4, v[1:2], off offset:384
	s_waitcnt vmcnt(0)
	v_mul_f32_e32 v5, 0x3fb8aa3b, v4
	s_delay_alu instid0(VALU_DEP_1) | instskip(SKIP_2) | instid1(VALU_DEP_2)
	v_cmp_gt_f32_e32 vcc_lo, 0xc2fc0000, v5
	v_cndmask_b32_e64 v6, 0, 0x42800000, vcc_lo
	v_cndmask_b32_e64 v5, 1.0, 0x1f800000, vcc_lo
	v_fmac_f32_e32 v6, 0x3fb8aa3b, v4
	s_delay_alu instid0(VALU_DEP_1) | instskip(SKIP_2) | instid1(VALU_DEP_1)
	v_exp_f32_e32 v6, v6
	s_waitcnt_depctr 0xfff
	v_fma_f32 v5, v6, v5, 1.0
	v_cmp_gt_f32_e32 vcc_lo, 0x800000, v5
	v_cndmask_b32_e64 v6, 1.0, 0x4f800000, vcc_lo
	s_delay_alu instid0(VALU_DEP_1) | instskip(SKIP_2) | instid1(VALU_DEP_3)
	v_mul_f32_e32 v5, v5, v6
	v_cndmask_b32_e64 v6, 0, 0x42000000, vcc_lo
	v_cmp_lt_f32_e32 vcc_lo, 0x41a00000, v4
	v_log_f32_e32 v5, v5
	s_waitcnt_depctr 0xfff
	v_sub_f32_e32 v5, v5, v6
	s_delay_alu instid0(VALU_DEP_1) | instskip(NEXT) | instid1(VALU_DEP_1)
	v_mul_f32_e32 v5, 0x3f317218, v5
	v_cndmask_b32_e32 v4, v5, v4, vcc_lo
	s_delay_alu instid0(VALU_DEP_1) | instskip(SKIP_1) | instid1(VALU_DEP_2)
	v_mul_f32_e32 v5, 0x4f800000, v4
	v_cmp_gt_f32_e32 vcc_lo, 0xf800000, v4
	v_cndmask_b32_e32 v4, v4, v5, vcc_lo
	s_delay_alu instid0(VALU_DEP_1) | instskip(SKIP_3) | instid1(VALU_DEP_2)
	v_sqrt_f32_e32 v5, v4
	s_waitcnt_depctr 0xfff
	v_add_nc_u32_e32 v6, -1, v5
	v_add_nc_u32_e32 v7, 1, v5
	v_fma_f32 v8, -v6, v5, v4
	s_delay_alu instid0(VALU_DEP_2) | instskip(NEXT) | instid1(VALU_DEP_2)
	v_fma_f32 v11, -v7, v5, v4
	v_cmp_ge_f32_e64 s2, 0, v8
	s_delay_alu instid0(VALU_DEP_1) | instskip(NEXT) | instid1(VALU_DEP_3)
	v_cndmask_b32_e64 v5, v5, v6, s2
	v_cmp_lt_f32_e64 s2, 0, v11
	s_delay_alu instid0(VALU_DEP_1) | instskip(NEXT) | instid1(VALU_DEP_1)
	v_cndmask_b32_e64 v5, v5, v7, s2
	v_mul_f32_e32 v6, 0x37800000, v5
	s_delay_alu instid0(VALU_DEP_1) | instskip(SKIP_1) | instid1(VALU_DEP_2)
	v_cndmask_b32_e32 v5, v5, v6, vcc_lo
	v_cmp_class_f32_e64 vcc_lo, v4, 0x260
	v_cndmask_b32_e32 v11, v5, v4, vcc_lo
	v_cmp_ne_u32_e32 vcc_lo, 1, v3
	s_delay_alu instid0(VALU_DEP_2)
	;; [unrolled: 56-line block ×5, first 2 shown]
	v_mov_b32_e32 v30, v14
	s_cbranch_vccnz .LBB25_14
; %bb.13:
	global_load_b32 v4, v96, s[6:7] offset:768
	s_waitcnt vmcnt(0)
	v_add_f32_e32 v30, v14, v4
.LBB25_14:
	global_load_b32 v1, v[1:2], off offset:896
	s_waitcnt vmcnt(0)
	v_mul_f32_e32 v2, 0x3fb8aa3b, v1
	s_delay_alu instid0(VALU_DEP_1) | instskip(SKIP_2) | instid1(VALU_DEP_2)
	v_cmp_gt_f32_e32 vcc_lo, 0xc2fc0000, v2
	v_cndmask_b32_e64 v4, 0, 0x42800000, vcc_lo
	v_cndmask_b32_e64 v2, 1.0, 0x1f800000, vcc_lo
	v_fmac_f32_e32 v4, 0x3fb8aa3b, v1
	s_delay_alu instid0(VALU_DEP_1) | instskip(SKIP_2) | instid1(VALU_DEP_1)
	v_exp_f32_e32 v4, v4
	s_waitcnt_depctr 0xfff
	v_fma_f32 v2, v4, v2, 1.0
	v_cmp_gt_f32_e32 vcc_lo, 0x800000, v2
	v_cndmask_b32_e64 v4, 1.0, 0x4f800000, vcc_lo
	s_delay_alu instid0(VALU_DEP_1) | instskip(SKIP_2) | instid1(VALU_DEP_3)
	v_mul_f32_e32 v2, v2, v4
	v_cndmask_b32_e64 v4, 0, 0x42000000, vcc_lo
	v_cmp_lt_f32_e32 vcc_lo, 0x41a00000, v1
	v_log_f32_e32 v2, v2
	s_waitcnt_depctr 0xfff
	v_sub_f32_e32 v2, v2, v4
	s_delay_alu instid0(VALU_DEP_1) | instskip(NEXT) | instid1(VALU_DEP_1)
	v_mul_f32_e32 v2, 0x3f317218, v2
	v_cndmask_b32_e32 v1, v2, v1, vcc_lo
	s_delay_alu instid0(VALU_DEP_1) | instskip(SKIP_1) | instid1(VALU_DEP_2)
	v_mul_f32_e32 v2, 0x4f800000, v1
	v_cmp_gt_f32_e32 vcc_lo, 0xf800000, v1
	v_cndmask_b32_e32 v1, v1, v2, vcc_lo
	s_delay_alu instid0(VALU_DEP_1) | instskip(SKIP_3) | instid1(VALU_DEP_2)
	v_sqrt_f32_e32 v2, v1
	s_waitcnt_depctr 0xfff
	v_add_nc_u32_e32 v4, -1, v2
	v_add_nc_u32_e32 v5, 1, v2
	v_fma_f32 v6, -v4, v2, v1
	s_delay_alu instid0(VALU_DEP_2) | instskip(NEXT) | instid1(VALU_DEP_2)
	v_fma_f32 v7, -v5, v2, v1
	v_cmp_ge_f32_e64 s2, 0, v6
	s_delay_alu instid0(VALU_DEP_1) | instskip(NEXT) | instid1(VALU_DEP_3)
	v_cndmask_b32_e64 v2, v2, v4, s2
	v_cmp_lt_f32_e64 s2, 0, v7
	s_delay_alu instid0(VALU_DEP_1) | instskip(NEXT) | instid1(VALU_DEP_1)
	v_cndmask_b32_e64 v2, v2, v5, s2
	v_mul_f32_e32 v4, 0x37800000, v2
	s_delay_alu instid0(VALU_DEP_1) | instskip(SKIP_1) | instid1(VALU_DEP_2)
	v_cndmask_b32_e32 v2, v2, v4, vcc_lo
	v_cmp_class_f32_e64 vcc_lo, v1, 0x260
	v_cndmask_b32_e32 v15, v2, v1, vcc_lo
	v_cmp_ne_u32_e32 vcc_lo, 1, v3
	s_cbranch_vccnz .LBB25_16
; %bb.15:
	global_load_b32 v1, v96, s[6:7] offset:896
	s_waitcnt vmcnt(0)
	v_add_f32_e32 v31, v15, v1
	s_branch .LBB25_17
.LBB25_16:
	s_delay_alu instid0(VALU_DEP_2)
	v_mov_b32_e32 v31, v15
.LBB25_17:
	v_add_nc_u32_e32 v7, 0xe0, v0
	v_dual_mov_b32 v16, v24 :: v_dual_add_nc_u32 v1, 32, v0
	v_dual_mov_b32 v17, v25 :: v_dual_add_nc_u32 v2, 64, v0
	;; [unrolled: 1-line block ×6, first 2 shown]
	v_dual_mov_b32 v22, v30 :: v_dual_mov_b32 v39, v7
	s_delay_alu instid0(VALU_DEP_2)
	v_dual_mov_b32 v47, v7 :: v_dual_mov_b32 v46, v6
	v_dual_mov_b32 v71, v7 :: v_dual_mov_b32 v70, v6
	;; [unrolled: 1-line block ×16, first 2 shown]
	v_mov_b32_e32 v8, v56
	s_mov_b32 s2, exec_lo
	v_cmpx_lt_f32_e32 v24, v25
	s_xor_b32 s2, exec_lo, s2
	s_cbranch_execz .LBB25_19
; %bb.18:
	v_dual_mov_b32 v38, v6 :: v_dual_mov_b32 v39, v7
	v_dual_mov_b32 v32, v1 :: v_dual_mov_b32 v33, v0
	;; [unrolled: 1-line block ×4, first 2 shown]
	s_delay_alu instid0(VALU_DEP_4)
	v_dual_mov_b32 v47, v39 :: v_dual_mov_b32 v46, v38
	v_dual_mov_b32 v71, v39 :: v_dual_mov_b32 v70, v38
	;; [unrolled: 1-line block ×17, first 2 shown]
	v_mov_b32_e32 v9, v56
	v_mov_b32_e32 v1, v0
.LBB25_19:
	s_or_b32 exec_lo, exec_lo, s2
	v_dual_mov_b32 v63, v15 :: v_dual_mov_b32 v62, v14
	v_dual_mov_b32 v79, v15 :: v_dual_mov_b32 v78, v14
	;; [unrolled: 1-line block ×16, first 2 shown]
	v_mov_b32_e32 v24, v18
	s_mov_b32 s2, exec_lo
	v_cmpx_lt_f32_e32 v25, v18
	s_cbranch_execz .LBB25_21
; %bb.20:
	v_dual_mov_b32 v55, v39 :: v_dual_mov_b32 v54, v38
	v_dual_mov_b32 v51, v35 :: v_dual_mov_b32 v50, v34
	;; [unrolled: 1-line block ×16, first 2 shown]
	v_mov_b32_e32 v83, v11
	v_dual_mov_b32 v85, v93 :: v_dual_mov_b32 v86, v94
	v_dual_mov_b32 v87, v95 :: v_dual_mov_b32 v40, v64
	;; [unrolled: 1-line block ×3, first 2 shown]
	v_mov_b32_e32 v42, v66
	v_dual_mov_b32 v17, v18 :: v_dual_mov_b32 v72, v80
	v_dual_mov_b32 v41, v65 :: v_dual_mov_b32 v44, v68
	v_dual_mov_b32 v75, v83 :: v_dual_mov_b32 v76, v84
	v_dual_mov_b32 v43, v67 :: v_dual_mov_b32 v46, v70
	v_dual_mov_b32 v45, v69 :: v_dual_mov_b32 v44, v4
	v_dual_mov_b32 v47, v71 :: v_dual_mov_b32 v18, v25
	v_dual_mov_b32 v77, v85 :: v_dual_mov_b32 v78, v86
	v_dual_mov_b32 v79, v87 :: v_dual_mov_b32 v76, v12
	v_dual_mov_b32 v73, v81 :: v_dual_mov_b32 v74, v82
	v_dual_mov_b32 v32, v40 :: v_dual_mov_b32 v33, v41
	s_delay_alu instid0(VALU_DEP_2)
	v_dual_mov_b32 v56, v72 :: v_dual_mov_b32 v57, v73
	v_dual_mov_b32 v36, v44 :: v_dual_mov_b32 v37, v45
	;; [unrolled: 1-line block ×11, first 2 shown]
	v_mov_b32_e32 v2, v1
.LBB25_21:
	s_or_b32 exec_lo, exec_lo, s2
	v_mov_b32_e32 v1, v19
	s_mov_b32 s2, exec_lo
	v_cmpx_lt_f32_e32 v24, v19
	s_cbranch_execz .LBB25_23
; %bb.22:
	v_mov_b32_e32 v90, v11
	v_mov_b32_e32 v50, v3
	v_dual_mov_b32 v80, v88 :: v_dual_mov_b32 v81, v89
	v_dual_mov_b32 v71, v55 :: v_dual_mov_b32 v70, v54
	;; [unrolled: 1-line block ×3, first 2 shown]
	s_delay_alu instid0(VALU_DEP_4)
	v_dual_mov_b32 v83, v91 :: v_dual_mov_b32 v66, v50
	v_dual_mov_b32 v65, v49 :: v_dual_mov_b32 v68, v52
	;; [unrolled: 1-line block ×3, first 2 shown]
	v_mov_b32_e32 v67, v2
	v_dual_mov_b32 v82, v90 :: v_dual_mov_b32 v87, v95
	v_dual_mov_b32 v85, v93 :: v_dual_mov_b32 v86, v94
	;; [unrolled: 1-line block ×11, first 2 shown]
	v_mov_b32_e32 v44, v4
	v_dual_mov_b32 v56, v72 :: v_dual_mov_b32 v57, v73
	v_dual_mov_b32 v32, v40 :: v_dual_mov_b32 v35, v43
	;; [unrolled: 1-line block ×3, first 2 shown]
	s_delay_alu instid0(VALU_DEP_4)
	v_dual_mov_b32 v37, v45 :: v_dual_mov_b32 v36, v44
	v_dual_mov_b32 v39, v47 :: v_dual_mov_b32 v38, v46
	;; [unrolled: 1-line block ×3, first 2 shown]
	v_mov_b32_e32 v63, v79
	v_dual_mov_b32 v61, v77 :: v_dual_mov_b32 v62, v78
	v_mov_b32_e32 v39, v7
	v_dual_mov_b32 v18, v19 :: v_dual_mov_b32 v19, v24
	v_dual_mov_b32 v60, v76 :: v_dual_mov_b32 v37, v5
	;; [unrolled: 1-line block ×4, first 2 shown]
	v_mov_b32_e32 v1, v24
	v_mov_b32_e32 v11, v10
	;; [unrolled: 1-line block ×3, first 2 shown]
.LBB25_23:
	s_or_b32 exec_lo, exec_lo, s2
	v_mov_b32_e32 v2, v20
	s_mov_b32 s2, exec_lo
	v_cmpx_lt_f32_e32 v1, v20
	s_cbranch_execz .LBB25_25
; %bb.24:
	v_mov_b32_e32 v91, v12
	v_mov_b32_e32 v51, v4
	;; [unrolled: 1-line block ×4, first 2 shown]
	v_dual_mov_b32 v40, v48 :: v_dual_mov_b32 v41, v49
	v_dual_mov_b32 v42, v50 :: v_dual_mov_b32 v47, v55
	;; [unrolled: 1-line block ×4, first 2 shown]
	v_mov_b32_e32 v44, v3
	v_dual_mov_b32 v76, v11 :: v_dual_mov_b32 v19, v20
	v_dual_mov_b32 v45, v53 :: v_dual_mov_b32 v46, v54
	;; [unrolled: 1-line block ×4, first 2 shown]
	v_mov_b32_e32 v73, v89
	v_mov_b32_e32 v56, v72
	v_dual_mov_b32 v32, v40 :: v_dual_mov_b32 v33, v41
	v_dual_mov_b32 v60, v76 :: v_dual_mov_b32 v61, v77
	;; [unrolled: 1-line block ×9, first 2 shown]
	v_mov_b32_e32 v59, v75
	v_dual_mov_b32 v37, v5 :: v_dual_mov_b32 v38, v6
	v_dual_mov_b32 v39, v7 :: v_dual_mov_b32 v62, v14
	;; [unrolled: 1-line block ×10, first 2 shown]
	v_mov_b32_e32 v4, v3
.LBB25_25:
	s_or_b32 exec_lo, exec_lo, s2
	v_mov_b32_e32 v1, v21
	s_mov_b32 s2, exec_lo
	v_cmpx_lt_f32_e32 v2, v21
	s_cbranch_execz .LBB25_27
; %bb.26:
	v_mov_b32_e32 v68, v5
	v_dual_mov_b32 v20, v21 :: v_dual_mov_b32 v21, v2
	v_mov_b32_e32 v84, v13
	v_dual_mov_b32 v32, v64 :: v_dual_mov_b32 v33, v65
	v_dual_mov_b32 v39, v71 :: v_dual_mov_b32 v56, v80
	;; [unrolled: 1-line block ×7, first 2 shown]
	v_mov_b32_e32 v61, v12
	v_dual_mov_b32 v72, v80 :: v_dual_mov_b32 v73, v81
	v_dual_mov_b32 v40, v64 :: v_dual_mov_b32 v41, v65
	v_dual_mov_b32 v35, v67 :: v_dual_mov_b32 v36, v68
	v_dual_mov_b32 v39, v7 :: v_dual_mov_b32 v38, v6
	v_dual_mov_b32 v57, v81 :: v_dual_mov_b32 v62, v14
	v_dual_mov_b32 v63, v15 :: v_dual_mov_b32 v74, v82
	v_dual_mov_b32 v75, v83 :: v_dual_mov_b32 v76, v84
	v_dual_mov_b32 v77, v85 :: v_dual_mov_b32 v42, v66
	v_dual_mov_b32 v43, v67 :: v_dual_mov_b32 v44, v68
	v_mov_b32_e32 v45, v69
	v_mov_b32_e32 v1, v2
	;; [unrolled: 1-line block ×3, first 2 shown]
	v_dual_mov_b32 v5, v4 :: v_dual_mov_b32 v78, v86
	v_dual_mov_b32 v79, v87 :: v_dual_mov_b32 v46, v70
	v_mov_b32_e32 v47, v71
.LBB25_27:
	s_or_b32 exec_lo, exec_lo, s2
	v_mov_b32_e32 v2, v22
	s_mov_b32 s2, exec_lo
	v_cmpx_lt_f32_e32 v1, v22
	s_cbranch_execz .LBB25_29
; %bb.28:
	v_dual_mov_b32 v77, v14 :: v_dual_mov_b32 v78, v13
	v_dual_mov_b32 v45, v6 :: v_dual_mov_b32 v46, v5
	v_mov_b32_e32 v79, v15
	v_dual_mov_b32 v21, v22 :: v_dual_mov_b32 v22, v1
	v_dual_mov_b32 v47, v7 :: v_dual_mov_b32 v56, v72
	;; [unrolled: 1-line block ×10, first 2 shown]
.LBB25_29:
	s_or_b32 exec_lo, exec_lo, s2
	s_delay_alu instid0(VALU_DEP_1)
	v_cmp_lt_f32_e32 vcc_lo, v2, v23
	v_mov_b32_e32 v43, v59
	v_cmp_lt_f32_e64 s2, v16, v17
	v_dual_mov_b32 v41, v57 :: v_dual_mov_b32 v42, v58
	v_dual_cndmask_b32 v9, v23, v2 :: v_dual_mov_b32 v44, v60
	v_dual_cndmask_b32 v22, v22, v23 :: v_dual_cndmask_b32 v47, v63, v62
	s_delay_alu instid0(VALU_DEP_2)
	v_dual_mov_b32 v40, v56 :: v_dual_mov_b32 v23, v9
	v_dual_cndmask_b32 v46, v62, v63 :: v_dual_mov_b32 v1, v16
	v_dual_mov_b32 v4, v19 :: v_dual_mov_b32 v45, v61
	v_dual_cndmask_b32 v54, v38, v39 :: v_dual_cndmask_b32 v55, v39, v38
	v_dual_mov_b32 v2, v17 :: v_dual_mov_b32 v3, v18
	v_dual_mov_b32 v6, v21 :: v_dual_mov_b32 v5, v20
	;; [unrolled: 1-line block ×6, first 2 shown]
	s_and_saveexec_b32 s3, s2
	s_delay_alu instid0(SALU_CYCLE_1)
	s_xor_b32 s2, exec_lo, s3
	s_cbranch_execz .LBB25_31
; %bb.30:
	v_dual_mov_b32 v2, v17 :: v_dual_mov_b32 v3, v16
	v_dual_mov_b32 v4, v18 :: v_dual_mov_b32 v5, v19
	;; [unrolled: 1-line block ×4, first 2 shown]
	s_delay_alu instid0(VALU_DEP_4)
	v_dual_mov_b32 v1, v2 :: v_dual_mov_b32 v40, v57
	v_dual_mov_b32 v2, v3 :: v_dual_mov_b32 v41, v56
	;; [unrolled: 1-line block ×10, first 2 shown]
.LBB25_31:
	s_or_b32 exec_lo, exec_lo, s2
	v_dual_mov_b32 v26, v40 :: v_dual_mov_b32 v27, v41
	v_dual_mov_b32 v79, v47 :: v_dual_mov_b32 v78, v46
	;; [unrolled: 1-line block ×22, first 2 shown]
	v_mov_b32_e32 v34, v3
	s_mov_b32 s2, exec_lo
	v_dual_mov_b32 v77, v45 :: v_dual_mov_b32 v76, v44
	v_dual_mov_b32 v69, v53 :: v_dual_mov_b32 v68, v52
	v_cmpx_lt_f32_e32 v17, v3
	s_cbranch_execz .LBB25_33
; %bb.32:
	v_dual_mov_b32 v9, v48 :: v_dual_mov_b32 v10, v49
	v_dual_mov_b32 v15, v54 :: v_dual_mov_b32 v16, v55
	v_mov_b32_e32 v10, v50
	v_dual_mov_b32 v11, v50 :: v_dual_mov_b32 v12, v51
	v_dual_mov_b32 v13, v52 :: v_dual_mov_b32 v14, v53
	;; [unrolled: 1-line block ×3, first 2 shown]
	v_mov_b32_e32 v11, v49
	v_dual_mov_b32 v59, v43 :: v_dual_mov_b32 v58, v42
	v_dual_mov_b32 v57, v41 :: v_dual_mov_b32 v56, v40
	;; [unrolled: 1-line block ×14, first 2 shown]
	v_mov_b32_e32 v23, v69
	v_dual_mov_b32 v23, v53 :: v_dual_mov_b32 v26, v72
	v_dual_mov_b32 v19, v65 :: v_dual_mov_b32 v22, v68
	;; [unrolled: 1-line block ×12, first 2 shown]
	v_mov_b32_e32 v42, v41
	v_mov_b32_e32 v50, v49
.LBB25_33:
	s_or_b32 exec_lo, exec_lo, s2
	v_mov_b32_e32 v17, v4
	s_mov_b32 s2, exec_lo
	v_cmpx_lt_f32_e32 v34, v4
	s_cbranch_execz .LBB25_35
; %bb.34:
	v_mov_b32_e32 v11, v51
	v_dual_mov_b32 v3, v4 :: v_dual_mov_b32 v4, v34
	v_dual_mov_b32 v58, v43 :: v_dual_mov_b32 v71, v16
	v_mov_b32_e32 v64, v9
	v_dual_mov_b32 v70, v15 :: v_dual_mov_b32 v69, v14
	v_dual_mov_b32 v79, v63 :: v_dual_mov_b32 v76, v60
	;; [unrolled: 1-line block ×5, first 2 shown]
	v_mov_b32_e32 v67, v50
	v_dual_mov_b32 v78, v62 :: v_dual_mov_b32 v77, v61
	v_dual_mov_b32 v74, v58 :: v_dual_mov_b32 v73, v57
	;; [unrolled: 1-line block ×14, first 2 shown]
	v_mov_b32_e32 v33, v47
	v_mov_b32_e32 v17, v34
	;; [unrolled: 1-line block ×4, first 2 shown]
.LBB25_35:
	s_or_b32 exec_lo, exec_lo, s2
	v_mov_b32_e32 v12, v5
	s_mov_b32 s2, exec_lo
	v_cmpx_lt_f32_e32 v17, v5
	s_cbranch_execz .LBB25_37
; %bb.36:
	v_mov_b32_e32 v12, v52
	v_dual_mov_b32 v4, v5 :: v_dual_mov_b32 v59, v44
	v_mov_b32_e32 v5, v17
	v_dual_mov_b32 v25, v16 :: v_dual_mov_b32 v24, v15
	v_dual_mov_b32 v26, v56 :: v_dual_mov_b32 v27, v57
	;; [unrolled: 1-line block ×19, first 2 shown]
	v_mov_b32_e32 v12, v17
	v_mov_b32_e32 v44, v43
	v_dual_mov_b32 v52, v51 :: v_dual_mov_b32 v77, v61
	v_mov_b32_e32 v76, v60
.LBB25_37:
	s_or_b32 exec_lo, exec_lo, s2
	v_mov_b32_e32 v9, v6
	s_mov_b32 s2, exec_lo
	v_cmpx_lt_f32_e32 v12, v6
	s_cbranch_execz .LBB25_39
; %bb.38:
	v_dual_mov_b32 v68, v53 :: v_dual_mov_b32 v69, v52
	v_dual_mov_b32 v70, v54 :: v_dual_mov_b32 v77, v44
	v_dual_mov_b32 v76, v45 :: v_dual_mov_b32 v79, v47
	v_dual_mov_b32 v78, v46 :: v_dual_mov_b32 v71, v55
	v_dual_mov_b32 v26, v72 :: v_dual_mov_b32 v27, v73
	v_dual_mov_b32 v18, v64 :: v_dual_mov_b32 v19, v65
	v_dual_mov_b32 v5, v6 :: v_dual_mov_b32 v6, v12
	v_dual_mov_b32 v28, v74 :: v_dual_mov_b32 v29, v75
	v_dual_mov_b32 v30, v76 :: v_dual_mov_b32 v31, v77
	v_dual_mov_b32 v32, v78 :: v_dual_mov_b32 v33, v79
	v_dual_mov_b32 v20, v66 :: v_dual_mov_b32 v21, v67
	v_dual_mov_b32 v22, v68 :: v_dual_mov_b32 v23, v69
	v_dual_mov_b32 v24, v70 :: v_dual_mov_b32 v25, v71
	v_mov_b32_e32 v9, v12
.LBB25_39:
	s_or_b32 exec_lo, exec_lo, s2
	s_delay_alu instid0(VALU_DEP_1)
	v_cmp_lt_f32_e32 vcc_lo, v9, v7
	v_mov_b32_e32 v11, v3
	v_mov_b32_e32 v13, v5
	s_mov_b32 s2, exec_lo
	v_dual_mov_b32 v10, v2 :: v_dual_cndmask_b32 v17, v32, v31
	v_dual_cndmask_b32 v31, v31, v32 :: v_dual_cndmask_b32 v66, v24, v23
	v_dual_cndmask_b32 v23, v23, v24 :: v_dual_cndmask_b32 v14, v6, v7
	v_dual_cndmask_b32 v15, v7, v9 :: v_dual_mov_b32 v12, v4
	v_dual_mov_b32 v9, v1 :: v_dual_mov_b32 v16, v8
	v_cmpx_lt_f32_e32 v1, v2
	s_cbranch_execz .LBB25_41
; %bb.40:
	s_delay_alu instid0(VALU_DEP_2) | instskip(NEXT) | instid1(VALU_DEP_3)
	v_dual_mov_b32 v2, v10 :: v_dual_mov_b32 v3, v9
	v_dual_mov_b32 v8, v15 :: v_dual_mov_b32 v9, v16
	;; [unrolled: 1-line block ×4, first 2 shown]
	s_delay_alu instid0(VALU_DEP_3) | instskip(NEXT) | instid1(VALU_DEP_4)
	v_mov_b32_e32 v16, v9
	v_dual_mov_b32 v24, v26 :: v_dual_mov_b32 v15, v8
	s_delay_alu instid0(VALU_DEP_4)
	v_dual_mov_b32 v32, v18 :: v_dual_mov_b32 v11, v4
	v_swap_b32 v26, v27
	v_swap_b32 v18, v19
	v_dual_mov_b32 v14, v7 :: v_dual_mov_b32 v13, v6
	v_mov_b32_e32 v12, v5
	v_dual_mov_b32 v10, v3 :: v_dual_mov_b32 v9, v2
	v_mov_b32_e32 v2, v1
.LBB25_41:
	s_or_b32 exec_lo, exec_lo, s2
	v_mov_b32_e32 v24, v66
	v_mov_b32_e32 v32, v17
	;; [unrolled: 1-line block ×4, first 2 shown]
	s_delay_alu instid0(VALU_DEP_4)
	v_dual_mov_b32 v41, v33 :: v_dual_mov_b32 v48, v24
	v_dual_mov_b32 v34, v26 :: v_dual_mov_b32 v65, v33
	;; [unrolled: 1-line block ×15, first 2 shown]
	v_mov_b32_e32 v50, v18
	s_mov_b32 s2, exec_lo
	v_cmpx_lt_f32_e32 v2, v11
	s_cbranch_execz .LBB25_43
; %bb.42:
	v_dual_mov_b32 v57, v25 :: v_dual_mov_b32 v56, v24
	v_dual_mov_b32 v53, v21 :: v_dual_mov_b32 v52, v20
	;; [unrolled: 1-line block ×7, first 2 shown]
	s_delay_alu instid0(VALU_DEP_4)
	v_dual_mov_b32 v42, v50 :: v_dual_mov_b32 v43, v51
	v_dual_mov_b32 v63, v31 :: v_dual_mov_b32 v62, v30
	;; [unrolled: 1-line block ×18, first 2 shown]
	v_mov_b32_e32 v1, v2
.LBB25_43:
	s_or_b32 exec_lo, exec_lo, s2
	v_mov_b32_e32 v2, v12
	s_mov_b32 s2, exec_lo
	s_delay_alu instid0(VALU_DEP_2)
	v_cmpx_lt_f32_e32 v1, v12
	s_cbranch_execz .LBB25_45
; %bb.44:
	v_dual_mov_b32 v52, v21 :: v_dual_mov_b32 v11, v12
	v_mov_b32_e32 v60, v29
	v_dual_mov_b32 v42, v50 :: v_dual_mov_b32 v45, v53
	v_dual_mov_b32 v47, v55 :: v_dual_mov_b32 v34, v58
	s_delay_alu instid0(VALU_DEP_4)
	v_dual_mov_b32 v37, v61 :: v_dual_mov_b32 v44, v52
	v_dual_mov_b32 v49, v57 :: v_dual_mov_b32 v46, v54
	v_mov_b32_e32 v45, v20
	v_dual_mov_b32 v48, v56 :: v_dual_mov_b32 v47, v23
	v_dual_mov_b32 v36, v60 :: v_dual_mov_b32 v39, v63
	;; [unrolled: 1-line block ×9, first 2 shown]
	v_mov_b32_e32 v41, v33
	v_dual_mov_b32 v2, v1 :: v_dual_mov_b32 v21, v20
.LBB25_45:
	s_or_b32 exec_lo, exec_lo, s2
	v_mov_b32_e32 v1, v13
	s_mov_b32 s2, exec_lo
	s_delay_alu instid0(VALU_DEP_2)
	v_cmpx_lt_f32_e32 v2, v13
	s_cbranch_execz .LBB25_47
; %bb.46:
	v_dual_mov_b32 v53, v22 :: v_dual_mov_b32 v54, v21
	v_dual_mov_b32 v55, v23 :: v_dual_mov_b32 v56, v66
	;; [unrolled: 1-line block ×4, first 2 shown]
	v_mov_b32_e32 v57, v25
	v_dual_mov_b32 v65, v33 :: v_dual_mov_b32 v42, v50
	v_mov_b32_e32 v34, v58
	v_dual_mov_b32 v12, v13 :: v_dual_mov_b32 v13, v2
	v_dual_mov_b32 v35, v59 :: v_dual_mov_b32 v36, v60
	;; [unrolled: 1-line block ×7, first 2 shown]
	v_mov_b32_e32 v47, v55
	v_mov_b32_e32 v49, v57
	v_mov_b32_e32 v1, v2
.LBB25_47:
	s_or_b32 exec_lo, exec_lo, s2
	s_delay_alu instid0(VALU_DEP_1)
	v_cmp_lt_f32_e32 vcc_lo, v1, v14
	v_dual_mov_b32 v20, v10 :: v_dual_mov_b32 v25, v15
	v_mov_b32_e32 v22, v12
	v_dual_mov_b32 v26, v16 :: v_dual_cndmask_b32 v27, v39, v38
	v_cndmask_b32_e32 v38, v38, v39, vcc_lo
	v_dual_cndmask_b32 v28, v47, v46 :: v_dual_mov_b32 v19, v9
	v_dual_cndmask_b32 v46, v46, v47 :: v_dual_cndmask_b32 v23, v13, v14
	v_dual_cndmask_b32 v24, v14, v1 :: v_dual_mov_b32 v21, v11
	s_mov_b32 s2, exec_lo
	v_cmpx_lt_f32_e32 v9, v10
	s_cbranch_execz .LBB25_49
; %bb.48:
	v_dual_mov_b32 v7, v25 :: v_dual_mov_b32 v8, v26
	v_dual_mov_b32 v1, v20 :: v_dual_mov_b32 v2, v19
	;; [unrolled: 1-line block ×4, first 2 shown]
	s_delay_alu instid0(VALU_DEP_4)
	v_dual_mov_b32 v11, v34 :: v_dual_mov_b32 v26, v8
	v_dual_mov_b32 v12, v42 :: v_dual_mov_b32 v25, v7
	v_swap_b32 v34, v35
	v_swap_b32 v42, v43
	v_dual_mov_b32 v24, v6 :: v_dual_mov_b32 v23, v5
	v_dual_mov_b32 v22, v4 :: v_dual_mov_b32 v21, v3
	;; [unrolled: 1-line block ×3, first 2 shown]
	v_mov_b32_e32 v10, v9
.LBB25_49:
	s_or_b32 exec_lo, exec_lo, s2
	v_mov_b32_e32 v47, v28
	v_mov_b32_e32 v39, v27
	v_dual_mov_b32 v1, v42 :: v_dual_mov_b32 v4, v45
	v_dual_mov_b32 v11, v34 :: v_dual_mov_b32 v14, v37
	;; [unrolled: 1-line block ×3, first 2 shown]
	s_delay_alu instid0(VALU_DEP_4)
	v_dual_mov_b32 v16, v39 :: v_dual_mov_b32 v15, v38
	v_dual_mov_b32 v18, v41 :: v_dual_mov_b32 v17, v40
	;; [unrolled: 1-line block ×5, first 2 shown]
	v_mov_b32_e32 v9, v21
	s_mov_b32 s2, exec_lo
	v_cmpx_lt_f32_e32 v10, v21
	s_cbranch_execz .LBB25_51
; %bb.50:
	v_dual_mov_b32 v1, v42 :: v_dual_mov_b32 v2, v43
	v_dual_mov_b32 v5, v46 :: v_dual_mov_b32 v6, v47
	;; [unrolled: 1-line block ×16, first 2 shown]
	v_mov_b32_e32 v18, v41
	v_mov_b32_e32 v36, v35
	;; [unrolled: 1-line block ×3, first 2 shown]
.LBB25_51:
	s_or_b32 exec_lo, exec_lo, s2
	v_mov_b32_e32 v29, v22
	s_mov_b32 s2, exec_lo
	v_cmpx_lt_f32_e32 v9, v22
; %bb.52:
	v_dual_mov_b32 v21, v22 :: v_dual_mov_b32 v22, v9
	v_dual_mov_b32 v3, v45 :: v_dual_mov_b32 v4, v44
	v_dual_mov_b32 v5, v46 :: v_dual_mov_b32 v6, v28
	v_dual_mov_b32 v7, v48 :: v_dual_mov_b32 v8, v49
	v_dual_mov_b32 v13, v37 :: v_dual_mov_b32 v14, v36
	v_dual_mov_b32 v15, v38 :: v_dual_mov_b32 v16, v27
	v_dual_mov_b32 v17, v40 :: v_dual_mov_b32 v18, v41
	v_mov_b32_e32 v29, v9
; %bb.53:
	s_or_b32 exec_lo, exec_lo, s2
	s_delay_alu instid0(VALU_DEP_1)
	v_cmp_lt_f32_e32 vcc_lo, v29, v23
	v_dual_mov_b32 v28, v20 :: v_dual_mov_b32 v33, v25
	v_mov_b32_e32 v32, v24
	v_dual_mov_b32 v34, v26 :: v_dual_cndmask_b32 v9, v15, v14
	v_cndmask_b32_e32 v14, v14, v15, vcc_lo
	v_dual_cndmask_b32 v10, v5, v4 :: v_dual_cndmask_b32 v31, v23, v29
	v_dual_cndmask_b32 v4, v4, v5 :: v_dual_mov_b32 v27, v19
	v_dual_cndmask_b32 v30, v22, v23 :: v_dual_mov_b32 v29, v21
	s_mov_b32 s2, exec_lo
	v_cmpx_lt_f32_e32 v19, v20
	s_cbranch_execz .LBB25_55
; %bb.54:
	v_dual_mov_b32 v20, v28 :: v_dual_mov_b32 v21, v27
	v_dual_mov_b32 v26, v33 :: v_dual_mov_b32 v27, v34
	;; [unrolled: 1-line block ×4, first 2 shown]
	s_delay_alu instid0(VALU_DEP_3) | instskip(SKIP_2) | instid1(VALU_DEP_4)
	v_dual_mov_b32 v15, v1 :: v_dual_mov_b32 v34, v27
	v_mov_b32_e32 v5, v11
	v_swap_b32 v11, v12
	v_mov_b32_e32 v32, v25
	v_swap_b32 v1, v2
	v_dual_mov_b32 v33, v26 :: v_dual_mov_b32 v30, v23
	v_dual_mov_b32 v31, v24 :: v_dual_mov_b32 v28, v21
	v_mov_b32_e32 v29, v22
	v_dual_mov_b32 v27, v20 :: v_dual_mov_b32 v20, v19
.LBB25_55:
	s_or_b32 exec_lo, exec_lo, s2
	v_mov_b32_e32 v5, v10
	v_mov_b32_e32 v15, v9
	;; [unrolled: 1-line block ×3, first 2 shown]
	s_mov_b32 s2, exec_lo
	v_cmpx_lt_f32_e32 v20, v29
	s_cbranch_execz .LBB25_57
; %bb.56:
	v_dual_mov_b32 v50, v18 :: v_dual_mov_b32 v49, v17
	v_dual_mov_b32 v42, v8 :: v_dual_mov_b32 v41, v7
	;; [unrolled: 1-line block ×14, first 2 shown]
	v_mov_b32_e32 v50, v18
	v_dual_mov_b32 v28, v29 :: v_dual_mov_b32 v29, v20
	v_dual_mov_b32 v42, v8 :: v_dual_mov_b32 v11, v43
	;; [unrolled: 1-line block ×10, first 2 shown]
.LBB25_57:
	s_or_b32 exec_lo, exec_lo, s2
	s_delay_alu instid0(VALU_DEP_1) | instskip(NEXT) | instid1(VALU_DEP_3)
	v_cmp_lt_f32_e32 vcc_lo, v19, v30
	v_dual_mov_b32 v20, v5 :: v_dual_mov_b32 v21, v6
	s_delay_alu instid0(VALU_DEP_3)
	v_dual_mov_b32 v22, v7 :: v_dual_mov_b32 v23, v8
	v_dual_cndmask_b32 v9, v14, v13 :: v_dual_cndmask_b32 v10, v4, v3
	v_dual_cndmask_b32 v35, v13, v14 :: v_dual_cndmask_b32 v36, v3, v4
	;; [unrolled: 1-line block ×3, first 2 shown]
	v_dual_mov_b32 v4, v15 :: v_dual_mov_b32 v13, v16
	v_dual_mov_b32 v14, v17 :: v_dual_mov_b32 v19, v18
	;; [unrolled: 1-line block ×4, first 2 shown]
	v_mov_b32_e32 v29, v34
	s_mov_b32 s2, exec_lo
	v_cmpx_lt_f32_e32 v27, v28
	s_cbranch_execz .LBB25_59
; %bb.58:
	v_dual_mov_b32 v24, v28 :: v_dual_mov_b32 v19, v18
	v_dual_mov_b32 v4, v11 :: v_dual_mov_b32 v13, v16
	;; [unrolled: 1-line block ×3, first 2 shown]
	v_swap_b32 v11, v12
	v_swap_b32 v1, v2
	v_dual_mov_b32 v28, v27 :: v_dual_mov_b32 v21, v6
	v_dual_mov_b32 v4, v15 :: v_dual_mov_b32 v23, v8
	v_dual_mov_b32 v14, v17 :: v_dual_mov_b32 v27, v24
	v_dual_mov_b32 v20, v5 :: v_dual_mov_b32 v25, v32
	v_dual_mov_b32 v22, v7 :: v_dual_mov_b32 v29, v34
	v_mov_b32_e32 v24, v31
	v_mov_b32_e32 v26, v33
.LBB25_59:
	s_or_b32 exec_lo, exec_lo, s2
	s_clause 0x1
	s_load_b32 s8, s[0:1], 0x28
	s_load_b128 s[4:7], s[0:1], 0x10
	v_mov_b32_e32 v6, 0
	s_waitcnt lgkmcnt(0)
	s_cmp_lt_i32 s8, 1
	s_cbranch_scc1 .LBB25_65
; %bb.60:
	v_cmp_lt_f32_e32 vcc_lo, v28, v30
	s_mov_b32 s9, 0x76543210
	s_mov_b32 s10, s8
	v_dual_mov_b32 v7, 0 :: v_dual_mov_b32 v6, 0
	v_cndmask_b32_e32 v18, v37, v30, vcc_lo
	v_dual_cndmask_b32 v5, v36, v2 :: v_dual_cndmask_b32 v2, v2, v36
	v_cndmask_b32_e32 v8, v30, v28, vcc_lo
	v_dual_cndmask_b32 v15, v35, v12 :: v_dual_cndmask_b32 v28, v12, v35
	s_delay_alu instid0(VALU_DEP_4) | instskip(NEXT) | instid1(VALU_DEP_1)
	v_cmp_lt_f32_e64 s2, v27, v18
	v_cndmask_b32_e64 v12, v2, v1, s2
	v_cndmask_b32_e64 v16, v1, v2, s2
	;; [unrolled: 1-line block ×6, first 2 shown]
	v_dual_mov_b32 v28, v0 :: v_dual_mov_b32 v1, 0
	v_mov_b32_e32 v2, 0
.LBB25_61:                              ; =>This Inner Loop Header: Depth=1
	v_cmp_eq_u32_e32 vcc_lo, 1, v7
	v_cmp_eq_u32_e64 s2, 2, v7
	v_dual_cndmask_b32 v30, v18, v17 :: v_dual_cndmask_b32 v31, v16, v12
	v_cndmask_b32_e32 v32, v11, v27, vcc_lo
	v_cmp_eq_u32_e32 vcc_lo, 3, v7
	s_delay_alu instid0(VALU_DEP_3) | instskip(NEXT) | instid1(VALU_DEP_4)
	v_cndmask_b32_e64 v30, v30, v8, s2
	v_cndmask_b32_e64 v31, v31, v5, s2
	s_delay_alu instid0(VALU_DEP_4) | instskip(SKIP_1) | instid1(VALU_DEP_3)
	v_cndmask_b32_e64 v32, v32, v15, s2
	v_cmp_eq_u32_e64 s2, 4, v7
	v_dual_cndmask_b32 v30, v30, v3 :: v_dual_cndmask_b32 v31, v31, v10
	s_delay_alu instid0(VALU_DEP_3) | instskip(SKIP_1) | instid1(VALU_DEP_3)
	v_cndmask_b32_e32 v32, v32, v9, vcc_lo
	v_cmp_eq_u32_e32 vcc_lo, 5, v7
	v_cndmask_b32_e64 v30, v30, v24, s2
	s_delay_alu instid0(VALU_DEP_4) | instskip(NEXT) | instid1(VALU_DEP_4)
	v_cndmask_b32_e64 v31, v31, v20, s2
	v_cndmask_b32_e64 v32, v32, v4, s2
	v_cmp_eq_u32_e64 s2, 6, v7
	s_delay_alu instid0(VALU_DEP_4) | instskip(NEXT) | instid1(VALU_DEP_4)
	v_cndmask_b32_e32 v30, v30, v25, vcc_lo
	v_cndmask_b32_e32 v31, v31, v21, vcc_lo
	s_delay_alu instid0(VALU_DEP_4) | instskip(SKIP_1) | instid1(VALU_DEP_4)
	v_cndmask_b32_e32 v32, v32, v13, vcc_lo
	v_cmp_eq_u32_e32 vcc_lo, 7, v7
	v_cndmask_b32_e64 v30, v30, v26, s2
	s_delay_alu instid0(VALU_DEP_4) | instskip(NEXT) | instid1(VALU_DEP_4)
	v_cndmask_b32_e64 v31, v31, v22, s2
	v_cndmask_b32_e64 v32, v32, v14, s2
	v_cmp_gt_u32_e64 s2, 8, v7
	s_delay_alu instid0(VALU_DEP_3) | instskip(NEXT) | instid1(VALU_DEP_1)
	v_dual_cndmask_b32 v30, v30, v29 :: v_dual_cndmask_b32 v31, v31, v23
	v_cndmask_b32_e64 v30, 0xff800000, v30, s2
	;;#ASMSTART
	v_max_f32 v34, v30, v30 quad_perm:[1,0,3,2] row_mask:0xf bank_mask:0xf bound_ctrl:1
	;;#ASMEND
	;;#ASMSTART
	v_max_f32 v35, v34, v34 quad_perm:[2,3,0,1] row_mask:0xf bank_mask:0xf bound_ctrl:1
	;;#ASMEND
	;;#ASMSTART
	v_max_f32 v34, v35, v35 row_half_mirror row_mask:0xf bank_mask:0xf bound_ctrl:1
	;;#ASMEND
	;;#ASMSTART
	v_max_f32 v35, v34, v34 row_mirror row_mask:0xf bank_mask:0xf bound_ctrl:1
	;;#ASMEND
	v_permlanex16_b32 v34, v35, s9, 0xfedcba98 op_sel:[1,1]
	v_max_f32_e32 v35, v35, v35
	v_cndmask_b32_e64 v33, 0, v31, s2
	s_delay_alu instid0(VALU_DEP_3) | instskip(NEXT) | instid1(VALU_DEP_1)
	v_max_f32_e32 v34, v34, v34
	v_max_f32_e32 v34, v35, v34
	s_delay_alu instid0(VALU_DEP_1) | instskip(SKIP_1) | instid1(VALU_DEP_2)
	v_cmp_eq_f32_e64 s3, v30, v34
	v_cndmask_b32_e32 v30, v32, v19, vcc_lo
	s_ctz_i32_b32 s11, s3
	s_cmp_lg_u32 s3, 0
	s_cselect_b32 s3, s11, 0
	s_add_i32 s10, s10, -1
	v_readlane_b32 s3, v33, s3
	s_delay_alu instid0(VALU_DEP_1)
	v_cmp_eq_u32_e32 vcc_lo, s3, v31
	s_and_b32 vcc_lo, s2, vcc_lo
	s_and_b32 s2, s3, 31
	v_cndmask_b32_e32 v30, 0, v30, vcc_lo
	v_add_co_ci_u32_e32 v7, vcc_lo, 0, v7, vcc_lo
	s_cmp_eq_u32 s10, 0
	s_delay_alu instid0(VALU_DEP_2) | instskip(SKIP_2) | instid1(VALU_DEP_3)
	v_readlane_b32 s11, v30, s2
	v_cmp_eq_u32_e64 s2, 0, v28
	v_add_nc_u32_e32 v28, -1, v28
	v_add_f32_e32 v6, s11, v6
	s_delay_alu instid0(VALU_DEP_3)
	v_cndmask_b32_e64 v2, v2, s11, s2
	v_cndmask_b32_e64 v1, v1, s3, s2
	s_cbranch_scc0 .LBB25_61
; %bb.62:
	s_mov_b32 s2, exec_lo
	v_cmpx_gt_i32_e64 s8, v0
	s_cbranch_execz .LBB25_64
.LBB25_63:
	s_load_b32 s2, s[0:1], 0x30
	v_max_f32_e32 v0, v6, v6
	s_load_b64 s[0:1], s[0:1], 0x20
	s_ashr_i32 s3, s15, 31
	s_delay_alu instid0(VALU_DEP_1) | instskip(SKIP_1) | instid1(VALU_DEP_1)
	v_max_f32_e32 v0, 0x1e3ce508, v0
	s_waitcnt lgkmcnt(0)
	v_div_scale_f32 v3, null, v0, v0, s2
	v_div_scale_f32 v6, vcc_lo, s2, v0, s2
	s_mul_i32 s1, s15, s1
	s_delay_alu instid0(VALU_DEP_2)
	v_rcp_f32_e32 v4, v3
	s_mul_hi_u32 s8, s15, s0
	s_mul_i32 s3, s3, s0
	s_add_i32 s1, s8, s1
	s_mul_i32 s0, s15, s0
	s_add_i32 s1, s1, s3
	s_delay_alu instid0(SALU_CYCLE_1) | instskip(SKIP_2) | instid1(VALU_DEP_1)
	s_lshl_b64 s[0:1], s[0:1], 2
	s_waitcnt_depctr 0xfff
	v_fma_f32 v5, -v3, v4, 1.0
	v_fmac_f32_e32 v4, v5, v4
	s_delay_alu instid0(VALU_DEP_1) | instskip(NEXT) | instid1(VALU_DEP_1)
	v_mul_f32_e32 v5, v6, v4
	v_fma_f32 v7, -v3, v5, v6
	s_delay_alu instid0(VALU_DEP_1) | instskip(NEXT) | instid1(VALU_DEP_1)
	v_fmac_f32_e32 v5, v7, v4
	v_fma_f32 v3, -v3, v5, v6
	s_delay_alu instid0(VALU_DEP_1) | instskip(NEXT) | instid1(VALU_DEP_1)
	v_div_fmas_f32 v3, v3, v4, v5
	v_div_fixup_f32 v0, v3, v0, s2
	s_add_u32 s2, s4, s0
	s_addc_u32 s3, s5, s1
	s_add_u32 s0, s6, s0
	s_addc_u32 s1, s7, s1
	v_mul_f32_e32 v0, v2, v0
	s_clause 0x1
	global_store_b32 v96, v0, s[2:3]
	global_store_b32 v96, v1, s[0:1]
.LBB25_64:
	s_nop 0
	s_sendmsg sendmsg(MSG_DEALLOC_VGPRS)
	s_endpgm
.LBB25_65:
	v_dual_mov_b32 v1, 0 :: v_dual_mov_b32 v2, 0
	s_mov_b32 s2, exec_lo
	v_cmpx_gt_i32_e64 s8, v0
	s_cbranch_execnz .LBB25_63
	s_branch .LBB25_64
	.section	.rodata,"a",@progbits
	.p2align	6, 0x0
	.amdhsa_kernel _ZN5aiter24topk_softplus_kernel_optIffLi256ELb1ELi0EEEvPKT_PKT0_PfPimiif
		.amdhsa_group_segment_fixed_size 0
		.amdhsa_private_segment_fixed_size 0
		.amdhsa_kernarg_size 52
		.amdhsa_user_sgpr_count 15
		.amdhsa_user_sgpr_dispatch_ptr 0
		.amdhsa_user_sgpr_queue_ptr 0
		.amdhsa_user_sgpr_kernarg_segment_ptr 1
		.amdhsa_user_sgpr_dispatch_id 0
		.amdhsa_user_sgpr_private_segment_size 0
		.amdhsa_wavefront_size32 1
		.amdhsa_uses_dynamic_stack 0
		.amdhsa_enable_private_segment 0
		.amdhsa_system_sgpr_workgroup_id_x 1
		.amdhsa_system_sgpr_workgroup_id_y 0
		.amdhsa_system_sgpr_workgroup_id_z 0
		.amdhsa_system_sgpr_workgroup_info 0
		.amdhsa_system_vgpr_workitem_id 0
		.amdhsa_next_free_vgpr 97
		.amdhsa_next_free_sgpr 16
		.amdhsa_reserve_vcc 1
		.amdhsa_float_round_mode_32 0
		.amdhsa_float_round_mode_16_64 0
		.amdhsa_float_denorm_mode_32 3
		.amdhsa_float_denorm_mode_16_64 3
		.amdhsa_dx10_clamp 1
		.amdhsa_ieee_mode 1
		.amdhsa_fp16_overflow 0
		.amdhsa_workgroup_processor_mode 1
		.amdhsa_memory_ordered 1
		.amdhsa_forward_progress 0
		.amdhsa_shared_vgpr_count 0
		.amdhsa_exception_fp_ieee_invalid_op 0
		.amdhsa_exception_fp_denorm_src 0
		.amdhsa_exception_fp_ieee_div_zero 0
		.amdhsa_exception_fp_ieee_overflow 0
		.amdhsa_exception_fp_ieee_underflow 0
		.amdhsa_exception_fp_ieee_inexact 0
		.amdhsa_exception_int_div_zero 0
	.end_amdhsa_kernel
	.section	.text._ZN5aiter24topk_softplus_kernel_optIffLi256ELb1ELi0EEEvPKT_PKT0_PfPimiif,"axG",@progbits,_ZN5aiter24topk_softplus_kernel_optIffLi256ELb1ELi0EEEvPKT_PKT0_PfPimiif,comdat
.Lfunc_end25:
	.size	_ZN5aiter24topk_softplus_kernel_optIffLi256ELb1ELi0EEEvPKT_PKT0_PfPimiif, .Lfunc_end25-_ZN5aiter24topk_softplus_kernel_optIffLi256ELb1ELi0EEEvPKT_PKT0_PfPimiif
                                        ; -- End function
	.section	.AMDGPU.csdata,"",@progbits
; Kernel info:
; codeLenInByte = 8512
; NumSgprs: 18
; NumVgprs: 97
; ScratchSize: 0
; MemoryBound: 0
; FloatMode: 240
; IeeeMode: 1
; LDSByteSize: 0 bytes/workgroup (compile time only)
; SGPRBlocks: 2
; VGPRBlocks: 12
; NumSGPRsForWavesPerEU: 18
; NumVGPRsForWavesPerEU: 97
; Occupancy: 12
; WaveLimiterHint : 0
; COMPUTE_PGM_RSRC2:SCRATCH_EN: 0
; COMPUTE_PGM_RSRC2:USER_SGPR: 15
; COMPUTE_PGM_RSRC2:TRAP_HANDLER: 0
; COMPUTE_PGM_RSRC2:TGID_X_EN: 1
; COMPUTE_PGM_RSRC2:TGID_Y_EN: 0
; COMPUTE_PGM_RSRC2:TGID_Z_EN: 0
; COMPUTE_PGM_RSRC2:TIDIG_COMP_CNT: 0
	.section	.text._ZN5aiter24topk_softplus_kernel_optIffLi256ELb0ELi0EEEvPKT_PKT0_PfPimiif,"axG",@progbits,_ZN5aiter24topk_softplus_kernel_optIffLi256ELb0ELi0EEEvPKT_PKT0_PfPimiif,comdat
	.protected	_ZN5aiter24topk_softplus_kernel_optIffLi256ELb0ELi0EEEvPKT_PKT0_PfPimiif ; -- Begin function _ZN5aiter24topk_softplus_kernel_optIffLi256ELb0ELi0EEEvPKT_PKT0_PfPimiif
	.globl	_ZN5aiter24topk_softplus_kernel_optIffLi256ELb0ELi0EEEvPKT_PKT0_PfPimiif
	.p2align	8
	.type	_ZN5aiter24topk_softplus_kernel_optIffLi256ELb0ELi0EEEvPKT_PKT0_PfPimiif,@function
_ZN5aiter24topk_softplus_kernel_optIffLi256ELb0ELi0EEEvPKT_PKT0_PfPimiif: ; @_ZN5aiter24topk_softplus_kernel_optIffLi256ELb0ELi0EEEvPKT_PKT0_PfPimiif
; %bb.0:
	s_load_b128 s[4:7], s[0:1], 0x0
	s_lshl_b32 s2, s15, 8
	v_lshlrev_b32_e32 v96, 2, v0
	s_ashr_i32 s3, s2, 31
	s_delay_alu instid0(SALU_CYCLE_1)
	s_lshl_b64 s[2:3], s[2:3], 2
	s_waitcnt lgkmcnt(0)
	s_add_u32 s4, s4, s2
	s_addc_u32 s5, s5, s3
	s_cmp_lg_u64 s[6:7], 0
	global_load_b32 v1, v96, s[4:5]
	s_cselect_b32 s3, -1, 0
	s_waitcnt vmcnt(0)
	v_mul_f32_e32 v2, 0x3fb8aa3b, v1
	s_delay_alu instid0(VALU_DEP_1) | instskip(SKIP_2) | instid1(VALU_DEP_2)
	v_cmp_gt_f32_e32 vcc_lo, 0xc2fc0000, v2
	v_cndmask_b32_e64 v2, 0, 0x42800000, vcc_lo
	v_cndmask_b32_e64 v3, 1.0, 0x1f800000, vcc_lo
	v_fmac_f32_e32 v2, 0x3fb8aa3b, v1
	s_delay_alu instid0(VALU_DEP_1) | instskip(SKIP_2) | instid1(VALU_DEP_1)
	v_exp_f32_e32 v2, v2
	s_waitcnt_depctr 0xfff
	v_fma_f32 v2, v2, v3, 1.0
	v_cmp_gt_f32_e32 vcc_lo, 0x800000, v2
	v_cndmask_b32_e64 v3, 1.0, 0x4f800000, vcc_lo
	s_delay_alu instid0(VALU_DEP_1) | instskip(SKIP_2) | instid1(VALU_DEP_3)
	v_mul_f32_e32 v2, v2, v3
	v_cndmask_b32_e64 v3, 0, 0x42000000, vcc_lo
	v_cmp_lt_f32_e32 vcc_lo, 0x41a00000, v1
	v_log_f32_e32 v2, v2
	s_waitcnt_depctr 0xfff
	v_sub_f32_e32 v2, v2, v3
	s_delay_alu instid0(VALU_DEP_1) | instskip(NEXT) | instid1(VALU_DEP_1)
	v_mul_f32_e32 v2, 0x3f317218, v2
	v_cndmask_b32_e32 v1, v2, v1, vcc_lo
	s_delay_alu instid0(VALU_DEP_1) | instskip(SKIP_1) | instid1(VALU_DEP_2)
	v_mul_f32_e32 v2, 0x4f800000, v1
	v_cmp_gt_f32_e32 vcc_lo, 0xf800000, v1
	v_cndmask_b32_e32 v1, v1, v2, vcc_lo
	s_delay_alu instid0(VALU_DEP_1) | instskip(SKIP_3) | instid1(VALU_DEP_2)
	v_sqrt_f32_e32 v2, v1
	s_waitcnt_depctr 0xfff
	v_add_nc_u32_e32 v3, -1, v2
	v_add_nc_u32_e32 v4, 1, v2
	v_fma_f32 v5, -v3, v2, v1
	s_delay_alu instid0(VALU_DEP_2) | instskip(NEXT) | instid1(VALU_DEP_2)
	v_fma_f32 v6, -v4, v2, v1
	v_cmp_ge_f32_e64 s2, 0, v5
	s_delay_alu instid0(VALU_DEP_1) | instskip(NEXT) | instid1(VALU_DEP_3)
	v_cndmask_b32_e64 v2, v2, v3, s2
	v_cmp_lt_f32_e64 s2, 0, v6
	s_delay_alu instid0(VALU_DEP_1) | instskip(NEXT) | instid1(VALU_DEP_1)
	v_cndmask_b32_e64 v2, v2, v4, s2
	v_mul_f32_e32 v3, 0x37800000, v2
	s_delay_alu instid0(VALU_DEP_1) | instskip(SKIP_1) | instid1(VALU_DEP_2)
	v_cndmask_b32_e32 v2, v2, v3, vcc_lo
	v_cmp_class_f32_e64 vcc_lo, v1, 0x260
	v_cndmask_b32_e32 v56, v2, v1, vcc_lo
	v_add_co_u32 v1, s2, s4, v96
	s_delay_alu instid0(VALU_DEP_1) | instskip(NEXT) | instid1(VALU_DEP_3)
	v_add_co_ci_u32_e64 v2, null, s5, 0, s2
	v_mov_b32_e32 v24, v56
	s_and_b32 vcc_lo, exec_lo, s3
	s_cbranch_vccz .LBB26_2
; %bb.1:
	global_load_b32 v3, v96, s[6:7]
	s_waitcnt vmcnt(0)
	v_add_f32_e32 v24, v56, v3
.LBB26_2:
	global_load_b32 v3, v[1:2], off offset:128
	s_waitcnt vmcnt(0)
	v_mul_f32_e32 v4, 0x3fb8aa3b, v3
	s_delay_alu instid0(VALU_DEP_1) | instskip(SKIP_2) | instid1(VALU_DEP_2)
	v_cmp_gt_f32_e32 vcc_lo, 0xc2fc0000, v4
	v_cndmask_b32_e64 v5, 0, 0x42800000, vcc_lo
	v_cndmask_b32_e64 v4, 1.0, 0x1f800000, vcc_lo
	v_fmac_f32_e32 v5, 0x3fb8aa3b, v3
	s_delay_alu instid0(VALU_DEP_1) | instskip(SKIP_2) | instid1(VALU_DEP_1)
	v_exp_f32_e32 v5, v5
	s_waitcnt_depctr 0xfff
	v_fma_f32 v4, v5, v4, 1.0
	v_cmp_gt_f32_e32 vcc_lo, 0x800000, v4
	v_cndmask_b32_e64 v5, 1.0, 0x4f800000, vcc_lo
	s_delay_alu instid0(VALU_DEP_1) | instskip(SKIP_2) | instid1(VALU_DEP_3)
	v_mul_f32_e32 v4, v4, v5
	v_cndmask_b32_e64 v5, 0, 0x42000000, vcc_lo
	v_cmp_lt_f32_e32 vcc_lo, 0x41a00000, v3
	v_log_f32_e32 v4, v4
	s_waitcnt_depctr 0xfff
	v_sub_f32_e32 v4, v4, v5
	s_delay_alu instid0(VALU_DEP_1) | instskip(NEXT) | instid1(VALU_DEP_1)
	v_mul_f32_e32 v4, 0x3f317218, v4
	v_cndmask_b32_e32 v3, v4, v3, vcc_lo
	s_delay_alu instid0(VALU_DEP_1) | instskip(SKIP_1) | instid1(VALU_DEP_2)
	v_mul_f32_e32 v4, 0x4f800000, v3
	v_cmp_gt_f32_e32 vcc_lo, 0xf800000, v3
	v_cndmask_b32_e32 v4, v3, v4, vcc_lo
	s_delay_alu instid0(VALU_DEP_1) | instskip(SKIP_3) | instid1(VALU_DEP_2)
	v_sqrt_f32_e32 v3, v4
	s_waitcnt_depctr 0xfff
	v_add_nc_u32_e32 v5, -1, v3
	v_add_nc_u32_e32 v6, 1, v3
	v_fma_f32 v7, -v5, v3, v4
	s_delay_alu instid0(VALU_DEP_2) | instskip(NEXT) | instid1(VALU_DEP_2)
	v_fma_f32 v8, -v6, v3, v4
	v_cmp_ge_f32_e64 s2, 0, v7
	s_delay_alu instid0(VALU_DEP_1) | instskip(NEXT) | instid1(VALU_DEP_3)
	v_cndmask_b32_e64 v3, v3, v5, s2
	v_cmp_lt_f32_e64 s2, 0, v8
	s_delay_alu instid0(VALU_DEP_1) | instskip(NEXT) | instid1(VALU_DEP_1)
	v_cndmask_b32_e64 v3, v3, v6, s2
	v_mul_f32_e32 v5, 0x37800000, v3
	s_delay_alu instid0(VALU_DEP_1) | instskip(SKIP_2) | instid1(VALU_DEP_3)
	v_cndmask_b32_e32 v5, v3, v5, vcc_lo
	v_cmp_class_f32_e64 vcc_lo, v4, 0x260
	v_cndmask_b32_e64 v3, 0, 1, s3
	v_cndmask_b32_e32 v9, v5, v4, vcc_lo
	s_and_not1_b32 vcc_lo, exec_lo, s3
	s_delay_alu instid0(VALU_DEP_1)
	v_mov_b32_e32 v25, v9
	s_cbranch_vccnz .LBB26_4
; %bb.3:
	global_load_b32 v4, v96, s[6:7] offset:128
	s_waitcnt vmcnt(0)
	v_add_f32_e32 v25, v9, v4
.LBB26_4:
	global_load_b32 v4, v[1:2], off offset:256
	s_waitcnt vmcnt(0)
	v_mul_f32_e32 v5, 0x3fb8aa3b, v4
	s_delay_alu instid0(VALU_DEP_1) | instskip(SKIP_2) | instid1(VALU_DEP_2)
	v_cmp_gt_f32_e32 vcc_lo, 0xc2fc0000, v5
	v_cndmask_b32_e64 v6, 0, 0x42800000, vcc_lo
	v_cndmask_b32_e64 v5, 1.0, 0x1f800000, vcc_lo
	v_fmac_f32_e32 v6, 0x3fb8aa3b, v4
	s_delay_alu instid0(VALU_DEP_1) | instskip(SKIP_2) | instid1(VALU_DEP_1)
	v_exp_f32_e32 v6, v6
	s_waitcnt_depctr 0xfff
	v_fma_f32 v5, v6, v5, 1.0
	v_cmp_gt_f32_e32 vcc_lo, 0x800000, v5
	v_cndmask_b32_e64 v6, 1.0, 0x4f800000, vcc_lo
	s_delay_alu instid0(VALU_DEP_1) | instskip(SKIP_2) | instid1(VALU_DEP_3)
	v_mul_f32_e32 v5, v5, v6
	v_cndmask_b32_e64 v6, 0, 0x42000000, vcc_lo
	v_cmp_lt_f32_e32 vcc_lo, 0x41a00000, v4
	v_log_f32_e32 v5, v5
	s_waitcnt_depctr 0xfff
	v_sub_f32_e32 v5, v5, v6
	s_delay_alu instid0(VALU_DEP_1) | instskip(NEXT) | instid1(VALU_DEP_1)
	v_mul_f32_e32 v5, 0x3f317218, v5
	v_cndmask_b32_e32 v4, v5, v4, vcc_lo
	s_delay_alu instid0(VALU_DEP_1) | instskip(SKIP_1) | instid1(VALU_DEP_2)
	v_mul_f32_e32 v5, 0x4f800000, v4
	v_cmp_gt_f32_e32 vcc_lo, 0xf800000, v4
	v_cndmask_b32_e32 v4, v4, v5, vcc_lo
	s_delay_alu instid0(VALU_DEP_1) | instskip(SKIP_3) | instid1(VALU_DEP_2)
	v_sqrt_f32_e32 v5, v4
	s_waitcnt_depctr 0xfff
	v_add_nc_u32_e32 v6, -1, v5
	v_add_nc_u32_e32 v7, 1, v5
	v_fma_f32 v8, -v6, v5, v4
	s_delay_alu instid0(VALU_DEP_2) | instskip(NEXT) | instid1(VALU_DEP_2)
	v_fma_f32 v10, -v7, v5, v4
	v_cmp_ge_f32_e64 s2, 0, v8
	s_delay_alu instid0(VALU_DEP_1) | instskip(NEXT) | instid1(VALU_DEP_3)
	v_cndmask_b32_e64 v5, v5, v6, s2
	v_cmp_lt_f32_e64 s2, 0, v10
	s_delay_alu instid0(VALU_DEP_1) | instskip(NEXT) | instid1(VALU_DEP_1)
	v_cndmask_b32_e64 v5, v5, v7, s2
	v_mul_f32_e32 v6, 0x37800000, v5
	s_delay_alu instid0(VALU_DEP_1) | instskip(SKIP_1) | instid1(VALU_DEP_2)
	v_cndmask_b32_e32 v5, v5, v6, vcc_lo
	v_cmp_class_f32_e64 vcc_lo, v4, 0x260
	v_cndmask_b32_e32 v10, v5, v4, vcc_lo
	v_cmp_ne_u32_e32 vcc_lo, 1, v3
	s_delay_alu instid0(VALU_DEP_2)
	v_mov_b32_e32 v26, v10
	s_cbranch_vccnz .LBB26_6
; %bb.5:
	global_load_b32 v4, v96, s[6:7] offset:256
	s_waitcnt vmcnt(0)
	v_add_f32_e32 v26, v10, v4
.LBB26_6:
	global_load_b32 v4, v[1:2], off offset:384
	s_waitcnt vmcnt(0)
	v_mul_f32_e32 v5, 0x3fb8aa3b, v4
	s_delay_alu instid0(VALU_DEP_1) | instskip(SKIP_2) | instid1(VALU_DEP_2)
	v_cmp_gt_f32_e32 vcc_lo, 0xc2fc0000, v5
	v_cndmask_b32_e64 v6, 0, 0x42800000, vcc_lo
	v_cndmask_b32_e64 v5, 1.0, 0x1f800000, vcc_lo
	v_fmac_f32_e32 v6, 0x3fb8aa3b, v4
	s_delay_alu instid0(VALU_DEP_1) | instskip(SKIP_2) | instid1(VALU_DEP_1)
	v_exp_f32_e32 v6, v6
	s_waitcnt_depctr 0xfff
	v_fma_f32 v5, v6, v5, 1.0
	v_cmp_gt_f32_e32 vcc_lo, 0x800000, v5
	v_cndmask_b32_e64 v6, 1.0, 0x4f800000, vcc_lo
	s_delay_alu instid0(VALU_DEP_1) | instskip(SKIP_2) | instid1(VALU_DEP_3)
	v_mul_f32_e32 v5, v5, v6
	v_cndmask_b32_e64 v6, 0, 0x42000000, vcc_lo
	v_cmp_lt_f32_e32 vcc_lo, 0x41a00000, v4
	v_log_f32_e32 v5, v5
	s_waitcnt_depctr 0xfff
	v_sub_f32_e32 v5, v5, v6
	s_delay_alu instid0(VALU_DEP_1) | instskip(NEXT) | instid1(VALU_DEP_1)
	v_mul_f32_e32 v5, 0x3f317218, v5
	v_cndmask_b32_e32 v4, v5, v4, vcc_lo
	s_delay_alu instid0(VALU_DEP_1) | instskip(SKIP_1) | instid1(VALU_DEP_2)
	v_mul_f32_e32 v5, 0x4f800000, v4
	v_cmp_gt_f32_e32 vcc_lo, 0xf800000, v4
	v_cndmask_b32_e32 v4, v4, v5, vcc_lo
	s_delay_alu instid0(VALU_DEP_1) | instskip(SKIP_3) | instid1(VALU_DEP_2)
	v_sqrt_f32_e32 v5, v4
	s_waitcnt_depctr 0xfff
	v_add_nc_u32_e32 v6, -1, v5
	v_add_nc_u32_e32 v7, 1, v5
	v_fma_f32 v8, -v6, v5, v4
	s_delay_alu instid0(VALU_DEP_2) | instskip(NEXT) | instid1(VALU_DEP_2)
	v_fma_f32 v11, -v7, v5, v4
	v_cmp_ge_f32_e64 s2, 0, v8
	s_delay_alu instid0(VALU_DEP_1) | instskip(NEXT) | instid1(VALU_DEP_3)
	v_cndmask_b32_e64 v5, v5, v6, s2
	v_cmp_lt_f32_e64 s2, 0, v11
	s_delay_alu instid0(VALU_DEP_1) | instskip(NEXT) | instid1(VALU_DEP_1)
	v_cndmask_b32_e64 v5, v5, v7, s2
	v_mul_f32_e32 v6, 0x37800000, v5
	s_delay_alu instid0(VALU_DEP_1) | instskip(SKIP_1) | instid1(VALU_DEP_2)
	v_cndmask_b32_e32 v5, v5, v6, vcc_lo
	v_cmp_class_f32_e64 vcc_lo, v4, 0x260
	v_cndmask_b32_e32 v11, v5, v4, vcc_lo
	v_cmp_ne_u32_e32 vcc_lo, 1, v3
	s_delay_alu instid0(VALU_DEP_2)
	;; [unrolled: 56-line block ×5, first 2 shown]
	v_mov_b32_e32 v30, v14
	s_cbranch_vccnz .LBB26_14
; %bb.13:
	global_load_b32 v4, v96, s[6:7] offset:768
	s_waitcnt vmcnt(0)
	v_add_f32_e32 v30, v14, v4
.LBB26_14:
	global_load_b32 v1, v[1:2], off offset:896
	s_waitcnt vmcnt(0)
	v_mul_f32_e32 v2, 0x3fb8aa3b, v1
	s_delay_alu instid0(VALU_DEP_1) | instskip(SKIP_2) | instid1(VALU_DEP_2)
	v_cmp_gt_f32_e32 vcc_lo, 0xc2fc0000, v2
	v_cndmask_b32_e64 v4, 0, 0x42800000, vcc_lo
	v_cndmask_b32_e64 v2, 1.0, 0x1f800000, vcc_lo
	v_fmac_f32_e32 v4, 0x3fb8aa3b, v1
	s_delay_alu instid0(VALU_DEP_1) | instskip(SKIP_2) | instid1(VALU_DEP_1)
	v_exp_f32_e32 v4, v4
	s_waitcnt_depctr 0xfff
	v_fma_f32 v2, v4, v2, 1.0
	v_cmp_gt_f32_e32 vcc_lo, 0x800000, v2
	v_cndmask_b32_e64 v4, 1.0, 0x4f800000, vcc_lo
	s_delay_alu instid0(VALU_DEP_1) | instskip(SKIP_2) | instid1(VALU_DEP_3)
	v_mul_f32_e32 v2, v2, v4
	v_cndmask_b32_e64 v4, 0, 0x42000000, vcc_lo
	v_cmp_lt_f32_e32 vcc_lo, 0x41a00000, v1
	v_log_f32_e32 v2, v2
	s_waitcnt_depctr 0xfff
	v_sub_f32_e32 v2, v2, v4
	s_delay_alu instid0(VALU_DEP_1) | instskip(NEXT) | instid1(VALU_DEP_1)
	v_mul_f32_e32 v2, 0x3f317218, v2
	v_cndmask_b32_e32 v1, v2, v1, vcc_lo
	s_delay_alu instid0(VALU_DEP_1) | instskip(SKIP_1) | instid1(VALU_DEP_2)
	v_mul_f32_e32 v2, 0x4f800000, v1
	v_cmp_gt_f32_e32 vcc_lo, 0xf800000, v1
	v_cndmask_b32_e32 v1, v1, v2, vcc_lo
	s_delay_alu instid0(VALU_DEP_1) | instskip(SKIP_3) | instid1(VALU_DEP_2)
	v_sqrt_f32_e32 v2, v1
	s_waitcnt_depctr 0xfff
	v_add_nc_u32_e32 v4, -1, v2
	v_add_nc_u32_e32 v5, 1, v2
	v_fma_f32 v6, -v4, v2, v1
	s_delay_alu instid0(VALU_DEP_2) | instskip(NEXT) | instid1(VALU_DEP_2)
	v_fma_f32 v7, -v5, v2, v1
	v_cmp_ge_f32_e64 s2, 0, v6
	s_delay_alu instid0(VALU_DEP_1) | instskip(NEXT) | instid1(VALU_DEP_3)
	v_cndmask_b32_e64 v2, v2, v4, s2
	v_cmp_lt_f32_e64 s2, 0, v7
	s_delay_alu instid0(VALU_DEP_1) | instskip(NEXT) | instid1(VALU_DEP_1)
	v_cndmask_b32_e64 v2, v2, v5, s2
	v_mul_f32_e32 v4, 0x37800000, v2
	s_delay_alu instid0(VALU_DEP_1) | instskip(SKIP_1) | instid1(VALU_DEP_2)
	v_cndmask_b32_e32 v2, v2, v4, vcc_lo
	v_cmp_class_f32_e64 vcc_lo, v1, 0x260
	v_cndmask_b32_e32 v15, v2, v1, vcc_lo
	v_cmp_ne_u32_e32 vcc_lo, 1, v3
	s_cbranch_vccnz .LBB26_16
; %bb.15:
	global_load_b32 v1, v96, s[6:7] offset:896
	s_waitcnt vmcnt(0)
	v_add_f32_e32 v31, v15, v1
	s_branch .LBB26_17
.LBB26_16:
	s_delay_alu instid0(VALU_DEP_2)
	v_mov_b32_e32 v31, v15
.LBB26_17:
	v_add_nc_u32_e32 v7, 0xe0, v0
	v_dual_mov_b32 v16, v24 :: v_dual_add_nc_u32 v1, 32, v0
	v_dual_mov_b32 v17, v25 :: v_dual_add_nc_u32 v2, 64, v0
	;; [unrolled: 1-line block ×6, first 2 shown]
	v_dual_mov_b32 v22, v30 :: v_dual_mov_b32 v39, v7
	s_delay_alu instid0(VALU_DEP_2)
	v_dual_mov_b32 v47, v7 :: v_dual_mov_b32 v46, v6
	v_dual_mov_b32 v71, v7 :: v_dual_mov_b32 v70, v6
	;; [unrolled: 1-line block ×16, first 2 shown]
	v_mov_b32_e32 v8, v56
	s_mov_b32 s2, exec_lo
	v_cmpx_lt_f32_e32 v24, v25
	s_xor_b32 s2, exec_lo, s2
	s_cbranch_execz .LBB26_19
; %bb.18:
	v_dual_mov_b32 v38, v6 :: v_dual_mov_b32 v39, v7
	v_dual_mov_b32 v32, v1 :: v_dual_mov_b32 v33, v0
	;; [unrolled: 1-line block ×4, first 2 shown]
	s_delay_alu instid0(VALU_DEP_4)
	v_dual_mov_b32 v47, v39 :: v_dual_mov_b32 v46, v38
	v_dual_mov_b32 v71, v39 :: v_dual_mov_b32 v70, v38
	;; [unrolled: 1-line block ×17, first 2 shown]
	v_mov_b32_e32 v9, v56
	v_mov_b32_e32 v1, v0
.LBB26_19:
	s_or_b32 exec_lo, exec_lo, s2
	v_dual_mov_b32 v63, v15 :: v_dual_mov_b32 v62, v14
	v_dual_mov_b32 v79, v15 :: v_dual_mov_b32 v78, v14
	;; [unrolled: 1-line block ×16, first 2 shown]
	v_mov_b32_e32 v24, v18
	s_mov_b32 s2, exec_lo
	v_cmpx_lt_f32_e32 v25, v18
	s_cbranch_execz .LBB26_21
; %bb.20:
	v_dual_mov_b32 v55, v39 :: v_dual_mov_b32 v54, v38
	v_dual_mov_b32 v51, v35 :: v_dual_mov_b32 v50, v34
	;; [unrolled: 1-line block ×16, first 2 shown]
	v_mov_b32_e32 v83, v11
	v_dual_mov_b32 v85, v93 :: v_dual_mov_b32 v86, v94
	v_dual_mov_b32 v87, v95 :: v_dual_mov_b32 v40, v64
	;; [unrolled: 1-line block ×3, first 2 shown]
	v_mov_b32_e32 v42, v66
	v_dual_mov_b32 v17, v18 :: v_dual_mov_b32 v72, v80
	v_dual_mov_b32 v41, v65 :: v_dual_mov_b32 v44, v68
	;; [unrolled: 1-line block ×10, first 2 shown]
	s_delay_alu instid0(VALU_DEP_2)
	v_dual_mov_b32 v56, v72 :: v_dual_mov_b32 v57, v73
	v_dual_mov_b32 v36, v44 :: v_dual_mov_b32 v37, v45
	;; [unrolled: 1-line block ×11, first 2 shown]
	v_mov_b32_e32 v2, v1
.LBB26_21:
	s_or_b32 exec_lo, exec_lo, s2
	v_mov_b32_e32 v1, v19
	s_mov_b32 s2, exec_lo
	v_cmpx_lt_f32_e32 v24, v19
	s_cbranch_execz .LBB26_23
; %bb.22:
	v_mov_b32_e32 v90, v11
	v_mov_b32_e32 v50, v3
	v_dual_mov_b32 v80, v88 :: v_dual_mov_b32 v81, v89
	v_dual_mov_b32 v71, v55 :: v_dual_mov_b32 v70, v54
	;; [unrolled: 1-line block ×3, first 2 shown]
	s_delay_alu instid0(VALU_DEP_4)
	v_dual_mov_b32 v83, v91 :: v_dual_mov_b32 v66, v50
	v_dual_mov_b32 v65, v49 :: v_dual_mov_b32 v68, v52
	;; [unrolled: 1-line block ×3, first 2 shown]
	v_mov_b32_e32 v67, v2
	v_dual_mov_b32 v82, v90 :: v_dual_mov_b32 v87, v95
	v_dual_mov_b32 v85, v93 :: v_dual_mov_b32 v86, v94
	;; [unrolled: 1-line block ×11, first 2 shown]
	v_mov_b32_e32 v44, v4
	v_dual_mov_b32 v56, v72 :: v_dual_mov_b32 v57, v73
	v_dual_mov_b32 v32, v40 :: v_dual_mov_b32 v35, v43
	;; [unrolled: 1-line block ×3, first 2 shown]
	s_delay_alu instid0(VALU_DEP_4)
	v_dual_mov_b32 v37, v45 :: v_dual_mov_b32 v36, v44
	v_dual_mov_b32 v39, v47 :: v_dual_mov_b32 v38, v46
	;; [unrolled: 1-line block ×3, first 2 shown]
	v_mov_b32_e32 v63, v79
	v_dual_mov_b32 v61, v77 :: v_dual_mov_b32 v62, v78
	v_mov_b32_e32 v39, v7
	v_dual_mov_b32 v18, v19 :: v_dual_mov_b32 v19, v24
	v_dual_mov_b32 v60, v76 :: v_dual_mov_b32 v37, v5
	;; [unrolled: 1-line block ×4, first 2 shown]
	v_mov_b32_e32 v1, v24
	v_mov_b32_e32 v11, v10
	;; [unrolled: 1-line block ×3, first 2 shown]
.LBB26_23:
	s_or_b32 exec_lo, exec_lo, s2
	v_mov_b32_e32 v2, v20
	s_mov_b32 s2, exec_lo
	v_cmpx_lt_f32_e32 v1, v20
	s_cbranch_execz .LBB26_25
; %bb.24:
	v_mov_b32_e32 v91, v12
	v_mov_b32_e32 v51, v4
	;; [unrolled: 1-line block ×4, first 2 shown]
	v_dual_mov_b32 v40, v48 :: v_dual_mov_b32 v41, v49
	v_dual_mov_b32 v42, v50 :: v_dual_mov_b32 v47, v55
	;; [unrolled: 1-line block ×4, first 2 shown]
	v_mov_b32_e32 v44, v3
	v_dual_mov_b32 v76, v11 :: v_dual_mov_b32 v19, v20
	v_dual_mov_b32 v45, v53 :: v_dual_mov_b32 v46, v54
	;; [unrolled: 1-line block ×4, first 2 shown]
	v_mov_b32_e32 v73, v89
	v_mov_b32_e32 v56, v72
	v_dual_mov_b32 v32, v40 :: v_dual_mov_b32 v33, v41
	v_dual_mov_b32 v60, v76 :: v_dual_mov_b32 v61, v77
	;; [unrolled: 1-line block ×9, first 2 shown]
	v_mov_b32_e32 v59, v75
	v_dual_mov_b32 v37, v5 :: v_dual_mov_b32 v38, v6
	v_dual_mov_b32 v39, v7 :: v_dual_mov_b32 v62, v14
	;; [unrolled: 1-line block ×10, first 2 shown]
	v_mov_b32_e32 v4, v3
.LBB26_25:
	s_or_b32 exec_lo, exec_lo, s2
	v_mov_b32_e32 v1, v21
	s_mov_b32 s2, exec_lo
	v_cmpx_lt_f32_e32 v2, v21
	s_cbranch_execz .LBB26_27
; %bb.26:
	v_mov_b32_e32 v68, v5
	v_dual_mov_b32 v20, v21 :: v_dual_mov_b32 v21, v2
	v_mov_b32_e32 v84, v13
	v_dual_mov_b32 v32, v64 :: v_dual_mov_b32 v33, v65
	v_dual_mov_b32 v39, v71 :: v_dual_mov_b32 v56, v80
	;; [unrolled: 1-line block ×7, first 2 shown]
	v_mov_b32_e32 v61, v12
	v_dual_mov_b32 v72, v80 :: v_dual_mov_b32 v73, v81
	v_dual_mov_b32 v40, v64 :: v_dual_mov_b32 v41, v65
	;; [unrolled: 1-line block ×9, first 2 shown]
	v_mov_b32_e32 v45, v69
	v_mov_b32_e32 v1, v2
	;; [unrolled: 1-line block ×3, first 2 shown]
	v_dual_mov_b32 v5, v4 :: v_dual_mov_b32 v78, v86
	v_dual_mov_b32 v79, v87 :: v_dual_mov_b32 v46, v70
	v_mov_b32_e32 v47, v71
.LBB26_27:
	s_or_b32 exec_lo, exec_lo, s2
	v_mov_b32_e32 v2, v22
	s_mov_b32 s2, exec_lo
	v_cmpx_lt_f32_e32 v1, v22
	s_cbranch_execz .LBB26_29
; %bb.28:
	v_dual_mov_b32 v77, v14 :: v_dual_mov_b32 v78, v13
	v_dual_mov_b32 v45, v6 :: v_dual_mov_b32 v46, v5
	v_mov_b32_e32 v79, v15
	v_dual_mov_b32 v21, v22 :: v_dual_mov_b32 v22, v1
	v_dual_mov_b32 v47, v7 :: v_dual_mov_b32 v56, v72
	;; [unrolled: 1-line block ×10, first 2 shown]
.LBB26_29:
	s_or_b32 exec_lo, exec_lo, s2
	s_delay_alu instid0(VALU_DEP_1)
	v_cmp_lt_f32_e32 vcc_lo, v2, v23
	v_mov_b32_e32 v43, v59
	v_cmp_lt_f32_e64 s2, v16, v17
	v_dual_mov_b32 v41, v57 :: v_dual_mov_b32 v42, v58
	v_dual_cndmask_b32 v9, v23, v2 :: v_dual_mov_b32 v44, v60
	v_dual_cndmask_b32 v22, v22, v23 :: v_dual_cndmask_b32 v47, v63, v62
	s_delay_alu instid0(VALU_DEP_2)
	v_dual_mov_b32 v40, v56 :: v_dual_mov_b32 v23, v9
	v_dual_cndmask_b32 v46, v62, v63 :: v_dual_mov_b32 v1, v16
	v_dual_mov_b32 v4, v19 :: v_dual_mov_b32 v45, v61
	v_dual_cndmask_b32 v54, v38, v39 :: v_dual_cndmask_b32 v55, v39, v38
	v_dual_mov_b32 v2, v17 :: v_dual_mov_b32 v3, v18
	v_dual_mov_b32 v6, v21 :: v_dual_mov_b32 v5, v20
	;; [unrolled: 1-line block ×6, first 2 shown]
	s_and_saveexec_b32 s3, s2
	s_delay_alu instid0(SALU_CYCLE_1)
	s_xor_b32 s2, exec_lo, s3
	s_cbranch_execz .LBB26_31
; %bb.30:
	v_dual_mov_b32 v2, v17 :: v_dual_mov_b32 v3, v16
	v_dual_mov_b32 v4, v18 :: v_dual_mov_b32 v5, v19
	;; [unrolled: 1-line block ×4, first 2 shown]
	s_delay_alu instid0(VALU_DEP_4)
	v_dual_mov_b32 v1, v2 :: v_dual_mov_b32 v40, v57
	v_dual_mov_b32 v2, v3 :: v_dual_mov_b32 v41, v56
	;; [unrolled: 1-line block ×10, first 2 shown]
.LBB26_31:
	s_or_b32 exec_lo, exec_lo, s2
	v_dual_mov_b32 v26, v40 :: v_dual_mov_b32 v27, v41
	v_dual_mov_b32 v79, v47 :: v_dual_mov_b32 v78, v46
	;; [unrolled: 1-line block ×22, first 2 shown]
	v_mov_b32_e32 v34, v3
	s_mov_b32 s2, exec_lo
	v_dual_mov_b32 v77, v45 :: v_dual_mov_b32 v76, v44
	v_dual_mov_b32 v69, v53 :: v_dual_mov_b32 v68, v52
	v_cmpx_lt_f32_e32 v17, v3
	s_cbranch_execz .LBB26_33
; %bb.32:
	v_dual_mov_b32 v9, v48 :: v_dual_mov_b32 v10, v49
	v_dual_mov_b32 v15, v54 :: v_dual_mov_b32 v16, v55
	v_mov_b32_e32 v10, v50
	v_dual_mov_b32 v11, v50 :: v_dual_mov_b32 v12, v51
	v_dual_mov_b32 v13, v52 :: v_dual_mov_b32 v14, v53
	;; [unrolled: 1-line block ×3, first 2 shown]
	v_mov_b32_e32 v11, v49
	v_dual_mov_b32 v59, v43 :: v_dual_mov_b32 v58, v42
	v_dual_mov_b32 v57, v41 :: v_dual_mov_b32 v56, v40
	;; [unrolled: 1-line block ×14, first 2 shown]
	v_mov_b32_e32 v23, v69
	v_dual_mov_b32 v23, v53 :: v_dual_mov_b32 v26, v72
	v_dual_mov_b32 v19, v65 :: v_dual_mov_b32 v22, v68
	;; [unrolled: 1-line block ×12, first 2 shown]
	v_mov_b32_e32 v42, v41
	v_mov_b32_e32 v50, v49
.LBB26_33:
	s_or_b32 exec_lo, exec_lo, s2
	v_mov_b32_e32 v17, v4
	s_mov_b32 s2, exec_lo
	v_cmpx_lt_f32_e32 v34, v4
	s_cbranch_execz .LBB26_35
; %bb.34:
	v_mov_b32_e32 v11, v51
	v_dual_mov_b32 v3, v4 :: v_dual_mov_b32 v4, v34
	v_dual_mov_b32 v58, v43 :: v_dual_mov_b32 v71, v16
	v_mov_b32_e32 v64, v9
	v_dual_mov_b32 v70, v15 :: v_dual_mov_b32 v69, v14
	v_dual_mov_b32 v79, v63 :: v_dual_mov_b32 v76, v60
	;; [unrolled: 1-line block ×5, first 2 shown]
	v_mov_b32_e32 v67, v50
	v_dual_mov_b32 v78, v62 :: v_dual_mov_b32 v77, v61
	v_dual_mov_b32 v74, v58 :: v_dual_mov_b32 v73, v57
	;; [unrolled: 1-line block ×14, first 2 shown]
	v_mov_b32_e32 v33, v47
	v_mov_b32_e32 v17, v34
	;; [unrolled: 1-line block ×4, first 2 shown]
.LBB26_35:
	s_or_b32 exec_lo, exec_lo, s2
	v_mov_b32_e32 v12, v5
	s_mov_b32 s2, exec_lo
	v_cmpx_lt_f32_e32 v17, v5
	s_cbranch_execz .LBB26_37
; %bb.36:
	v_mov_b32_e32 v12, v52
	v_dual_mov_b32 v4, v5 :: v_dual_mov_b32 v59, v44
	v_mov_b32_e32 v5, v17
	v_dual_mov_b32 v25, v16 :: v_dual_mov_b32 v24, v15
	v_dual_mov_b32 v26, v56 :: v_dual_mov_b32 v27, v57
	;; [unrolled: 1-line block ×19, first 2 shown]
	v_mov_b32_e32 v12, v17
	v_mov_b32_e32 v44, v43
	v_dual_mov_b32 v52, v51 :: v_dual_mov_b32 v77, v61
	v_mov_b32_e32 v76, v60
.LBB26_37:
	s_or_b32 exec_lo, exec_lo, s2
	v_mov_b32_e32 v9, v6
	s_mov_b32 s2, exec_lo
	v_cmpx_lt_f32_e32 v12, v6
	s_cbranch_execz .LBB26_39
; %bb.38:
	v_dual_mov_b32 v68, v53 :: v_dual_mov_b32 v69, v52
	v_dual_mov_b32 v70, v54 :: v_dual_mov_b32 v77, v44
	;; [unrolled: 1-line block ×13, first 2 shown]
	v_mov_b32_e32 v9, v12
.LBB26_39:
	s_or_b32 exec_lo, exec_lo, s2
	s_delay_alu instid0(VALU_DEP_1)
	v_cmp_lt_f32_e32 vcc_lo, v9, v7
	v_mov_b32_e32 v11, v3
	v_mov_b32_e32 v13, v5
	s_mov_b32 s2, exec_lo
	v_dual_mov_b32 v10, v2 :: v_dual_cndmask_b32 v17, v32, v31
	v_dual_cndmask_b32 v31, v31, v32 :: v_dual_cndmask_b32 v66, v24, v23
	v_dual_cndmask_b32 v23, v23, v24 :: v_dual_cndmask_b32 v14, v6, v7
	v_dual_cndmask_b32 v15, v7, v9 :: v_dual_mov_b32 v12, v4
	v_dual_mov_b32 v9, v1 :: v_dual_mov_b32 v16, v8
	v_cmpx_lt_f32_e32 v1, v2
	s_cbranch_execz .LBB26_41
; %bb.40:
	s_delay_alu instid0(VALU_DEP_2) | instskip(NEXT) | instid1(VALU_DEP_3)
	v_dual_mov_b32 v2, v10 :: v_dual_mov_b32 v3, v9
	v_dual_mov_b32 v8, v15 :: v_dual_mov_b32 v9, v16
	;; [unrolled: 1-line block ×4, first 2 shown]
	s_delay_alu instid0(VALU_DEP_3) | instskip(NEXT) | instid1(VALU_DEP_4)
	v_mov_b32_e32 v16, v9
	v_dual_mov_b32 v24, v26 :: v_dual_mov_b32 v15, v8
	s_delay_alu instid0(VALU_DEP_4)
	v_dual_mov_b32 v32, v18 :: v_dual_mov_b32 v11, v4
	v_swap_b32 v26, v27
	v_swap_b32 v18, v19
	v_dual_mov_b32 v14, v7 :: v_dual_mov_b32 v13, v6
	v_mov_b32_e32 v12, v5
	v_dual_mov_b32 v10, v3 :: v_dual_mov_b32 v9, v2
	v_mov_b32_e32 v2, v1
.LBB26_41:
	s_or_b32 exec_lo, exec_lo, s2
	v_mov_b32_e32 v24, v66
	v_mov_b32_e32 v32, v17
	;; [unrolled: 1-line block ×4, first 2 shown]
	s_delay_alu instid0(VALU_DEP_4)
	v_dual_mov_b32 v41, v33 :: v_dual_mov_b32 v48, v24
	v_dual_mov_b32 v34, v26 :: v_dual_mov_b32 v65, v33
	;; [unrolled: 1-line block ×15, first 2 shown]
	v_mov_b32_e32 v50, v18
	s_mov_b32 s2, exec_lo
	v_cmpx_lt_f32_e32 v2, v11
	s_cbranch_execz .LBB26_43
; %bb.42:
	v_dual_mov_b32 v57, v25 :: v_dual_mov_b32 v56, v24
	v_dual_mov_b32 v53, v21 :: v_dual_mov_b32 v52, v20
	;; [unrolled: 1-line block ×7, first 2 shown]
	s_delay_alu instid0(VALU_DEP_4)
	v_dual_mov_b32 v42, v50 :: v_dual_mov_b32 v43, v51
	v_dual_mov_b32 v63, v31 :: v_dual_mov_b32 v62, v30
	;; [unrolled: 1-line block ×18, first 2 shown]
	v_mov_b32_e32 v1, v2
.LBB26_43:
	s_or_b32 exec_lo, exec_lo, s2
	v_mov_b32_e32 v2, v12
	s_mov_b32 s2, exec_lo
	s_delay_alu instid0(VALU_DEP_2)
	v_cmpx_lt_f32_e32 v1, v12
	s_cbranch_execz .LBB26_45
; %bb.44:
	v_dual_mov_b32 v52, v21 :: v_dual_mov_b32 v11, v12
	v_mov_b32_e32 v60, v29
	v_dual_mov_b32 v42, v50 :: v_dual_mov_b32 v45, v53
	v_dual_mov_b32 v47, v55 :: v_dual_mov_b32 v34, v58
	s_delay_alu instid0(VALU_DEP_4)
	v_dual_mov_b32 v37, v61 :: v_dual_mov_b32 v44, v52
	v_dual_mov_b32 v49, v57 :: v_dual_mov_b32 v46, v54
	v_mov_b32_e32 v45, v20
	v_dual_mov_b32 v48, v56 :: v_dual_mov_b32 v47, v23
	v_dual_mov_b32 v36, v60 :: v_dual_mov_b32 v39, v63
	;; [unrolled: 1-line block ×9, first 2 shown]
	v_mov_b32_e32 v41, v33
	v_dual_mov_b32 v2, v1 :: v_dual_mov_b32 v21, v20
.LBB26_45:
	s_or_b32 exec_lo, exec_lo, s2
	v_mov_b32_e32 v1, v13
	s_mov_b32 s2, exec_lo
	s_delay_alu instid0(VALU_DEP_2)
	v_cmpx_lt_f32_e32 v2, v13
	s_cbranch_execz .LBB26_47
; %bb.46:
	v_dual_mov_b32 v53, v22 :: v_dual_mov_b32 v54, v21
	v_dual_mov_b32 v55, v23 :: v_dual_mov_b32 v56, v66
	;; [unrolled: 1-line block ×4, first 2 shown]
	v_mov_b32_e32 v57, v25
	v_dual_mov_b32 v65, v33 :: v_dual_mov_b32 v42, v50
	v_mov_b32_e32 v34, v58
	v_dual_mov_b32 v12, v13 :: v_dual_mov_b32 v13, v2
	v_dual_mov_b32 v35, v59 :: v_dual_mov_b32 v36, v60
	;; [unrolled: 1-line block ×7, first 2 shown]
	v_mov_b32_e32 v47, v55
	v_mov_b32_e32 v49, v57
	;; [unrolled: 1-line block ×3, first 2 shown]
.LBB26_47:
	s_or_b32 exec_lo, exec_lo, s2
	s_delay_alu instid0(VALU_DEP_1)
	v_cmp_lt_f32_e32 vcc_lo, v1, v14
	v_dual_mov_b32 v20, v10 :: v_dual_mov_b32 v25, v15
	v_mov_b32_e32 v22, v12
	v_dual_mov_b32 v26, v16 :: v_dual_cndmask_b32 v27, v39, v38
	v_cndmask_b32_e32 v38, v38, v39, vcc_lo
	v_dual_cndmask_b32 v28, v47, v46 :: v_dual_mov_b32 v19, v9
	v_dual_cndmask_b32 v46, v46, v47 :: v_dual_cndmask_b32 v23, v13, v14
	v_dual_cndmask_b32 v24, v14, v1 :: v_dual_mov_b32 v21, v11
	s_mov_b32 s2, exec_lo
	v_cmpx_lt_f32_e32 v9, v10
	s_cbranch_execz .LBB26_49
; %bb.48:
	v_dual_mov_b32 v7, v25 :: v_dual_mov_b32 v8, v26
	v_dual_mov_b32 v1, v20 :: v_dual_mov_b32 v2, v19
	v_dual_mov_b32 v3, v21 :: v_dual_mov_b32 v4, v22
	v_dual_mov_b32 v5, v23 :: v_dual_mov_b32 v6, v24
	s_delay_alu instid0(VALU_DEP_4)
	v_dual_mov_b32 v11, v34 :: v_dual_mov_b32 v26, v8
	v_dual_mov_b32 v12, v42 :: v_dual_mov_b32 v25, v7
	v_swap_b32 v34, v35
	v_swap_b32 v42, v43
	v_dual_mov_b32 v24, v6 :: v_dual_mov_b32 v23, v5
	v_dual_mov_b32 v22, v4 :: v_dual_mov_b32 v21, v3
	;; [unrolled: 1-line block ×3, first 2 shown]
	v_mov_b32_e32 v10, v9
.LBB26_49:
	s_or_b32 exec_lo, exec_lo, s2
	v_mov_b32_e32 v47, v28
	v_mov_b32_e32 v39, v27
	v_dual_mov_b32 v1, v42 :: v_dual_mov_b32 v4, v45
	v_dual_mov_b32 v11, v34 :: v_dual_mov_b32 v14, v37
	;; [unrolled: 1-line block ×3, first 2 shown]
	s_delay_alu instid0(VALU_DEP_4)
	v_dual_mov_b32 v16, v39 :: v_dual_mov_b32 v15, v38
	v_dual_mov_b32 v18, v41 :: v_dual_mov_b32 v17, v40
	;; [unrolled: 1-line block ×5, first 2 shown]
	v_mov_b32_e32 v9, v21
	s_mov_b32 s2, exec_lo
	v_cmpx_lt_f32_e32 v10, v21
	s_cbranch_execz .LBB26_51
; %bb.50:
	v_dual_mov_b32 v1, v42 :: v_dual_mov_b32 v2, v43
	v_dual_mov_b32 v5, v46 :: v_dual_mov_b32 v6, v47
	;; [unrolled: 1-line block ×16, first 2 shown]
	v_mov_b32_e32 v18, v41
	v_mov_b32_e32 v36, v35
	;; [unrolled: 1-line block ×3, first 2 shown]
.LBB26_51:
	s_or_b32 exec_lo, exec_lo, s2
	v_mov_b32_e32 v29, v22
	s_mov_b32 s2, exec_lo
	v_cmpx_lt_f32_e32 v9, v22
; %bb.52:
	v_dual_mov_b32 v21, v22 :: v_dual_mov_b32 v22, v9
	v_dual_mov_b32 v3, v45 :: v_dual_mov_b32 v4, v44
	;; [unrolled: 1-line block ×7, first 2 shown]
	v_mov_b32_e32 v29, v9
; %bb.53:
	s_or_b32 exec_lo, exec_lo, s2
	s_delay_alu instid0(VALU_DEP_1)
	v_cmp_lt_f32_e32 vcc_lo, v29, v23
	v_dual_mov_b32 v28, v20 :: v_dual_mov_b32 v33, v25
	v_mov_b32_e32 v32, v24
	v_dual_mov_b32 v34, v26 :: v_dual_cndmask_b32 v9, v15, v14
	v_cndmask_b32_e32 v14, v14, v15, vcc_lo
	v_dual_cndmask_b32 v10, v5, v4 :: v_dual_cndmask_b32 v31, v23, v29
	v_dual_cndmask_b32 v4, v4, v5 :: v_dual_mov_b32 v27, v19
	v_dual_cndmask_b32 v30, v22, v23 :: v_dual_mov_b32 v29, v21
	s_mov_b32 s2, exec_lo
	v_cmpx_lt_f32_e32 v19, v20
	s_cbranch_execz .LBB26_55
; %bb.54:
	v_dual_mov_b32 v20, v28 :: v_dual_mov_b32 v21, v27
	v_dual_mov_b32 v26, v33 :: v_dual_mov_b32 v27, v34
	;; [unrolled: 1-line block ×4, first 2 shown]
	s_delay_alu instid0(VALU_DEP_3) | instskip(SKIP_2) | instid1(VALU_DEP_4)
	v_dual_mov_b32 v15, v1 :: v_dual_mov_b32 v34, v27
	v_mov_b32_e32 v5, v11
	v_swap_b32 v11, v12
	v_mov_b32_e32 v32, v25
	v_swap_b32 v1, v2
	v_dual_mov_b32 v33, v26 :: v_dual_mov_b32 v30, v23
	v_dual_mov_b32 v31, v24 :: v_dual_mov_b32 v28, v21
	v_mov_b32_e32 v29, v22
	v_dual_mov_b32 v27, v20 :: v_dual_mov_b32 v20, v19
.LBB26_55:
	s_or_b32 exec_lo, exec_lo, s2
	v_mov_b32_e32 v5, v10
	v_mov_b32_e32 v15, v9
	;; [unrolled: 1-line block ×3, first 2 shown]
	s_mov_b32 s2, exec_lo
	v_cmpx_lt_f32_e32 v20, v29
	s_cbranch_execz .LBB26_57
; %bb.56:
	v_dual_mov_b32 v50, v18 :: v_dual_mov_b32 v49, v17
	v_dual_mov_b32 v42, v8 :: v_dual_mov_b32 v41, v7
	;; [unrolled: 1-line block ×14, first 2 shown]
	v_mov_b32_e32 v50, v18
	v_dual_mov_b32 v28, v29 :: v_dual_mov_b32 v29, v20
	v_dual_mov_b32 v42, v8 :: v_dual_mov_b32 v11, v43
	;; [unrolled: 1-line block ×10, first 2 shown]
.LBB26_57:
	s_or_b32 exec_lo, exec_lo, s2
	s_delay_alu instid0(VALU_DEP_1) | instskip(NEXT) | instid1(VALU_DEP_3)
	v_cmp_lt_f32_e32 vcc_lo, v19, v30
	v_dual_mov_b32 v20, v5 :: v_dual_mov_b32 v21, v6
	s_delay_alu instid0(VALU_DEP_3)
	v_dual_mov_b32 v22, v7 :: v_dual_mov_b32 v23, v8
	v_dual_cndmask_b32 v9, v14, v13 :: v_dual_cndmask_b32 v10, v4, v3
	v_dual_cndmask_b32 v35, v13, v14 :: v_dual_cndmask_b32 v36, v3, v4
	;; [unrolled: 1-line block ×3, first 2 shown]
	v_dual_mov_b32 v4, v15 :: v_dual_mov_b32 v13, v16
	v_dual_mov_b32 v14, v17 :: v_dual_mov_b32 v19, v18
	v_dual_mov_b32 v37, v28 :: v_dual_mov_b32 v24, v31
	v_dual_mov_b32 v25, v32 :: v_dual_mov_b32 v26, v33
	v_mov_b32_e32 v29, v34
	s_mov_b32 s2, exec_lo
	v_cmpx_lt_f32_e32 v27, v28
	s_cbranch_execz .LBB26_59
; %bb.58:
	v_dual_mov_b32 v24, v28 :: v_dual_mov_b32 v19, v18
	v_dual_mov_b32 v4, v11 :: v_dual_mov_b32 v13, v16
	v_dual_mov_b32 v20, v1 :: v_dual_mov_b32 v37, v27
	v_swap_b32 v11, v12
	v_swap_b32 v1, v2
	v_dual_mov_b32 v28, v27 :: v_dual_mov_b32 v21, v6
	v_dual_mov_b32 v4, v15 :: v_dual_mov_b32 v23, v8
	;; [unrolled: 1-line block ×5, first 2 shown]
	v_mov_b32_e32 v24, v31
	v_mov_b32_e32 v26, v33
.LBB26_59:
	s_or_b32 exec_lo, exec_lo, s2
	s_clause 0x1
	s_load_b32 s8, s[0:1], 0x28
	s_load_b128 s[4:7], s[0:1], 0x10
	s_waitcnt lgkmcnt(0)
	s_cmp_lt_i32 s8, 1
	s_cbranch_scc1 .LBB26_65
; %bb.60:
	v_cmp_lt_f32_e32 vcc_lo, v28, v30
	v_mov_b32_e32 v7, 0
	s_mov_b32 s9, 0x76543210
	s_mov_b32 s10, s8
	v_mov_b32_e32 v6, 0
	v_dual_cndmask_b32 v8, v35, v12 :: v_dual_cndmask_b32 v17, v37, v30
	v_cndmask_b32_e32 v5, v36, v2, vcc_lo
	v_cndmask_b32_e32 v15, v2, v36, vcc_lo
	;; [unrolled: 1-line block ×4, first 2 shown]
	v_cmp_lt_f32_e64 s2, v27, v17
	s_delay_alu instid0(VALU_DEP_1)
	v_cndmask_b32_e64 v12, v15, v1, s2
	v_cndmask_b32_e64 v15, v1, v15, s2
	;; [unrolled: 1-line block ×6, first 2 shown]
	v_mov_b32_e32 v27, v0
	v_mov_b32_e32 v1, 0
.LBB26_61:                              ; =>This Inner Loop Header: Depth=1
	v_cmp_eq_u32_e32 vcc_lo, 1, v7
	v_cmp_eq_u32_e64 s2, 2, v7
	v_cmp_gt_u32_e64 s3, 8, v7
	v_dual_cndmask_b32 v28, v17, v16 :: v_dual_cndmask_b32 v31, v11, v18
	v_cndmask_b32_e32 v30, v15, v12, vcc_lo
	v_cmp_eq_u32_e32 vcc_lo, 3, v7
	s_delay_alu instid0(VALU_DEP_3) | instskip(NEXT) | instid1(VALU_DEP_4)
	v_cndmask_b32_e64 v28, v28, v2, s2
	v_cndmask_b32_e64 v31, v31, v8, s2
	s_delay_alu instid0(VALU_DEP_4) | instskip(SKIP_1) | instid1(VALU_DEP_3)
	v_cndmask_b32_e64 v30, v30, v5, s2
	v_cmp_eq_u32_e64 s2, 4, v7
	v_dual_cndmask_b32 v28, v28, v3 :: v_dual_cndmask_b32 v31, v31, v9
	s_delay_alu instid0(VALU_DEP_1) | instskip(NEXT) | instid1(VALU_DEP_2)
	v_cndmask_b32_e64 v28, v28, v24, s2
	v_cndmask_b32_e64 v31, v31, v4, s2
	v_cndmask_b32_e32 v30, v30, v10, vcc_lo
	v_cmp_eq_u32_e32 vcc_lo, 5, v7
	s_delay_alu instid0(VALU_DEP_3) | instskip(SKIP_1) | instid1(VALU_DEP_4)
	v_cndmask_b32_e32 v31, v31, v13, vcc_lo
	v_cndmask_b32_e32 v28, v28, v25, vcc_lo
	v_cndmask_b32_e64 v30, v30, v20, s2
	v_cmp_eq_u32_e64 s2, 6, v7
	s_delay_alu instid0(VALU_DEP_2) | instskip(NEXT) | instid1(VALU_DEP_2)
	v_cndmask_b32_e32 v30, v30, v21, vcc_lo
	v_cndmask_b32_e64 v28, v28, v26, s2
	v_cmp_eq_u32_e32 vcc_lo, 7, v7
	v_cndmask_b32_e64 v31, v31, v14, s2
	s_delay_alu instid0(VALU_DEP_4) | instskip(NEXT) | instid1(VALU_DEP_4)
	v_cndmask_b32_e64 v30, v30, v22, s2
	v_cndmask_b32_e32 v28, v28, v29, vcc_lo
	s_delay_alu instid0(VALU_DEP_2) | instskip(NEXT) | instid1(VALU_DEP_2)
	v_cndmask_b32_e32 v30, v30, v23, vcc_lo
	v_cndmask_b32_e64 v28, 0xff800000, v28, s3
	;;#ASMSTART
	v_max_f32 v32, v28, v28 quad_perm:[1,0,3,2] row_mask:0xf bank_mask:0xf bound_ctrl:1
	;;#ASMEND
	;;#ASMSTART
	v_max_f32 v33, v32, v32 quad_perm:[2,3,0,1] row_mask:0xf bank_mask:0xf bound_ctrl:1
	;;#ASMEND
	;;#ASMSTART
	v_max_f32 v32, v33, v33 row_half_mirror row_mask:0xf bank_mask:0xf bound_ctrl:1
	;;#ASMEND
	;;#ASMSTART
	v_max_f32 v33, v32, v32 row_mirror row_mask:0xf bank_mask:0xf bound_ctrl:1
	;;#ASMEND
	v_permlanex16_b32 v32, v33, s9, 0xfedcba98 op_sel:[1,1]
	s_delay_alu instid0(VALU_DEP_1) | instskip(NEXT) | instid1(VALU_DEP_1)
	v_dual_max_f32 v33, v33, v33 :: v_dual_max_f32 v32, v32, v32
	v_max_f32_e32 v32, v33, v32
	s_delay_alu instid0(VALU_DEP_1) | instskip(SKIP_1) | instid1(VALU_DEP_2)
	v_cmp_eq_f32_e64 s2, v28, v32
	v_cndmask_b32_e64 v28, 0, v30, s3
	s_ctz_i32_b32 s11, s2
	s_cmp_lg_u32 s2, 0
	s_cselect_b32 s2, s11, 0
	s_add_i32 s10, s10, -1
	v_readlane_b32 s11, v28, s2
	v_cndmask_b32_e32 v28, v31, v19, vcc_lo
	s_delay_alu instid0(VALU_DEP_2)
	v_cmp_eq_u32_e32 vcc_lo, s11, v30
	s_and_b32 s2, s11, 31
	s_and_b32 vcc_lo, s3, vcc_lo
	s_cmp_eq_u32 s10, 0
	v_cndmask_b32_e32 v28, 0, v28, vcc_lo
	v_add_co_ci_u32_e32 v7, vcc_lo, 0, v7, vcc_lo
	s_delay_alu instid0(VALU_DEP_2) | instskip(SKIP_2) | instid1(VALU_DEP_2)
	v_readlane_b32 s3, v28, s2
	v_cmp_eq_u32_e64 s2, 0, v27
	v_add_nc_u32_e32 v27, -1, v27
	v_cndmask_b32_e64 v6, v6, s3, s2
	v_cndmask_b32_e64 v1, v1, s11, s2
	s_cbranch_scc0 .LBB26_61
; %bb.62:
	s_mov_b32 s2, exec_lo
	v_cmpx_gt_i32_e64 s8, v0
	s_cbranch_execz .LBB26_64
.LBB26_63:
	s_clause 0x1
	s_load_b64 s[2:3], s[0:1], 0x20
	s_load_b32 s8, s[0:1], 0x30
	s_ashr_i32 s0, s15, 31
	s_waitcnt lgkmcnt(0)
	s_mul_i32 s1, s15, s3
	s_mul_hi_u32 s3, s15, s2
	s_mul_i32 s0, s0, s2
	s_add_i32 s1, s3, s1
	v_mul_f32_e32 v0, s8, v6
	s_add_i32 s1, s1, s0
	s_mul_i32 s0, s15, s2
	s_delay_alu instid0(SALU_CYCLE_1) | instskip(NEXT) | instid1(SALU_CYCLE_1)
	s_lshl_b64 s[0:1], s[0:1], 2
	s_add_u32 s2, s4, s0
	s_addc_u32 s3, s5, s1
	s_add_u32 s0, s6, s0
	s_addc_u32 s1, s7, s1
	s_clause 0x1
	global_store_b32 v96, v0, s[2:3]
	global_store_b32 v96, v1, s[0:1]
.LBB26_64:
	s_nop 0
	s_sendmsg sendmsg(MSG_DEALLOC_VGPRS)
	s_endpgm
.LBB26_65:
	v_dual_mov_b32 v1, 0 :: v_dual_mov_b32 v6, 0
	s_mov_b32 s2, exec_lo
	v_cmpx_gt_i32_e64 s8, v0
	s_cbranch_execnz .LBB26_63
	s_branch .LBB26_64
	.section	.rodata,"a",@progbits
	.p2align	6, 0x0
	.amdhsa_kernel _ZN5aiter24topk_softplus_kernel_optIffLi256ELb0ELi0EEEvPKT_PKT0_PfPimiif
		.amdhsa_group_segment_fixed_size 0
		.amdhsa_private_segment_fixed_size 0
		.amdhsa_kernarg_size 52
		.amdhsa_user_sgpr_count 15
		.amdhsa_user_sgpr_dispatch_ptr 0
		.amdhsa_user_sgpr_queue_ptr 0
		.amdhsa_user_sgpr_kernarg_segment_ptr 1
		.amdhsa_user_sgpr_dispatch_id 0
		.amdhsa_user_sgpr_private_segment_size 0
		.amdhsa_wavefront_size32 1
		.amdhsa_uses_dynamic_stack 0
		.amdhsa_enable_private_segment 0
		.amdhsa_system_sgpr_workgroup_id_x 1
		.amdhsa_system_sgpr_workgroup_id_y 0
		.amdhsa_system_sgpr_workgroup_id_z 0
		.amdhsa_system_sgpr_workgroup_info 0
		.amdhsa_system_vgpr_workitem_id 0
		.amdhsa_next_free_vgpr 97
		.amdhsa_next_free_sgpr 16
		.amdhsa_reserve_vcc 1
		.amdhsa_float_round_mode_32 0
		.amdhsa_float_round_mode_16_64 0
		.amdhsa_float_denorm_mode_32 3
		.amdhsa_float_denorm_mode_16_64 3
		.amdhsa_dx10_clamp 1
		.amdhsa_ieee_mode 1
		.amdhsa_fp16_overflow 0
		.amdhsa_workgroup_processor_mode 1
		.amdhsa_memory_ordered 1
		.amdhsa_forward_progress 0
		.amdhsa_shared_vgpr_count 0
		.amdhsa_exception_fp_ieee_invalid_op 0
		.amdhsa_exception_fp_denorm_src 0
		.amdhsa_exception_fp_ieee_div_zero 0
		.amdhsa_exception_fp_ieee_overflow 0
		.amdhsa_exception_fp_ieee_underflow 0
		.amdhsa_exception_fp_ieee_inexact 0
		.amdhsa_exception_int_div_zero 0
	.end_amdhsa_kernel
	.section	.text._ZN5aiter24topk_softplus_kernel_optIffLi256ELb0ELi0EEEvPKT_PKT0_PfPimiif,"axG",@progbits,_ZN5aiter24topk_softplus_kernel_optIffLi256ELb0ELi0EEEvPKT_PKT0_PfPimiif,comdat
.Lfunc_end26:
	.size	_ZN5aiter24topk_softplus_kernel_optIffLi256ELb0ELi0EEEvPKT_PKT0_PfPimiif, .Lfunc_end26-_ZN5aiter24topk_softplus_kernel_optIffLi256ELb0ELi0EEEvPKT_PKT0_PfPimiif
                                        ; -- End function
	.section	.AMDGPU.csdata,"",@progbits
; Kernel info:
; codeLenInByte = 8388
; NumSgprs: 18
; NumVgprs: 97
; ScratchSize: 0
; MemoryBound: 0
; FloatMode: 240
; IeeeMode: 1
; LDSByteSize: 0 bytes/workgroup (compile time only)
; SGPRBlocks: 2
; VGPRBlocks: 12
; NumSGPRsForWavesPerEU: 18
; NumVGPRsForWavesPerEU: 97
; Occupancy: 12
; WaveLimiterHint : 0
; COMPUTE_PGM_RSRC2:SCRATCH_EN: 0
; COMPUTE_PGM_RSRC2:USER_SGPR: 15
; COMPUTE_PGM_RSRC2:TRAP_HANDLER: 0
; COMPUTE_PGM_RSRC2:TGID_X_EN: 1
; COMPUTE_PGM_RSRC2:TGID_Y_EN: 0
; COMPUTE_PGM_RSRC2:TGID_Z_EN: 0
; COMPUTE_PGM_RSRC2:TIDIG_COMP_CNT: 0
	.section	.text._ZN5aiter24topk_softplus_kernel_optIffLi384ELb1ELi0EEEvPKT_PKT0_PfPimiif,"axG",@progbits,_ZN5aiter24topk_softplus_kernel_optIffLi384ELb1ELi0EEEvPKT_PKT0_PfPimiif,comdat
	.protected	_ZN5aiter24topk_softplus_kernel_optIffLi384ELb1ELi0EEEvPKT_PKT0_PfPimiif ; -- Begin function _ZN5aiter24topk_softplus_kernel_optIffLi384ELb1ELi0EEEvPKT_PKT0_PfPimiif
	.globl	_ZN5aiter24topk_softplus_kernel_optIffLi384ELb1ELi0EEEvPKT_PKT0_PfPimiif
	.p2align	8
	.type	_ZN5aiter24topk_softplus_kernel_optIffLi384ELb1ELi0EEEvPKT_PKT0_PfPimiif,@function
_ZN5aiter24topk_softplus_kernel_optIffLi384ELb1ELi0EEEvPKT_PKT0_PfPimiif: ; @_ZN5aiter24topk_softplus_kernel_optIffLi384ELb1ELi0EEEvPKT_PKT0_PfPimiif
; %bb.0:
	s_load_b128 s[4:7], s[0:1], 0x0
	s_mul_i32 s2, s15, 0x180
	v_lshlrev_b32_e32 v183, 2, v0
	s_ashr_i32 s3, s2, 31
	s_delay_alu instid0(SALU_CYCLE_1)
	s_lshl_b64 s[2:3], s[2:3], 2
	s_waitcnt lgkmcnt(0)
	s_add_u32 s4, s4, s2
	s_addc_u32 s5, s5, s3
	s_cmp_lg_u64 s[6:7], 0
	global_load_b32 v1, v183, s[4:5]
	s_cselect_b32 s3, -1, 0
	s_waitcnt vmcnt(0)
	v_mul_f32_e32 v2, 0x3fb8aa3b, v1
	s_delay_alu instid0(VALU_DEP_1) | instskip(SKIP_2) | instid1(VALU_DEP_2)
	v_cmp_gt_f32_e32 vcc_lo, 0xc2fc0000, v2
	v_cndmask_b32_e64 v2, 0, 0x42800000, vcc_lo
	v_cndmask_b32_e64 v3, 1.0, 0x1f800000, vcc_lo
	v_fmac_f32_e32 v2, 0x3fb8aa3b, v1
	s_delay_alu instid0(VALU_DEP_1) | instskip(SKIP_2) | instid1(VALU_DEP_1)
	v_exp_f32_e32 v2, v2
	s_waitcnt_depctr 0xfff
	v_fma_f32 v2, v2, v3, 1.0
	v_cmp_gt_f32_e32 vcc_lo, 0x800000, v2
	v_cndmask_b32_e64 v3, 1.0, 0x4f800000, vcc_lo
	s_delay_alu instid0(VALU_DEP_1) | instskip(SKIP_2) | instid1(VALU_DEP_3)
	v_mul_f32_e32 v2, v2, v3
	v_cndmask_b32_e64 v3, 0, 0x42000000, vcc_lo
	v_cmp_lt_f32_e32 vcc_lo, 0x41a00000, v1
	v_log_f32_e32 v2, v2
	s_waitcnt_depctr 0xfff
	v_sub_f32_e32 v2, v2, v3
	s_delay_alu instid0(VALU_DEP_1) | instskip(NEXT) | instid1(VALU_DEP_1)
	v_mul_f32_e32 v2, 0x3f317218, v2
	v_cndmask_b32_e32 v1, v2, v1, vcc_lo
	s_delay_alu instid0(VALU_DEP_1) | instskip(SKIP_1) | instid1(VALU_DEP_2)
	v_mul_f32_e32 v2, 0x4f800000, v1
	v_cmp_gt_f32_e32 vcc_lo, 0xf800000, v1
	v_cndmask_b32_e32 v1, v1, v2, vcc_lo
	s_delay_alu instid0(VALU_DEP_1) | instskip(SKIP_3) | instid1(VALU_DEP_2)
	v_sqrt_f32_e32 v2, v1
	s_waitcnt_depctr 0xfff
	v_add_nc_u32_e32 v3, -1, v2
	v_add_nc_u32_e32 v4, 1, v2
	v_fma_f32 v5, -v3, v2, v1
	s_delay_alu instid0(VALU_DEP_2) | instskip(NEXT) | instid1(VALU_DEP_2)
	v_fma_f32 v6, -v4, v2, v1
	v_cmp_ge_f32_e64 s2, 0, v5
	s_delay_alu instid0(VALU_DEP_1) | instskip(NEXT) | instid1(VALU_DEP_3)
	v_cndmask_b32_e64 v2, v2, v3, s2
	v_cmp_lt_f32_e64 s2, 0, v6
	s_delay_alu instid0(VALU_DEP_1) | instskip(SKIP_1) | instid1(VALU_DEP_1)
	v_cndmask_b32_e64 v2, v2, v4, s2
	v_add_co_u32 v12, s2, s4, v183
	v_add_co_ci_u32_e64 v13, null, s5, 0, s2
	s_delay_alu instid0(VALU_DEP_3) | instskip(NEXT) | instid1(VALU_DEP_1)
	v_mul_f32_e32 v3, 0x37800000, v2
	v_cndmask_b32_e32 v2, v2, v3, vcc_lo
	v_cmp_class_f32_e64 vcc_lo, v1, 0x260
	s_delay_alu instid0(VALU_DEP_2) | instskip(SKIP_1) | instid1(VALU_DEP_1)
	v_cndmask_b32_e32 v49, v2, v1, vcc_lo
	s_and_b32 vcc_lo, exec_lo, s3
	v_mov_b32_e32 v37, v49
	s_cbranch_vccz .LBB27_2
; %bb.1:
	global_load_b32 v1, v183, s[6:7]
	s_waitcnt vmcnt(0)
	v_add_f32_e32 v37, v49, v1
.LBB27_2:
	global_load_b32 v1, v[12:13], off offset:128
	s_waitcnt vmcnt(0)
	v_mul_f32_e32 v2, 0x3fb8aa3b, v1
	s_delay_alu instid0(VALU_DEP_1) | instskip(SKIP_2) | instid1(VALU_DEP_2)
	v_cmp_gt_f32_e32 vcc_lo, 0xc2fc0000, v2
	v_cndmask_b32_e64 v3, 0, 0x42800000, vcc_lo
	v_cndmask_b32_e64 v2, 1.0, 0x1f800000, vcc_lo
	v_fmac_f32_e32 v3, 0x3fb8aa3b, v1
	s_delay_alu instid0(VALU_DEP_1) | instskip(SKIP_2) | instid1(VALU_DEP_1)
	v_exp_f32_e32 v3, v3
	s_waitcnt_depctr 0xfff
	v_fma_f32 v2, v3, v2, 1.0
	v_cmp_gt_f32_e32 vcc_lo, 0x800000, v2
	v_cndmask_b32_e64 v3, 1.0, 0x4f800000, vcc_lo
	s_delay_alu instid0(VALU_DEP_1) | instskip(SKIP_2) | instid1(VALU_DEP_3)
	v_mul_f32_e32 v2, v2, v3
	v_cndmask_b32_e64 v3, 0, 0x42000000, vcc_lo
	v_cmp_lt_f32_e32 vcc_lo, 0x41a00000, v1
	v_log_f32_e32 v2, v2
	s_waitcnt_depctr 0xfff
	v_sub_f32_e32 v2, v2, v3
	s_delay_alu instid0(VALU_DEP_1) | instskip(NEXT) | instid1(VALU_DEP_1)
	v_mul_f32_e32 v2, 0x3f317218, v2
	v_cndmask_b32_e32 v1, v2, v1, vcc_lo
	s_delay_alu instid0(VALU_DEP_1) | instskip(SKIP_1) | instid1(VALU_DEP_2)
	v_mul_f32_e32 v2, 0x4f800000, v1
	v_cmp_gt_f32_e32 vcc_lo, 0xf800000, v1
	v_cndmask_b32_e32 v2, v1, v2, vcc_lo
	s_delay_alu instid0(VALU_DEP_1) | instskip(SKIP_3) | instid1(VALU_DEP_2)
	v_sqrt_f32_e32 v1, v2
	s_waitcnt_depctr 0xfff
	v_add_nc_u32_e32 v3, -1, v1
	v_add_nc_u32_e32 v4, 1, v1
	v_fma_f32 v5, -v3, v1, v2
	s_delay_alu instid0(VALU_DEP_2) | instskip(NEXT) | instid1(VALU_DEP_2)
	v_fma_f32 v6, -v4, v1, v2
	v_cmp_ge_f32_e64 s2, 0, v5
	s_delay_alu instid0(VALU_DEP_1) | instskip(NEXT) | instid1(VALU_DEP_3)
	v_cndmask_b32_e64 v1, v1, v3, s2
	v_cmp_lt_f32_e64 s2, 0, v6
	s_delay_alu instid0(VALU_DEP_1) | instskip(NEXT) | instid1(VALU_DEP_1)
	v_cndmask_b32_e64 v1, v1, v4, s2
	v_mul_f32_e32 v3, 0x37800000, v1
	s_delay_alu instid0(VALU_DEP_1) | instskip(SKIP_2) | instid1(VALU_DEP_3)
	v_cndmask_b32_e32 v3, v1, v3, vcc_lo
	v_cmp_class_f32_e64 vcc_lo, v2, 0x260
	v_cndmask_b32_e64 v1, 0, 1, s3
	v_cndmask_b32_e32 v2, v3, v2, vcc_lo
	s_and_not1_b32 vcc_lo, exec_lo, s3
	s_delay_alu instid0(VALU_DEP_1)
	v_mov_b32_e32 v38, v2
	s_cbranch_vccnz .LBB27_4
; %bb.3:
	global_load_b32 v3, v183, s[6:7] offset:128
	s_waitcnt vmcnt(0)
	v_add_f32_e32 v38, v2, v3
.LBB27_4:
	global_load_b32 v3, v[12:13], off offset:256
	s_waitcnt vmcnt(0)
	v_mul_f32_e32 v4, 0x3fb8aa3b, v3
	s_delay_alu instid0(VALU_DEP_1) | instskip(SKIP_2) | instid1(VALU_DEP_2)
	v_cmp_gt_f32_e32 vcc_lo, 0xc2fc0000, v4
	v_cndmask_b32_e64 v5, 0, 0x42800000, vcc_lo
	v_cndmask_b32_e64 v4, 1.0, 0x1f800000, vcc_lo
	v_fmac_f32_e32 v5, 0x3fb8aa3b, v3
	s_delay_alu instid0(VALU_DEP_1) | instskip(SKIP_2) | instid1(VALU_DEP_1)
	v_exp_f32_e32 v5, v5
	s_waitcnt_depctr 0xfff
	v_fma_f32 v4, v5, v4, 1.0
	v_cmp_gt_f32_e32 vcc_lo, 0x800000, v4
	v_cndmask_b32_e64 v5, 1.0, 0x4f800000, vcc_lo
	s_delay_alu instid0(VALU_DEP_1) | instskip(SKIP_2) | instid1(VALU_DEP_3)
	v_mul_f32_e32 v4, v4, v5
	v_cndmask_b32_e64 v5, 0, 0x42000000, vcc_lo
	v_cmp_lt_f32_e32 vcc_lo, 0x41a00000, v3
	v_log_f32_e32 v4, v4
	s_waitcnt_depctr 0xfff
	v_sub_f32_e32 v4, v4, v5
	s_delay_alu instid0(VALU_DEP_1) | instskip(NEXT) | instid1(VALU_DEP_1)
	v_mul_f32_e32 v4, 0x3f317218, v4
	v_cndmask_b32_e32 v3, v4, v3, vcc_lo
	s_delay_alu instid0(VALU_DEP_1) | instskip(SKIP_1) | instid1(VALU_DEP_2)
	v_mul_f32_e32 v4, 0x4f800000, v3
	v_cmp_gt_f32_e32 vcc_lo, 0xf800000, v3
	v_cndmask_b32_e32 v3, v3, v4, vcc_lo
	s_delay_alu instid0(VALU_DEP_1) | instskip(SKIP_3) | instid1(VALU_DEP_2)
	v_sqrt_f32_e32 v4, v3
	s_waitcnt_depctr 0xfff
	v_add_nc_u32_e32 v5, -1, v4
	v_add_nc_u32_e32 v6, 1, v4
	v_fma_f32 v7, -v5, v4, v3
	s_delay_alu instid0(VALU_DEP_2) | instskip(NEXT) | instid1(VALU_DEP_2)
	v_fma_f32 v8, -v6, v4, v3
	v_cmp_ge_f32_e64 s2, 0, v7
	s_delay_alu instid0(VALU_DEP_1) | instskip(NEXT) | instid1(VALU_DEP_3)
	v_cndmask_b32_e64 v4, v4, v5, s2
	v_cmp_lt_f32_e64 s2, 0, v8
	s_delay_alu instid0(VALU_DEP_1) | instskip(NEXT) | instid1(VALU_DEP_1)
	v_cndmask_b32_e64 v4, v4, v6, s2
	v_mul_f32_e32 v5, 0x37800000, v4
	s_delay_alu instid0(VALU_DEP_1) | instskip(SKIP_1) | instid1(VALU_DEP_2)
	v_cndmask_b32_e32 v4, v4, v5, vcc_lo
	v_cmp_class_f32_e64 vcc_lo, v3, 0x260
	v_cndmask_b32_e32 v3, v4, v3, vcc_lo
	v_cmp_ne_u32_e32 vcc_lo, 1, v1
	s_delay_alu instid0(VALU_DEP_2)
	v_mov_b32_e32 v39, v3
	s_cbranch_vccnz .LBB27_6
; %bb.5:
	global_load_b32 v4, v183, s[6:7] offset:256
	s_waitcnt vmcnt(0)
	v_add_f32_e32 v39, v3, v4
.LBB27_6:
	global_load_b32 v4, v[12:13], off offset:384
	s_waitcnt vmcnt(0)
	v_mul_f32_e32 v5, 0x3fb8aa3b, v4
	s_delay_alu instid0(VALU_DEP_1) | instskip(SKIP_2) | instid1(VALU_DEP_2)
	v_cmp_gt_f32_e32 vcc_lo, 0xc2fc0000, v5
	v_cndmask_b32_e64 v6, 0, 0x42800000, vcc_lo
	v_cndmask_b32_e64 v5, 1.0, 0x1f800000, vcc_lo
	v_fmac_f32_e32 v6, 0x3fb8aa3b, v4
	s_delay_alu instid0(VALU_DEP_1) | instskip(SKIP_2) | instid1(VALU_DEP_1)
	v_exp_f32_e32 v6, v6
	s_waitcnt_depctr 0xfff
	v_fma_f32 v5, v6, v5, 1.0
	v_cmp_gt_f32_e32 vcc_lo, 0x800000, v5
	v_cndmask_b32_e64 v6, 1.0, 0x4f800000, vcc_lo
	s_delay_alu instid0(VALU_DEP_1) | instskip(SKIP_2) | instid1(VALU_DEP_3)
	v_mul_f32_e32 v5, v5, v6
	v_cndmask_b32_e64 v6, 0, 0x42000000, vcc_lo
	v_cmp_lt_f32_e32 vcc_lo, 0x41a00000, v4
	v_log_f32_e32 v5, v5
	s_waitcnt_depctr 0xfff
	v_sub_f32_e32 v5, v5, v6
	s_delay_alu instid0(VALU_DEP_1) | instskip(NEXT) | instid1(VALU_DEP_1)
	v_mul_f32_e32 v5, 0x3f317218, v5
	v_cndmask_b32_e32 v4, v5, v4, vcc_lo
	s_delay_alu instid0(VALU_DEP_1) | instskip(SKIP_1) | instid1(VALU_DEP_2)
	v_mul_f32_e32 v5, 0x4f800000, v4
	v_cmp_gt_f32_e32 vcc_lo, 0xf800000, v4
	v_cndmask_b32_e32 v4, v4, v5, vcc_lo
	s_delay_alu instid0(VALU_DEP_1) | instskip(SKIP_3) | instid1(VALU_DEP_2)
	v_sqrt_f32_e32 v5, v4
	s_waitcnt_depctr 0xfff
	v_add_nc_u32_e32 v6, -1, v5
	v_add_nc_u32_e32 v7, 1, v5
	v_fma_f32 v8, -v6, v5, v4
	s_delay_alu instid0(VALU_DEP_2) | instskip(NEXT) | instid1(VALU_DEP_2)
	v_fma_f32 v9, -v7, v5, v4
	v_cmp_ge_f32_e64 s2, 0, v8
	s_delay_alu instid0(VALU_DEP_1) | instskip(NEXT) | instid1(VALU_DEP_3)
	v_cndmask_b32_e64 v5, v5, v6, s2
	v_cmp_lt_f32_e64 s2, 0, v9
	s_delay_alu instid0(VALU_DEP_1) | instskip(NEXT) | instid1(VALU_DEP_1)
	v_cndmask_b32_e64 v5, v5, v7, s2
	v_mul_f32_e32 v6, 0x37800000, v5
	s_delay_alu instid0(VALU_DEP_1) | instskip(SKIP_1) | instid1(VALU_DEP_2)
	v_cndmask_b32_e32 v5, v5, v6, vcc_lo
	v_cmp_class_f32_e64 vcc_lo, v4, 0x260
	v_cndmask_b32_e32 v4, v5, v4, vcc_lo
	v_cmp_ne_u32_e32 vcc_lo, 1, v1
	s_delay_alu instid0(VALU_DEP_2)
	;; [unrolled: 56-line block ×9, first 2 shown]
	v_mov_b32_e32 v47, v11
	s_cbranch_vccnz .LBB27_22
; %bb.21:
	global_load_b32 v14, v183, s[6:7] offset:1280
	s_waitcnt vmcnt(0)
	v_add_f32_e32 v47, v11, v14
.LBB27_22:
	global_load_b32 v12, v[12:13], off offset:1408
	s_waitcnt vmcnt(0)
	v_mul_f32_e32 v13, 0x3fb8aa3b, v12
	s_delay_alu instid0(VALU_DEP_1) | instskip(SKIP_2) | instid1(VALU_DEP_2)
	v_cmp_gt_f32_e32 vcc_lo, 0xc2fc0000, v13
	v_cndmask_b32_e64 v14, 0, 0x42800000, vcc_lo
	v_cndmask_b32_e64 v13, 1.0, 0x1f800000, vcc_lo
	v_fmac_f32_e32 v14, 0x3fb8aa3b, v12
	s_delay_alu instid0(VALU_DEP_1) | instskip(SKIP_2) | instid1(VALU_DEP_1)
	v_exp_f32_e32 v14, v14
	s_waitcnt_depctr 0xfff
	v_fma_f32 v13, v14, v13, 1.0
	v_cmp_gt_f32_e32 vcc_lo, 0x800000, v13
	v_cndmask_b32_e64 v14, 1.0, 0x4f800000, vcc_lo
	s_delay_alu instid0(VALU_DEP_1) | instskip(SKIP_2) | instid1(VALU_DEP_3)
	v_mul_f32_e32 v13, v13, v14
	v_cndmask_b32_e64 v14, 0, 0x42000000, vcc_lo
	v_cmp_lt_f32_e32 vcc_lo, 0x41a00000, v12
	v_log_f32_e32 v13, v13
	s_waitcnt_depctr 0xfff
	v_sub_f32_e32 v13, v13, v14
	s_delay_alu instid0(VALU_DEP_1) | instskip(NEXT) | instid1(VALU_DEP_1)
	v_mul_f32_e32 v13, 0x3f317218, v13
	v_cndmask_b32_e32 v12, v13, v12, vcc_lo
	s_delay_alu instid0(VALU_DEP_1) | instskip(SKIP_1) | instid1(VALU_DEP_2)
	v_mul_f32_e32 v13, 0x4f800000, v12
	v_cmp_gt_f32_e32 vcc_lo, 0xf800000, v12
	v_cndmask_b32_e32 v12, v12, v13, vcc_lo
	s_delay_alu instid0(VALU_DEP_1) | instskip(SKIP_3) | instid1(VALU_DEP_2)
	v_sqrt_f32_e32 v13, v12
	s_waitcnt_depctr 0xfff
	v_add_nc_u32_e32 v14, -1, v13
	v_add_nc_u32_e32 v15, 1, v13
	v_fma_f32 v16, -v14, v13, v12
	s_delay_alu instid0(VALU_DEP_2) | instskip(NEXT) | instid1(VALU_DEP_2)
	v_fma_f32 v17, -v15, v13, v12
	v_cmp_ge_f32_e64 s2, 0, v16
	s_delay_alu instid0(VALU_DEP_1) | instskip(NEXT) | instid1(VALU_DEP_3)
	v_cndmask_b32_e64 v13, v13, v14, s2
	v_cmp_lt_f32_e64 s2, 0, v17
	s_delay_alu instid0(VALU_DEP_1) | instskip(NEXT) | instid1(VALU_DEP_1)
	v_cndmask_b32_e64 v13, v13, v15, s2
	v_mul_f32_e32 v14, 0x37800000, v13
	s_delay_alu instid0(VALU_DEP_1) | instskip(SKIP_1) | instid1(VALU_DEP_2)
	v_cndmask_b32_e32 v13, v13, v14, vcc_lo
	v_cmp_class_f32_e64 vcc_lo, v12, 0x260
	v_cndmask_b32_e32 v12, v13, v12, vcc_lo
	v_cmp_ne_u32_e32 vcc_lo, 1, v1
	s_cbranch_vccnz .LBB27_24
; %bb.23:
	global_load_b32 v1, v183, s[6:7] offset:1408
	s_waitcnt vmcnt(0)
	v_add_f32_e32 v48, v12, v1
	s_branch .LBB27_25
.LBB27_24:
	s_delay_alu instid0(VALU_DEP_2)
	v_mov_b32_e32 v48, v12
.LBB27_25:
	v_dual_mov_b32 v13, v37 :: v_dual_add_nc_u32 v26, 32, v0
	v_dual_mov_b32 v14, v38 :: v_dual_add_nc_u32 v27, 64, v0
	;; [unrolled: 1-line block ×11, first 2 shown]
	v_dual_mov_b32 v24, v48 :: v_dual_mov_b32 v1, v49
	v_mov_b32_e32 v25, v0
	s_mov_b32 s2, exec_lo
	v_cmpx_lt_f32_e32 v37, v38
	s_xor_b32 s2, exec_lo, s2
; %bb.26:
	v_dual_mov_b32 v13, v38 :: v_dual_mov_b32 v14, v37
	v_dual_mov_b32 v15, v39 :: v_dual_mov_b32 v16, v40
	;; [unrolled: 1-line block ×8, first 2 shown]
	v_mov_b32_e32 v26, v0
; %bb.27:
	s_or_b32 exec_lo, exec_lo, s2
	v_dual_mov_b32 v37, v15 :: v_dual_mov_b32 v86, v12
	v_dual_mov_b32 v75, v1 :: v_dual_mov_b32 v146, v12
	v_dual_mov_b32 v135, v1 :: v_dual_mov_b32 v122, v12
	v_dual_mov_b32 v111, v1 :: v_dual_mov_b32 v62, v12
	v_dual_mov_b32 v51, v1 :: v_dual_mov_b32 v134, v12
	v_dual_mov_b32 v123, v1 :: v_dual_mov_b32 v74, v36
	v_dual_mov_b32 v63, v25 :: v_dual_mov_b32 v98, v36
	v_dual_mov_b32 v87, v25 :: v_dual_mov_b32 v50, v36
	v_dual_mov_b32 v39, v25 :: v_dual_mov_b32 v110, v36
	v_dual_mov_b32 v99, v25 :: v_dual_mov_b32 v158, v36
	v_dual_mov_b32 v147, v25 :: v_dual_mov_b32 v170, v36
	v_dual_mov_b32 v85, v11 :: v_dual_mov_b32 v84, v10
	v_dual_mov_b32 v83, v9 :: v_dual_mov_b32 v82, v8
	v_dual_mov_b32 v81, v7 :: v_dual_mov_b32 v80, v6
	v_dual_mov_b32 v79, v5 :: v_dual_mov_b32 v78, v4
	v_dual_mov_b32 v77, v3 :: v_dual_mov_b32 v76, v2
	v_dual_mov_b32 v145, v11 :: v_dual_mov_b32 v144, v10
	v_dual_mov_b32 v143, v9 :: v_dual_mov_b32 v142, v8
	v_dual_mov_b32 v141, v7 :: v_dual_mov_b32 v140, v6
	v_dual_mov_b32 v139, v5 :: v_dual_mov_b32 v138, v4
	v_dual_mov_b32 v137, v3 :: v_dual_mov_b32 v136, v2
	v_dual_mov_b32 v121, v11 :: v_dual_mov_b32 v120, v10
	v_dual_mov_b32 v119, v9 :: v_dual_mov_b32 v118, v8
	v_dual_mov_b32 v117, v7 :: v_dual_mov_b32 v116, v6
	v_dual_mov_b32 v115, v5 :: v_dual_mov_b32 v114, v4
	v_dual_mov_b32 v113, v3 :: v_dual_mov_b32 v112, v2
	v_dual_mov_b32 v61, v11 :: v_dual_mov_b32 v60, v10
	v_dual_mov_b32 v59, v9 :: v_dual_mov_b32 v58, v8
	v_dual_mov_b32 v57, v7 :: v_dual_mov_b32 v56, v6
	v_dual_mov_b32 v55, v5 :: v_dual_mov_b32 v54, v4
	v_dual_mov_b32 v53, v3 :: v_dual_mov_b32 v52, v2
	v_dual_mov_b32 v133, v11 :: v_dual_mov_b32 v132, v10
	v_dual_mov_b32 v131, v9 :: v_dual_mov_b32 v130, v8
	v_dual_mov_b32 v129, v7 :: v_dual_mov_b32 v128, v6
	v_dual_mov_b32 v127, v5 :: v_dual_mov_b32 v126, v4
	v_dual_mov_b32 v125, v3 :: v_dual_mov_b32 v124, v2
	s_clause 0x8
	scratch_store_b128 off, v[1:4], off
	scratch_store_b128 off, v[5:8], off offset:16
	scratch_store_b128 off, v[9:12], off offset:32
	;; [unrolled: 1-line block ×8, first 2 shown]
	v_dual_mov_b32 v73, v35 :: v_dual_mov_b32 v72, v34
	v_dual_mov_b32 v71, v33 :: v_dual_mov_b32 v70, v32
	;; [unrolled: 1-line block ×30, first 2 shown]
	v_mov_b32_e32 v159, v25
	s_clause 0x2
	scratch_store_b128 off, v[25:28], off offset:144
	scratch_store_b128 off, v[29:32], off offset:160
	;; [unrolled: 1-line block ×3, first 2 shown]
	s_mov_b32 s2, exec_lo
	v_dual_mov_b32 v182, v36 :: v_dual_mov_b32 v181, v35
	v_dual_mov_b32 v180, v34 :: v_dual_mov_b32 v179, v33
	;; [unrolled: 1-line block ×6, first 2 shown]
	v_cmpx_lt_f32_e32 v38, v15
	s_cbranch_execz .LBB27_29
; %bb.28:
	v_dual_mov_b32 v37, v38 :: v_dual_mov_b32 v182, v36
	v_dual_mov_b32 v173, v27 :: v_dual_mov_b32 v172, v26
	;; [unrolled: 1-line block ×14, first 2 shown]
	v_mov_b32_e32 v125, v2
	v_dual_mov_b32 v159, v171 :: v_dual_mov_b32 v162, v174
	v_dual_mov_b32 v161, v173 :: v_dual_mov_b32 v164, v176
	v_dual_mov_b32 v160, v172 :: v_dual_mov_b32 v163, v175
	v_dual_mov_b32 v166, v178 :: v_dual_mov_b32 v165, v177
	v_dual_mov_b32 v168, v180 :: v_dual_mov_b32 v167, v179
	v_dual_mov_b32 v170, v182 :: v_dual_mov_b32 v169, v181
	v_mov_b32_e32 v162, v28
	s_clause 0x2
	scratch_store_b128 off, v[123:126], off offset:96
	scratch_store_b128 off, v[127:130], off offset:112
	;; [unrolled: 1-line block ×3, first 2 shown]
	v_dual_mov_b32 v14, v15 :: v_dual_mov_b32 v15, v38
	v_dual_mov_b32 v43, v164 :: v_dual_mov_b32 v44, v165
	;; [unrolled: 1-line block ×7, first 2 shown]
	s_clause 0x2
	scratch_store_b128 off, v[38:41], off offset:144
	scratch_store_b128 off, v[42:45], off offset:160
	;; [unrolled: 1-line block ×3, first 2 shown]
	v_mov_b32_e32 v163, v29
	v_mov_b32_e32 v27, v26
	v_dual_mov_b32 v43, v128 :: v_dual_mov_b32 v44, v129
	v_dual_mov_b32 v47, v132 :: v_dual_mov_b32 v38, v123
	;; [unrolled: 1-line block ×5, first 2 shown]
	v_mov_b32_e32 v41, v126
	v_dual_mov_b32 v147, v159 :: v_dual_mov_b32 v154, v166
	v_mov_b32_e32 v148, v160
	v_mov_b32_e32 v150, v162
	s_clause 0x2
	scratch_store_b128 off, v[38:41], off offset:48
	scratch_store_b128 off, v[42:45], off offset:64
	;; [unrolled: 1-line block ×3, first 2 shown]
	v_dual_mov_b32 v127, v5 :: v_dual_mov_b32 v152, v164
	v_dual_mov_b32 v153, v165 :: v_dual_mov_b32 v152, v30
	;; [unrolled: 1-line block ×7, first 2 shown]
	v_mov_b32_e32 v41, v126
	v_dual_mov_b32 v128, v6 :: v_dual_mov_b32 v99, v147
	v_dual_mov_b32 v105, v153 :: v_dual_mov_b32 v106, v154
	;; [unrolled: 1-line block ×3, first 2 shown]
	v_mov_b32_e32 v105, v31
	v_dual_mov_b32 v103, v151 :: v_dual_mov_b32 v104, v152
	v_dual_mov_b32 v107, v155 :: v_dual_mov_b32 v108, v156
	;; [unrolled: 1-line block ×6, first 2 shown]
	v_mov_b32_e32 v60, v132
	v_dual_mov_b32 v52, v124 :: v_dual_mov_b32 v55, v127
	v_dual_mov_b32 v58, v130 :: v_dual_mov_b32 v61, v133
	v_mov_b32_e32 v57, v7
	v_dual_mov_b32 v53, v125 :: v_dual_mov_b32 v56, v128
	s_clause 0x2
	scratch_store_b128 off, v[38:41], off
	scratch_store_b128 off, v[42:45], off offset:16
	scratch_store_b128 off, v[46:49], off offset:32
	v_dual_mov_b32 v39, v99 :: v_dual_mov_b32 v44, v104
	v_dual_mov_b32 v45, v105 :: v_dual_mov_b32 v50, v110
	;; [unrolled: 1-line block ×6, first 2 shown]
	v_mov_b32_e32 v122, v62
	v_dual_mov_b32 v46, v32 :: v_dual_mov_b32 v111, v51
	v_dual_mov_b32 v121, v61 :: v_dual_mov_b32 v120, v60
	;; [unrolled: 1-line block ×6, first 2 shown]
	v_mov_b32_e32 v118, v8
	v_dual_mov_b32 v98, v50 :: v_dual_mov_b32 v97, v49
	v_dual_mov_b32 v96, v48 :: v_dual_mov_b32 v95, v47
	;; [unrolled: 1-line block ×7, first 2 shown]
	v_mov_b32_e32 v135, v111
	v_dual_mov_b32 v3, v2 :: v_dual_mov_b32 v144, v120
	v_dual_mov_b32 v145, v121 :: v_dual_mov_b32 v142, v118
	;; [unrolled: 1-line block ×5, first 2 shown]
	v_mov_b32_e32 v137, v113
	v_mov_b32_e32 v143, v9
	v_dual_mov_b32 v63, v87 :: v_dual_mov_b32 v70, v94
	v_mov_b32_e32 v64, v88
	v_mov_b32_e32 v66, v90
	v_dual_mov_b32 v68, v92 :: v_dual_mov_b32 v75, v135
	v_dual_mov_b32 v80, v140 :: v_dual_mov_b32 v65, v89
	;; [unrolled: 1-line block ×13, first 2 shown]
.LBB27_29:
	s_or_b32 exec_lo, exec_lo, s2
	v_mov_b32_e32 v1, v16
	s_mov_b32 s2, exec_lo
	v_cmpx_lt_f32_e32 v37, v16
	s_cbranch_execz .LBB27_31
; %bb.30:
	s_clause 0x2
	scratch_load_b128 v[38:41], off, off offset:96
	scratch_load_b128 v[42:45], off, off offset:112
	scratch_load_b128 v[46:49], off, off offset:128
	v_mov_b32_e32 v173, v28
	v_dual_mov_b32 v15, v16 :: v_dual_mov_b32 v16, v37
	v_dual_mov_b32 v1, v37 :: v_dual_mov_b32 v28, v27
	s_waitcnt vmcnt(2)
	v_dual_mov_b32 v124, v39 :: v_dual_mov_b32 v123, v38
	s_waitcnt vmcnt(0)
	v_dual_mov_b32 v134, v49 :: v_dual_mov_b32 v125, v4
	v_dual_mov_b32 v159, v171 :: v_dual_mov_b32 v160, v172
	v_mov_b32_e32 v162, v174
	v_dual_mov_b32 v38, v123 :: v_dual_mov_b32 v39, v124
	v_dual_mov_b32 v161, v173 :: v_dual_mov_b32 v164, v176
	;; [unrolled: 1-line block ×10, first 2 shown]
	v_mov_b32_e32 v126, v41
	s_clause 0x2
	scratch_store_b128 off, v[38:41], off offset:96
	scratch_store_b128 off, v[42:45], off offset:112
	;; [unrolled: 1-line block ×3, first 2 shown]
	v_dual_mov_b32 v43, v164 :: v_dual_mov_b32 v38, v159
	v_dual_mov_b32 v41, v162 :: v_dual_mov_b32 v126, v3
	;; [unrolled: 1-line block ×7, first 2 shown]
	s_clause 0x2
	scratch_store_b128 off, v[38:41], off offset:144
	scratch_store_b128 off, v[42:45], off offset:160
	;; [unrolled: 1-line block ×3, first 2 shown]
	v_dual_mov_b32 v43, v128 :: v_dual_mov_b32 v46, v131
	v_dual_mov_b32 v49, v134 :: v_dual_mov_b32 v38, v123
	;; [unrolled: 1-line block ×5, first 2 shown]
	v_mov_b32_e32 v41, v126
	v_dual_mov_b32 v147, v159 :: v_dual_mov_b32 v152, v164
	v_dual_mov_b32 v148, v160 :: v_dual_mov_b32 v127, v5
	;; [unrolled: 1-line block ×7, first 2 shown]
	s_clause 0x2
	scratch_store_b128 off, v[38:41], off offset:48
	scratch_store_b128 off, v[42:45], off offset:64
	;; [unrolled: 1-line block ×3, first 2 shown]
	v_dual_mov_b32 v38, v123 :: v_dual_mov_b32 v39, v124
	v_dual_mov_b32 v40, v125 :: v_dual_mov_b32 v41, v126
	v_mov_b32_e32 v42, v127
	v_dual_mov_b32 v128, v6 :: v_dual_mov_b32 v99, v147
	v_dual_mov_b32 v106, v154 :: v_dual_mov_b32 v107, v155
	;; [unrolled: 1-line block ×3, first 2 shown]
	v_mov_b32_e32 v52, v124
	v_dual_mov_b32 v100, v148 :: v_dual_mov_b32 v101, v149
	v_dual_mov_b32 v102, v150 :: v_dual_mov_b32 v103, v151
	;; [unrolled: 1-line block ×6, first 2 shown]
	v_mov_b32_e32 v105, v31
	v_dual_mov_b32 v57, v129 :: v_dual_mov_b32 v58, v130
	v_dual_mov_b32 v53, v125 :: v_dual_mov_b32 v54, v126
	v_dual_mov_b32 v55, v127 :: v_dual_mov_b32 v56, v128
	v_mov_b32_e32 v57, v7
	s_clause 0x2
	scratch_store_b128 off, v[38:41], off
	scratch_store_b128 off, v[42:45], off offset:16
	scratch_store_b128 off, v[46:49], off offset:32
	v_dual_mov_b32 v39, v99 :: v_dual_mov_b32 v42, v102
	v_dual_mov_b32 v47, v107 :: v_dual_mov_b32 v50, v110
	;; [unrolled: 1-line block ×9, first 2 shown]
	v_mov_b32_e32 v46, v32
	v_dual_mov_b32 v118, v58 :: v_dual_mov_b32 v117, v57
	v_dual_mov_b32 v116, v56 :: v_dual_mov_b32 v115, v55
	;; [unrolled: 1-line block ×3, first 2 shown]
	v_mov_b32_e32 v118, v8
	v_dual_mov_b32 v98, v50 :: v_dual_mov_b32 v95, v47
	v_dual_mov_b32 v97, v49 :: v_dual_mov_b32 v90, v42
	;; [unrolled: 1-line block ×9, first 2 shown]
	v_mov_b32_e32 v89, v41
	v_dual_mov_b32 v143, v9 :: v_dual_mov_b32 v142, v118
	v_dual_mov_b32 v141, v117 :: v_dual_mov_b32 v140, v116
	;; [unrolled: 1-line block ×3, first 2 shown]
	v_mov_b32_e32 v137, v113
	v_dual_mov_b32 v63, v87 :: v_dual_mov_b32 v66, v90
	v_dual_mov_b32 v64, v88 :: v_dual_mov_b32 v75, v135
	;; [unrolled: 1-line block ×13, first 2 shown]
	v_mov_b32_e32 v82, v142
	v_dual_mov_b32 v84, v10 :: v_dual_mov_b32 v85, v11
	v_mov_b32_e32 v86, v12
.LBB27_31:
	s_or_b32 exec_lo, exec_lo, s2
	v_mov_b32_e32 v2, v17
	s_mov_b32 s2, exec_lo
	v_cmpx_lt_f32_e32 v1, v17
	s_cbranch_execz .LBB27_33
; %bb.32:
	s_clause 0x2
	scratch_load_b128 v[37:40], off, off offset:96
	scratch_load_b128 v[41:44], off, off offset:112
	;; [unrolled: 1-line block ×3, first 2 shown]
	v_mov_b32_e32 v174, v29
	v_dual_mov_b32 v2, v1 :: v_dual_mov_b32 v29, v28
	v_mov_b32_e32 v16, v17
	s_waitcnt vmcnt(0)
	v_dual_mov_b32 v74, v48 :: v_dual_mov_b32 v71, v45
	v_dual_mov_b32 v68, v42 :: v_dual_mov_b32 v65, v39
	;; [unrolled: 1-line block ×18, first 2 shown]
	v_mov_b32_e32 v125, v65
	v_mov_b32_e32 v127, v4
	v_dual_mov_b32 v147, v159 :: v_dual_mov_b32 v148, v160
	v_dual_mov_b32 v153, v165 :: v_dual_mov_b32 v156, v168
	;; [unrolled: 1-line block ×3, first 2 shown]
	v_mov_b32_e32 v157, v169
	v_dual_mov_b32 v151, v163 :: v_dual_mov_b32 v154, v166
	v_dual_mov_b32 v149, v161 :: v_dual_mov_b32 v152, v164
	;; [unrolled: 1-line block ×4, first 2 shown]
	v_mov_b32_e32 v38, v124
	v_dual_mov_b32 v152, v30 :: v_dual_mov_b32 v45, v131
	v_dual_mov_b32 v46, v132 :: v_dual_mov_b32 v47, v133
	;; [unrolled: 1-line block ×13, first 2 shown]
	s_clause 0x2
	scratch_store_b128 off, v[37:40], off
	scratch_store_b128 off, v[41:44], off offset:16
	scratch_store_b128 off, v[45:48], off offset:32
	v_dual_mov_b32 v57, v129 :: v_dual_mov_b32 v60, v132
	v_dual_mov_b32 v55, v127 :: v_dual_mov_b32 v58, v130
	v_mov_b32_e32 v61, v133
	v_mov_b32_e32 v57, v7
	v_dual_mov_b32 v39, v99 :: v_dual_mov_b32 v44, v104
	v_dual_mov_b32 v17, v1 :: v_dual_mov_b32 v52, v124
	;; [unrolled: 1-line block ×8, first 2 shown]
	v_mov_b32_e32 v122, v62
	v_dual_mov_b32 v46, v32 :: v_dual_mov_b32 v119, v59
	v_dual_mov_b32 v118, v58 :: v_dual_mov_b32 v111, v51
	;; [unrolled: 1-line block ×6, first 2 shown]
	v_mov_b32_e32 v112, v52
	v_dual_mov_b32 v98, v50 :: v_dual_mov_b32 v97, v49
	v_dual_mov_b32 v96, v48 :: v_dual_mov_b32 v95, v47
	;; [unrolled: 1-line block ×8, first 2 shown]
	v_mov_b32_e32 v135, v111
	v_dual_mov_b32 v145, v121 :: v_dual_mov_b32 v144, v120
	v_dual_mov_b32 v141, v117 :: v_dual_mov_b32 v140, v116
	v_mov_b32_e32 v143, v9
	v_dual_mov_b32 v139, v115 :: v_dual_mov_b32 v138, v114
	v_dual_mov_b32 v137, v113 :: v_dual_mov_b32 v136, v112
	s_clause 0x5
	scratch_store_b128 off, v[63:66], off offset:48
	scratch_store_b128 off, v[67:70], off offset:64
	;; [unrolled: 1-line block ×6, first 2 shown]
	v_dual_mov_b32 v63, v87 :: v_dual_mov_b32 v68, v92
	v_mov_b32_e32 v64, v88
	v_dual_mov_b32 v66, v90 :: v_dual_mov_b32 v75, v135
	v_dual_mov_b32 v78, v138 :: v_dual_mov_b32 v67, v91
	;; [unrolled: 1-line block ×14, first 2 shown]
.LBB27_33:
	s_or_b32 exec_lo, exec_lo, s2
	v_mov_b32_e32 v1, v18
	s_mov_b32 s2, exec_lo
	v_cmpx_lt_f32_e32 v2, v18
	s_cbranch_execz .LBB27_35
; %bb.34:
	s_clause 0x2
	scratch_load_b128 v[37:40], off, off offset:144
	scratch_load_b128 v[41:44], off, off offset:160
	;; [unrolled: 1-line block ×3, first 2 shown]
	s_waitcnt vmcnt(0)
	v_dual_mov_b32 v17, v18 :: v_dual_mov_b32 v170, v48
	v_dual_mov_b32 v169, v47 :: v_dual_mov_b32 v162, v40
	;; [unrolled: 1-line block ×6, first 2 shown]
	s_clause 0x2
	scratch_load_b128 v[37:40], off, off offset:48
	scratch_load_b128 v[41:44], off, off offset:64
	;; [unrolled: 1-line block ×3, first 2 shown]
	v_dual_mov_b32 v163, v30 :: v_dual_mov_b32 v30, v29
	s_waitcnt vmcnt(0)
	v_mov_b32_e32 v74, v48
	v_dual_mov_b32 v66, v40 :: v_dual_mov_b32 v63, v37
	v_dual_mov_b32 v73, v47 :: v_dual_mov_b32 v64, v38
	;; [unrolled: 1-line block ×5, first 2 shown]
	v_mov_b32_e32 v69, v43
	v_dual_mov_b32 v67, v6 :: v_dual_mov_b32 v148, v160
	v_dual_mov_b32 v134, v74 :: v_dual_mov_b32 v133, v73
	;; [unrolled: 1-line block ×12, first 2 shown]
	v_mov_b32_e32 v128, v5
	v_dual_mov_b32 v152, v29 :: v_dual_mov_b32 v51, v123
	v_dual_mov_b32 v99, v147 :: v_dual_mov_b32 v108, v156
	;; [unrolled: 1-line block ×13, first 2 shown]
	v_mov_b32_e32 v57, v7
	v_dual_mov_b32 v39, v99 :: v_dual_mov_b32 v40, v100
	v_dual_mov_b32 v49, v109 :: v_dual_mov_b32 v50, v110
	s_delay_alu instid0(VALU_DEP_4)
	v_dual_mov_b32 v122, v62 :: v_dual_mov_b32 v121, v61
	v_dual_mov_b32 v43, v103 :: v_dual_mov_b32 v44, v104
	;; [unrolled: 1-line block ×10, first 2 shown]
	v_mov_b32_e32 v46, v32
	v_mov_b32_e32 v118, v8
	v_dual_mov_b32 v98, v50 :: v_dual_mov_b32 v93, v45
	v_dual_mov_b32 v97, v49 :: v_dual_mov_b32 v146, v122
	;; [unrolled: 1-line block ×13, first 2 shown]
	v_mov_b32_e32 v137, v113
	s_clause 0x2
	scratch_store_b128 off, v[63:66], off
	scratch_store_b128 off, v[67:70], off offset:16
	scratch_store_b128 off, v[71:74], off offset:32
	v_dual_mov_b32 v63, v87 :: v_dual_mov_b32 v66, v90
	v_dual_mov_b32 v75, v135 :: v_dual_mov_b32 v78, v138
	;; [unrolled: 1-line block ×15, first 2 shown]
	v_mov_b32_e32 v86, v12
	v_mov_b32_e32 v6, v5
.LBB27_35:
	s_or_b32 exec_lo, exec_lo, s2
	v_mov_b32_e32 v2, v19
	s_mov_b32 s2, exec_lo
	v_cmpx_lt_f32_e32 v1, v19
	s_cbranch_execz .LBB27_37
; %bb.36:
	s_clause 0x2
	scratch_load_b128 v[37:40], off, off
	scratch_load_b128 v[41:44], off, off offset:16
	scratch_load_b128 v[45:48], off, off offset:32
	v_mov_b32_e32 v164, v31
	v_dual_mov_b32 v2, v1 :: v_dual_mov_b32 v31, v30
	v_mov_b32_e32 v18, v19
	s_waitcnt vmcnt(0)
	v_dual_mov_b32 v134, v48 :: v_dual_mov_b32 v133, v47
	v_dual_mov_b32 v130, v44 :: v_dual_mov_b32 v127, v41
	;; [unrolled: 1-line block ×17, first 2 shown]
	v_mov_b32_e32 v61, v133
	v_mov_b32_e32 v57, v6
	;; [unrolled: 1-line block ×3, first 2 shown]
	v_dual_mov_b32 v62, v134 :: v_dual_mov_b32 v39, v99
	v_dual_mov_b32 v147, v159 :: v_dual_mov_b32 v148, v160
	s_delay_alu instid0(VALU_DEP_2)
	v_dual_mov_b32 v149, v161 :: v_dual_mov_b32 v122, v62
	v_dual_mov_b32 v120, v60 :: v_dual_mov_b32 v49, v109
	v_mov_b32_e32 v50, v110
	v_dual_mov_b32 v40, v100 :: v_dual_mov_b32 v119, v59
	v_dual_mov_b32 v118, v58 :: v_dual_mov_b32 v115, v55
	;; [unrolled: 1-line block ×6, first 2 shown]
	v_mov_b32_e32 v121, v61
	v_dual_mov_b32 v117, v57 :: v_dual_mov_b32 v116, v56
	v_dual_mov_b32 v113, v53 :: v_dual_mov_b32 v112, v52
	v_dual_mov_b32 v43, v103 :: v_dual_mov_b32 v44, v104
	v_mov_b32_e32 v46, v32
	v_mov_b32_e32 v118, v8
	v_dual_mov_b32 v98, v50 :: v_dual_mov_b32 v95, v47
	v_dual_mov_b32 v97, v49 :: v_dual_mov_b32 v146, v122
	;; [unrolled: 1-line block ×4, first 2 shown]
	v_mov_b32_e32 v87, v39
	v_dual_mov_b32 v143, v9 :: v_dual_mov_b32 v96, v48
	v_dual_mov_b32 v93, v45 :: v_dual_mov_b32 v88, v40
	;; [unrolled: 1-line block ×8, first 2 shown]
	v_mov_b32_e32 v137, v113
	v_dual_mov_b32 v75, v135 :: v_dual_mov_b32 v78, v138
	v_dual_mov_b32 v63, v87 :: v_dual_mov_b32 v66, v90
	;; [unrolled: 1-line block ×14, first 2 shown]
	v_mov_b32_e32 v74, v36
	v_dual_mov_b32 v84, v10 :: v_dual_mov_b32 v85, v11
	v_dual_mov_b32 v150, v162 :: v_dual_mov_b32 v151, v163
	;; [unrolled: 1-line block ×5, first 2 shown]
	v_mov_b32_e32 v158, v170
	v_mov_b32_e32 v7, v6
.LBB27_37:
	s_or_b32 exec_lo, exec_lo, s2
	v_mov_b32_e32 v1, v20
	s_mov_b32 s2, exec_lo
	v_cmpx_lt_f32_e32 v2, v20
	s_cbranch_execz .LBB27_39
; %bb.38:
	v_mov_b32_e32 v129, v8
	v_mov_b32_e32 v153, v32
	v_dual_mov_b32 v111, v123 :: v_dual_mov_b32 v114, v126
	v_dual_mov_b32 v39, v147 :: v_dual_mov_b32 v40, v148
	;; [unrolled: 1-line block ×10, first 2 shown]
	v_mov_b32_e32 v120, v132
	v_dual_mov_b32 v116, v128 :: v_dual_mov_b32 v121, v133
	v_mov_b32_e32 v46, v31
	v_dual_mov_b32 v119, v131 :: v_dual_mov_b32 v98, v50
	v_dual_mov_b32 v118, v7 :: v_dual_mov_b32 v97, v49
	;; [unrolled: 1-line block ×13, first 2 shown]
	v_mov_b32_e32 v95, v33
	v_dual_mov_b32 v19, v20 :: v_dual_mov_b32 v20, v2
	v_mov_b32_e32 v143, v9
	v_dual_mov_b32 v63, v87 :: v_dual_mov_b32 v68, v92
	v_dual_mov_b32 v64, v88 :: v_dual_mov_b32 v75, v135
	;; [unrolled: 1-line block ×11, first 2 shown]
	v_mov_b32_e32 v70, v94
	v_dual_mov_b32 v66, v90 :: v_dual_mov_b32 v71, v95
	v_dual_mov_b32 v76, v136 :: v_dual_mov_b32 v77, v137
	;; [unrolled: 1-line block ×15, first 2 shown]
	v_mov_b32_e32 v110, v158
	v_dual_mov_b32 v1, v2 :: v_dual_mov_b32 v8, v7
	v_mov_b32_e32 v32, v31
.LBB27_39:
	s_or_b32 exec_lo, exec_lo, s2
	v_mov_b32_e32 v2, v21
	s_mov_b32 s2, exec_lo
	v_cmpx_lt_f32_e32 v1, v21
	s_cbranch_execz .LBB27_41
; %bb.40:
	v_mov_b32_e32 v58, v9
	v_mov_b32_e32 v106, v33
	v_dual_mov_b32 v146, v62 :: v_dual_mov_b32 v143, v59
	v_mov_b32_e32 v87, v99
	s_delay_alu instid0(VALU_DEP_3)
	v_dual_mov_b32 v141, v57 :: v_dual_mov_b32 v94, v106
	v_dual_mov_b32 v95, v107 :: v_dual_mov_b32 v140, v56
	v_dual_mov_b32 v135, v51 :: v_dual_mov_b32 v96, v108
	v_dual_mov_b32 v97, v109 :: v_dual_mov_b32 v98, v110
	v_dual_mov_b32 v145, v61 :: v_dual_mov_b32 v144, v60
	v_dual_mov_b32 v139, v55 :: v_dual_mov_b32 v138, v54
	v_mov_b32_e32 v95, v32
	v_dual_mov_b32 v143, v8 :: v_dual_mov_b32 v20, v21
	v_dual_mov_b32 v88, v100 :: v_dual_mov_b32 v89, v101
	;; [unrolled: 1-line block ×7, first 2 shown]
	s_delay_alu instid0(VALU_DEP_2)
	v_dual_mov_b32 v75, v135 :: v_dual_mov_b32 v76, v136
	v_dual_mov_b32 v122, v62 :: v_dual_mov_b32 v117, v57
	;; [unrolled: 1-line block ×25, first 2 shown]
	v_mov_b32_e32 v48, v108
	v_dual_mov_b32 v50, v110 :: v_dual_mov_b32 v9, v8
	v_dual_mov_b32 v2, v1 :: v_dual_mov_b32 v33, v32
.LBB27_41:
	s_or_b32 exec_lo, exec_lo, s2
	v_mov_b32_e32 v3, v22
	s_mov_b32 s2, exec_lo
	s_delay_alu instid0(VALU_DEP_2)
	v_cmpx_lt_f32_e32 v2, v22
	s_cbranch_execz .LBB27_43
; %bb.42:
	v_mov_b32_e32 v47, v34
	v_mov_b32_e32 v74, v50
	v_dual_mov_b32 v21, v22 :: v_dual_mov_b32 v72, v48
	v_dual_mov_b32 v72, v33 :: v_dual_mov_b32 v119, v10
	;; [unrolled: 1-line block ×3, first 2 shown]
	v_mov_b32_e32 v78, v114
	v_dual_mov_b32 v22, v2 :: v_dual_mov_b32 v73, v49
	v_dual_mov_b32 v81, v117 :: v_dual_mov_b32 v84, v120
	;; [unrolled: 1-line block ×7, first 2 shown]
	v_mov_b32_e32 v69, v45
	v_dual_mov_b32 v67, v43 :: v_dual_mov_b32 v66, v42
	v_dual_mov_b32 v65, v41 :: v_dual_mov_b32 v64, v40
	;; [unrolled: 1-line block ×18, first 2 shown]
	v_mov_b32_e32 v34, v33
.LBB27_43:
	s_or_b32 exec_lo, exec_lo, s2
	v_mov_b32_e32 v1, v23
	s_mov_b32 s2, exec_lo
	v_cmpx_lt_f32_e32 v3, v23
	s_cbranch_execz .LBB27_45
; %bb.44:
	v_dual_mov_b32 v144, v11 :: v_dual_mov_b32 v145, v10
	v_dual_mov_b32 v96, v35 :: v_dual_mov_b32 v97, v34
	v_mov_b32_e32 v146, v12
	v_mov_b32_e32 v22, v23
	v_dual_mov_b32 v23, v3 :: v_dual_mov_b32 v98, v36
	v_dual_mov_b32 v75, v135 :: v_dual_mov_b32 v84, v144
	v_dual_mov_b32 v63, v87 :: v_dual_mov_b32 v76, v136
	v_mov_b32_e32 v79, v139
	v_dual_mov_b32 v77, v137 :: v_dual_mov_b32 v78, v138
	v_dual_mov_b32 v81, v141 :: v_dual_mov_b32 v80, v140
	;; [unrolled: 1-line block ×10, first 2 shown]
.LBB27_45:
	s_or_b32 exec_lo, exec_lo, s2
	s_delay_alu instid0(VALU_DEP_1)
	v_cmp_lt_f32_e32 vcc_lo, v1, v24
	v_mov_b32_e32 v42, v78
	v_cmp_lt_f32_e64 s2, v13, v14
	v_dual_mov_b32 v40, v76 :: v_dual_mov_b32 v41, v77
	v_dual_cndmask_b32 v12, v24, v1 :: v_dual_mov_b32 v43, v79
	v_dual_cndmask_b32 v23, v23, v24 :: v_dual_cndmask_b32 v50, v86, v85
	s_delay_alu instid0(VALU_DEP_2) | instskip(SKIP_2) | instid1(VALU_DEP_3)
	v_dual_mov_b32 v39, v75 :: v_dual_mov_b32 v24, v12
	v_dual_cndmask_b32 v49, v85, v86 :: v_dual_mov_b32 v44, v80
	v_dual_cndmask_b32 v61, v73, v74 :: v_dual_cndmask_b32 v62, v74, v73
	v_dual_mov_b32 v38, v24 :: v_dual_mov_b32 v35, v21
	v_dual_mov_b32 v37, v23 :: v_dual_mov_b32 v36, v22
	;; [unrolled: 1-line block ×13, first 2 shown]
	s_and_saveexec_b32 s3, s2
	s_delay_alu instid0(SALU_CYCLE_1)
	s_xor_b32 s2, exec_lo, s3
	s_cbranch_execz .LBB27_47
; %bb.46:
	v_dual_mov_b32 v1, v14 :: v_dual_mov_b32 v2, v13
	v_dual_mov_b32 v3, v15 :: v_dual_mov_b32 v4, v16
	;; [unrolled: 1-line block ×6, first 2 shown]
	s_delay_alu instid0(VALU_DEP_2) | instskip(NEXT) | instid1(VALU_DEP_2)
	v_dual_mov_b32 v38, v12 :: v_dual_mov_b32 v35, v9
	v_dual_mov_b32 v36, v10 :: v_dual_mov_b32 v37, v11
	;; [unrolled: 1-line block ×16, first 2 shown]
.LBB27_47:
	s_or_b32 exec_lo, exec_lo, s2
	v_dual_mov_b32 v13, v29 :: v_dual_mov_b32 v122, v50
	v_dual_mov_b32 v15, v39 :: v_dual_mov_b32 v16, v40
	;; [unrolled: 1-line block ×30, first 2 shown]
	v_mov_b32_e32 v135, v39
	s_clause 0x2
	scratch_store_b128 off, v[39:42], off offset:48
	scratch_store_b128 off, v[43:46], off offset:64
	;; [unrolled: 1-line block ×3, first 2 shown]
	v_dual_mov_b32 v1, v51 :: v_dual_mov_b32 v4, v54
	v_dual_mov_b32 v11, v61 :: v_dual_mov_b32 v74, v62
	;; [unrolled: 1-line block ×34, first 2 shown]
	v_mov_b32_e32 v159, v51
	s_mov_b32 s2, exec_lo
	v_dual_mov_b32 v73, v61 :: v_dual_mov_b32 v72, v60
	v_mov_b32_e32 v2, v52
	s_clause 0x2
	scratch_store_b128 off, v[51:54], off
	scratch_store_b128 off, v[55:58], off offset:16
	scratch_store_b128 off, v[59:62], off offset:32
	v_dual_mov_b32 v182, v50 :: v_dual_mov_b32 v181, v49
	v_dual_mov_b32 v180, v48 :: v_dual_mov_b32 v179, v47
	;; [unrolled: 1-line block ×6, first 2 shown]
	v_cmpx_lt_f32_e32 v14, v29
	s_cbranch_execz .LBB27_49
; %bb.48:
	v_dual_mov_b32 v170, v62 :: v_dual_mov_b32 v169, v61
	v_dual_mov_b32 v162, v54 :: v_dual_mov_b32 v161, v53
	;; [unrolled: 1-line block ×7, first 2 shown]
	s_clause 0x2
	scratch_store_b128 off, v[159:162], off
	scratch_store_b128 off, v[163:166], off offset:16
	scratch_store_b128 off, v[167:170], off offset:32
	v_dual_mov_b32 v182, v50 :: v_dual_mov_b32 v181, v49
	v_dual_mov_b32 v172, v40 :: v_dual_mov_b32 v171, v39
	;; [unrolled: 1-line block ×8, first 2 shown]
	s_delay_alu instid0(VALU_DEP_3)
	v_dual_mov_b32 v140, v176 :: v_dual_mov_b32 v141, v177
	v_dual_mov_b32 v138, v174 :: v_dual_mov_b32 v139, v175
	;; [unrolled: 1-line block ×3, first 2 shown]
	v_mov_b32_e32 v146, v182
	v_dual_mov_b32 v136, v172 :: v_dual_mov_b32 v137, v173
	v_mov_b32_e32 v138, v42
	v_dual_mov_b32 v142, v178 :: v_dual_mov_b32 v143, v179
	v_mov_b32_e32 v53, v52
	v_mov_b32_e32 v139, v43
	;; [unrolled: 1-line block ×3, first 2 shown]
	v_dual_mov_b32 v147, v159 :: v_dual_mov_b32 v148, v160
	v_mov_b32_e32 v151, v163
	v_dual_mov_b32 v149, v161 :: v_dual_mov_b32 v150, v162
	v_dual_mov_b32 v153, v165 :: v_dual_mov_b32 v152, v164
	v_dual_mov_b32 v155, v167 :: v_dual_mov_b32 v156, v168
	v_dual_mov_b32 v151, v55 :: v_dual_mov_b32 v158, v170
	v_dual_mov_b32 v154, v166 :: v_dual_mov_b32 v157, v169
	v_dual_mov_b32 v6, v140 :: v_dual_mov_b32 v9, v143
	v_dual_mov_b32 v10, v144 :: v_dual_mov_b32 v1, v135
	v_dual_mov_b32 v7, v141 :: v_dual_mov_b32 v2, v136
	v_dual_mov_b32 v4, v138 :: v_dual_mov_b32 v123, v147
	v_dual_mov_b32 v124, v148 :: v_dual_mov_b32 v125, v149
	v_dual_mov_b32 v126, v150 :: v_dual_mov_b32 v127, v151
	v_dual_mov_b32 v128, v152 :: v_dual_mov_b32 v129, v153
	v_dual_mov_b32 v132, v156 :: v_dual_mov_b32 v133, v157
	v_dual_mov_b32 v134, v158 :: v_dual_mov_b32 v111, v135
	v_dual_mov_b32 v130, v154 :: v_dual_mov_b32 v131, v155
	v_dual_mov_b32 v128, v56 :: v_dual_mov_b32 v113, v137
	v_mov_b32_e32 v122, v146
	v_dual_mov_b32 v114, v138 :: v_dual_mov_b32 v117, v141
	v_dual_mov_b32 v116, v140 :: v_dual_mov_b32 v119, v143
	;; [unrolled: 1-line block ×14, first 2 shown]
	v_mov_b32_e32 v82, v118
	v_dual_mov_b32 v76, v112 :: v_dual_mov_b32 v81, v117
	v_dual_mov_b32 v80, v116 :: v_dual_mov_b32 v85, v121
	;; [unrolled: 1-line block ×6, first 2 shown]
	v_mov_b32_e32 v81, v45
	v_dual_mov_b32 v65, v89 :: v_dual_mov_b32 v72, v96
	v_mov_b32_e32 v29, v14
	s_delay_alu instid0(VALU_DEP_3)
	v_dual_mov_b32 v110, v86 :: v_dual_mov_b32 v105, v81
	v_dual_mov_b32 v70, v94 :: v_dual_mov_b32 v73, v97
	;; [unrolled: 1-line block ×11, first 2 shown]
	v_mov_b32_e32 v106, v46
	s_clause 0x2
	scratch_store_b128 off, v[1:4], off offset:48
	scratch_store_b128 off, v[5:8], off offset:64
	;; [unrolled: 1-line block ×3, first 2 shown]
	v_dual_mov_b32 v100, v76 :: v_dual_mov_b32 v1, v63
	v_dual_mov_b32 v10, v72 :: v_dual_mov_b32 v3, v65
	;; [unrolled: 1-line block ×16, first 2 shown]
	v_mov_b32_e32 v26, v50
.LBB27_49:
	s_or_b32 exec_lo, exec_lo, s2
	v_mov_b32_e32 v14, v30
	s_mov_b32 s2, exec_lo
	v_cmpx_lt_f32_e32 v13, v30
	s_cbranch_execz .LBB27_51
; %bb.50:
	s_clause 0x2
	scratch_load_b128 v[1:4], off, off
	scratch_load_b128 v[5:8], off, off offset:16
	scratch_load_b128 v[9:12], off, off offset:32
	v_mov_b32_e32 v161, v54
	v_dual_mov_b32 v29, v30 :: v_dual_mov_b32 v30, v13
	v_mov_b32_e32 v54, v53
	s_waitcnt vmcnt(0)
	v_dual_mov_b32 v170, v12 :: v_dual_mov_b32 v169, v11
	v_mov_b32_e32 v162, v4
	v_dual_mov_b32 v162, v53 :: v_dual_mov_b32 v173, v42
	v_dual_mov_b32 v160, v2 :: v_dual_mov_b32 v135, v171
	;; [unrolled: 1-line block ×4, first 2 shown]
	v_mov_b32_e32 v165, v7
	s_delay_alu instid0(VALU_DEP_3)
	v_dual_mov_b32 v1, v159 :: v_dual_mov_b32 v2, v160
	v_dual_mov_b32 v136, v172 :: v_dual_mov_b32 v3, v161
	v_mov_b32_e32 v138, v174
	v_dual_mov_b32 v164, v6 :: v_dual_mov_b32 v163, v5
	s_clause 0x2
	scratch_store_b128 off, v[1:4], off
	scratch_store_b128 off, v[5:8], off offset:16
	scratch_store_b128 off, v[9:12], off offset:32
	v_dual_mov_b32 v137, v173 :: v_dual_mov_b32 v140, v176
	v_dual_mov_b32 v138, v41 :: v_dual_mov_b32 v147, v159
	;; [unrolled: 1-line block ×12, first 2 shown]
	v_mov_b32_e32 v139, v43
	v_dual_mov_b32 v123, v147 :: v_dual_mov_b32 v126, v150
	v_dual_mov_b32 v124, v148 :: v_dual_mov_b32 v111, v135
	v_dual_mov_b32 v112, v136 :: v_dual_mov_b32 v125, v149
	s_delay_alu instid0(VALU_DEP_4)
	v_dual_mov_b32 v128, v152 :: v_dual_mov_b32 v115, v139
	v_dual_mov_b32 v116, v140 :: v_dual_mov_b32 v121, v145
	;; [unrolled: 1-line block ×6, first 2 shown]
	v_mov_b32_e32 v128, v56
	v_dual_mov_b32 v116, v44 :: v_dual_mov_b32 v87, v123
	v_dual_mov_b32 v113, v137 :: v_dual_mov_b32 v114, v138
	;; [unrolled: 1-line block ×17, first 2 shown]
	v_mov_b32_e32 v81, v45
	v_dual_mov_b32 v7, v141 :: v_dual_mov_b32 v8, v142
	v_dual_mov_b32 v9, v143 :: v_dual_mov_b32 v10, v144
	;; [unrolled: 1-line block ×5, first 2 shown]
	v_mov_b32_e32 v64, v88
	v_dual_mov_b32 v110, v86 :: v_dual_mov_b32 v109, v85
	v_dual_mov_b32 v65, v89 :: v_dual_mov_b32 v68, v92
	;; [unrolled: 1-line block ×10, first 2 shown]
	v_mov_b32_e32 v102, v78
	v_dual_mov_b32 v42, v41 :: v_dual_mov_b32 v103, v79
	v_mov_b32_e32 v100, v76
	v_mov_b32_e32 v106, v46
	s_clause 0x2
	scratch_store_b128 off, v[1:4], off offset:48
	scratch_store_b128 off, v[5:8], off offset:64
	;; [unrolled: 1-line block ×3, first 2 shown]
	v_mov_b32_e32 v1, v63
	v_mov_b32_e32 v5, v67
	v_dual_mov_b32 v3, v65 :: v_dual_mov_b32 v12, v74
	v_dual_mov_b32 v15, v99 :: v_dual_mov_b32 v4, v66
	v_dual_mov_b32 v9, v71 :: v_dual_mov_b32 v6, v68
	v_dual_mov_b32 v11, v73 :: v_dual_mov_b32 v10, v72
	v_dual_mov_b32 v11, v61 :: v_dual_mov_b32 v18, v102
	v_dual_mov_b32 v23, v107 :: v_dual_mov_b32 v20, v104
	v_dual_mov_b32 v25, v109 :: v_dual_mov_b32 v24, v108
	v_dual_mov_b32 v25, v49 :: v_dual_mov_b32 v26, v110
	v_dual_mov_b32 v2, v64 :: v_dual_mov_b32 v7, v69
	v_dual_mov_b32 v8, v70 :: v_dual_mov_b32 v9, v59
	v_dual_mov_b32 v10, v60 :: v_dual_mov_b32 v17, v101
	v_dual_mov_b32 v12, v62 :: v_dual_mov_b32 v19, v103
	v_dual_mov_b32 v16, v100 :: v_dual_mov_b32 v21, v105
	v_dual_mov_b32 v22, v106 :: v_dual_mov_b32 v23, v47
	v_mov_b32_e32 v24, v48
	v_mov_b32_e32 v26, v50
.LBB27_51:
	s_or_b32 exec_lo, exec_lo, s2
	v_mov_b32_e32 v13, v31
	s_mov_b32 s2, exec_lo
	v_cmpx_lt_f32_e32 v14, v31
	s_cbranch_execz .LBB27_53
; %bb.52:
	s_clause 0x2
	scratch_load_b128 v[1:4], off, off
	scratch_load_b128 v[5:8], off, off offset:16
	scratch_load_b128 v[9:12], off, off offset:32
	v_dual_mov_b32 v30, v31 :: v_dual_mov_b32 v31, v14
	v_dual_mov_b32 v13, v14 :: v_dual_mov_b32 v162, v55
	v_mov_b32_e32 v55, v54
	s_waitcnt vmcnt(2)
	v_dual_mov_b32 v161, v3 :: v_dual_mov_b32 v160, v2
	s_waitcnt vmcnt(0)
	v_dual_mov_b32 v159, v1 :: v_dual_mov_b32 v170, v12
	v_dual_mov_b32 v169, v11 :: v_dual_mov_b32 v168, v10
	;; [unrolled: 1-line block ×8, first 2 shown]
	s_delay_alu instid0(VALU_DEP_4)
	v_dual_mov_b32 v151, v163 :: v_dual_mov_b32 v156, v168
	v_dual_mov_b32 v157, v169 :: v_dual_mov_b32 v136, v172
	;; [unrolled: 1-line block ×8, first 2 shown]
	v_mov_b32_e32 v145, v181
	v_mov_b32_e32 v139, v42
	v_mov_b32_e32 v151, v54
	v_dual_mov_b32 v146, v182 :: v_dual_mov_b32 v123, v147
	v_dual_mov_b32 v111, v135 :: v_dual_mov_b32 v112, v136
	;; [unrolled: 1-line block ×3, first 2 shown]
	s_delay_alu instid0(VALU_DEP_4)
	v_dual_mov_b32 v124, v148 :: v_dual_mov_b32 v127, v151
	v_dual_mov_b32 v128, v152 :: v_dual_mov_b32 v131, v155
	;; [unrolled: 1-line block ×9, first 2 shown]
	v_mov_b32_e32 v120, v144
	v_dual_mov_b32 v116, v44 :: v_dual_mov_b32 v87, v123
	v_mov_b32_e32 v114, v138
	v_dual_mov_b32 v98, v134 :: v_dual_mov_b32 v75, v111
	v_dual_mov_b32 v88, v124 :: v_dual_mov_b32 v89, v125
	v_dual_mov_b32 v96, v132 :: v_dual_mov_b32 v97, v133
	v_mov_b32_e32 v86, v122
	v_dual_mov_b32 v90, v126 :: v_dual_mov_b32 v91, v127
	v_dual_mov_b32 v92, v128 :: v_dual_mov_b32 v93, v129
	;; [unrolled: 1-line block ×8, first 2 shown]
	v_mov_b32_e32 v79, v115
	v_mov_b32_e32 v81, v45
	v_dual_mov_b32 v63, v87 :: v_dual_mov_b32 v66, v90
	v_dual_mov_b32 v64, v88 :: v_dual_mov_b32 v73, v97
	;; [unrolled: 1-line block ×9, first 2 shown]
	v_mov_b32_e32 v108, v84
	v_dual_mov_b32 v106, v46 :: v_dual_mov_b32 v1, v63
	v_dual_mov_b32 v105, v81 :: v_dual_mov_b32 v104, v80
	;; [unrolled: 1-line block ×19, first 2 shown]
	v_mov_b32_e32 v26, v50
	v_mov_b32_e32 v43, v42
	s_clause 0x2
	scratch_store_b128 off, v[171:174], off offset:48
	scratch_store_b128 off, v[175:178], off offset:64
	;; [unrolled: 1-line block ×3, first 2 shown]
.LBB27_53:
	s_or_b32 exec_lo, exec_lo, s2
	v_mov_b32_e32 v14, v32
	s_mov_b32 s2, exec_lo
	v_cmpx_lt_f32_e32 v13, v32
	s_cbranch_execz .LBB27_55
; %bb.54:
	s_clause 0x2
	scratch_load_b128 v[1:4], off, off offset:48
	scratch_load_b128 v[5:8], off, off offset:64
	;; [unrolled: 1-line block ×3, first 2 shown]
	v_dual_mov_b32 v163, v56 :: v_dual_mov_b32 v14, v13
	v_dual_mov_b32 v56, v55 :: v_dual_mov_b32 v31, v32
	s_waitcnt vmcnt(2)
	v_dual_mov_b32 v138, v4 :: v_dual_mov_b32 v137, v3
	s_waitcnt vmcnt(0)
	v_dual_mov_b32 v146, v12 :: v_dual_mov_b32 v145, v11
	v_dual_mov_b32 v136, v2 :: v_dual_mov_b32 v135, v1
	;; [unrolled: 1-line block ×17, first 2 shown]
	v_mov_b32_e32 v120, v144
	v_mov_b32_e32 v116, v43
	v_dual_mov_b32 v87, v123 :: v_dual_mov_b32 v88, v124
	v_dual_mov_b32 v89, v125 :: v_dual_mov_b32 v98, v134
	;; [unrolled: 1-line block ×12, first 2 shown]
	v_mov_b32_e32 v79, v115
	v_mov_b32_e32 v81, v45
	v_dual_mov_b32 v63, v87 :: v_dual_mov_b32 v66, v90
	v_dual_mov_b32 v64, v88 :: v_dual_mov_b32 v73, v97
	;; [unrolled: 1-line block ×8, first 2 shown]
	v_mov_b32_e32 v70, v58
	v_dual_mov_b32 v106, v46 :: v_dual_mov_b32 v65, v89
	v_dual_mov_b32 v68, v92 :: v_dual_mov_b32 v105, v81
	;; [unrolled: 1-line block ×4, first 2 shown]
	v_mov_b32_e32 v100, v76
	v_dual_mov_b32 v32, v13 :: v_dual_mov_b32 v1, v63
	v_dual_mov_b32 v12, v74 :: v_dual_mov_b32 v15, v99
	v_mov_b32_e32 v26, v110
	v_dual_mov_b32 v8, v70 :: v_dual_mov_b32 v9, v71
	v_dual_mov_b32 v10, v72 :: v_dual_mov_b32 v11, v73
	;; [unrolled: 1-line block ×20, first 2 shown]
	v_mov_b32_e32 v44, v43
.LBB27_55:
	s_or_b32 exec_lo, exec_lo, s2
	v_mov_b32_e32 v13, v33
	s_mov_b32 s2, exec_lo
	v_cmpx_lt_f32_e32 v14, v33
	s_cbranch_execz .LBB27_57
; %bb.56:
	v_mov_b32_e32 v140, v45
	v_dual_mov_b32 v152, v57 :: v_dual_mov_b32 v75, v135
	v_dual_mov_b32 v87, v147 :: v_dual_mov_b32 v90, v150
	;; [unrolled: 1-line block ×3, first 2 shown]
	s_delay_alu instid0(VALU_DEP_3)
	v_dual_mov_b32 v92, v152 :: v_dual_mov_b32 v93, v153
	v_dual_mov_b32 v76, v136 :: v_dual_mov_b32 v79, v139
	v_dual_mov_b32 v88, v148 :: v_dual_mov_b32 v89, v149
	v_dual_mov_b32 v94, v154 :: v_dual_mov_b32 v95, v155
	v_dual_mov_b32 v96, v156 :: v_dual_mov_b32 v97, v157
	v_dual_mov_b32 v98, v158 :: v_dual_mov_b32 v77, v137
	v_mov_b32_e32 v93, v56
	v_dual_mov_b32 v84, v144 :: v_dual_mov_b32 v63, v87
	v_dual_mov_b32 v78, v138 :: v_dual_mov_b32 v81, v141
	;; [unrolled: 1-line block ×5, first 2 shown]
	s_delay_alu instid0(VALU_DEP_3) | instskip(SKIP_1) | instid1(VALU_DEP_4)
	v_dual_mov_b32 v110, v86 :: v_dual_mov_b32 v109, v85
	v_dual_mov_b32 v100, v76 :: v_dual_mov_b32 v99, v75
	;; [unrolled: 1-line block ×11, first 2 shown]
	v_mov_b32_e32 v106, v46
	v_dual_mov_b32 v70, v58 :: v_dual_mov_b32 v15, v99
	v_dual_mov_b32 v1, v63 :: v_dual_mov_b32 v24, v108
	;; [unrolled: 1-line block ×3, first 2 shown]
	s_delay_alu instid0(VALU_DEP_3)
	v_dual_mov_b32 v8, v70 :: v_dual_mov_b32 v9, v71
	v_dual_mov_b32 v10, v72 :: v_dual_mov_b32 v11, v73
	;; [unrolled: 1-line block ×26, first 2 shown]
	v_mov_b32_e32 v13, v14
	v_dual_mov_b32 v134, v158 :: v_dual_mov_b32 v45, v44
	v_mov_b32_e32 v57, v56
.LBB27_57:
	s_or_b32 exec_lo, exec_lo, s2
	v_mov_b32_e32 v14, v34
	s_mov_b32 s2, exec_lo
	v_cmpx_lt_f32_e32 v13, v34
	s_cbranch_execz .LBB27_59
; %bb.58:
	v_mov_b32_e32 v129, v58
	v_dual_mov_b32 v63, v123 :: v_dual_mov_b32 v70, v130
	v_dual_mov_b32 v70, v57 :: v_dual_mov_b32 v71, v131
	;; [unrolled: 1-line block ×22, first 2 shown]
	v_mov_b32_e32 v34, v13
	v_dual_mov_b32 v3, v65 :: v_dual_mov_b32 v4, v66
	v_dual_mov_b32 v5, v67 :: v_dual_mov_b32 v6, v68
	;; [unrolled: 1-line block ×20, first 2 shown]
	v_mov_b32_e32 v14, v13
	v_mov_b32_e32 v46, v45
	v_mov_b32_e32 v58, v57
.LBB27_59:
	s_or_b32 exec_lo, exec_lo, s2
	v_mov_b32_e32 v13, v35
	s_mov_b32 s2, exec_lo
	v_cmpx_lt_f32_e32 v14, v35
	s_cbranch_execz .LBB27_61
; %bb.60:
	v_mov_b32_e32 v94, v59
	v_dual_mov_b32 v34, v35 :: v_dual_mov_b32 v35, v14
	v_mov_b32_e32 v82, v47
	v_dual_mov_b32 v1, v87 :: v_dual_mov_b32 v2, v88
	v_dual_mov_b32 v10, v96 :: v_dual_mov_b32 v7, v93
	;; [unrolled: 1-line block ×13, first 2 shown]
	v_mov_b32_e32 v5, v91
	v_mov_b32_e32 v9, v58
	v_dual_mov_b32 v12, v62 :: v_dual_mov_b32 v17, v77
	v_dual_mov_b32 v16, v76 :: v_dual_mov_b32 v19, v79
	;; [unrolled: 1-line block ×14, first 2 shown]
	v_mov_b32_e32 v47, v46
	v_mov_b32_e32 v59, v58
	v_mov_b32_e32 v74, v98
.LBB27_61:
	s_or_b32 exec_lo, exec_lo, s2
	v_mov_b32_e32 v39, v36
	s_mov_b32 s2, exec_lo
	v_cmpx_lt_f32_e32 v13, v36
	s_cbranch_execz .LBB27_63
; %bb.62:
	v_dual_mov_b32 v71, v60 :: v_dual_mov_b32 v72, v59
	v_dual_mov_b32 v73, v61 :: v_dual_mov_b32 v108, v47
	;; [unrolled: 1-line block ×17, first 2 shown]
	v_mov_b32_e32 v39, v13
.LBB27_63:
	s_or_b32 exec_lo, exec_lo, s2
	s_delay_alu instid0(VALU_DEP_1)
	v_cmp_lt_f32_e32 vcc_lo, v39, v37
	v_dual_mov_b32 v40, v28 :: v_dual_mov_b32 v43, v31
	v_dual_mov_b32 v42, v30 :: v_dual_mov_b32 v45, v33
	v_dual_cndmask_b32 v13, v25, v24 :: v_dual_cndmask_b32 v24, v24, v25
	v_dual_cndmask_b32 v14, v11, v10 :: v_dual_cndmask_b32 v49, v37, v39
	v_dual_cndmask_b32 v10, v10, v11 :: v_dual_mov_b32 v39, v27
	v_dual_cndmask_b32 v48, v36, v37 :: v_dual_mov_b32 v41, v29
	v_dual_mov_b32 v44, v32 :: v_dual_mov_b32 v47, v35
	v_mov_b32_e32 v46, v34
	v_mov_b32_e32 v50, v38
	s_mov_b32 s2, exec_lo
	v_cmpx_lt_f32_e32 v27, v28
	s_cbranch_execz .LBB27_65
; %bb.64:
	v_dual_mov_b32 v28, v40 :: v_dual_mov_b32 v29, v39
	v_dual_mov_b32 v38, v49 :: v_dual_mov_b32 v39, v50
	;; [unrolled: 1-line block ×7, first 2 shown]
	v_mov_b32_e32 v11, v15
	v_swap_b32 v15, v16
	s_delay_alu instid0(VALU_DEP_4)
	v_mov_b32_e32 v48, v37
	v_swap_b32 v1, v2
	v_dual_mov_b32 v49, v38 :: v_dual_mov_b32 v46, v35
	v_dual_mov_b32 v47, v36 :: v_dual_mov_b32 v44, v33
	;; [unrolled: 1-line block ×4, first 2 shown]
	v_mov_b32_e32 v41, v30
	v_dual_mov_b32 v39, v28 :: v_dual_mov_b32 v28, v27
.LBB27_65:
	s_or_b32 exec_lo, exec_lo, s2
	v_mov_b32_e32 v11, v14
	v_dual_mov_b32 v25, v13 :: v_dual_mov_b32 v62, v12
	v_dual_mov_b32 v74, v26 :: v_dual_mov_b32 v63, v15
	v_mov_b32_e32 v86, v26
	v_dual_mov_b32 v72, v24 :: v_dual_mov_b32 v75, v15
	v_dual_mov_b32 v110, v26 :: v_dual_mov_b32 v53, v3
	v_dual_mov_b32 v98, v12 :: v_dual_mov_b32 v99, v15
	v_dual_mov_b32 v134, v26 :: v_dual_mov_b32 v89, v3
	v_dual_mov_b32 v122, v12 :: v_dual_mov_b32 v123, v15
	v_dual_mov_b32 v170, v26 :: v_dual_mov_b32 v113, v3
	v_dual_mov_b32 v146, v12 :: v_dual_mov_b32 v159, v15
	v_dual_mov_b32 v182, v26 :: v_dual_mov_b32 v137, v3
	v_dual_mov_b32 v158, v12 :: v_dual_mov_b32 v73, v25
	v_dual_mov_b32 v71, v23 :: v_dual_mov_b32 v70, v22
	v_dual_mov_b32 v69, v21 :: v_dual_mov_b32 v68, v20
	v_dual_mov_b32 v67, v19 :: v_dual_mov_b32 v66, v18
	v_dual_mov_b32 v65, v17 :: v_dual_mov_b32 v64, v16
	v_dual_mov_b32 v81, v21 :: v_dual_mov_b32 v80, v20
	v_dual_mov_b32 v79, v19 :: v_dual_mov_b32 v78, v18
	v_dual_mov_b32 v77, v17 :: v_dual_mov_b32 v76, v16
	v_dual_mov_b32 v109, v25 :: v_dual_mov_b32 v108, v24
	v_dual_mov_b32 v107, v23 :: v_dual_mov_b32 v106, v22
	v_dual_mov_b32 v105, v21 :: v_dual_mov_b32 v104, v20
	v_dual_mov_b32 v103, v19 :: v_dual_mov_b32 v102, v18
	v_dual_mov_b32 v101, v17 :: v_dual_mov_b32 v100, v16
	v_dual_mov_b32 v133, v25 :: v_dual_mov_b32 v132, v24
	v_dual_mov_b32 v131, v23 :: v_dual_mov_b32 v130, v22
	v_dual_mov_b32 v129, v21 :: v_dual_mov_b32 v128, v20
	v_dual_mov_b32 v127, v19 :: v_dual_mov_b32 v126, v18
	v_dual_mov_b32 v125, v17 :: v_dual_mov_b32 v124, v16
	v_dual_mov_b32 v169, v25 :: v_dual_mov_b32 v168, v24
	v_dual_mov_b32 v167, v23 :: v_dual_mov_b32 v166, v22
	v_dual_mov_b32 v165, v21 :: v_dual_mov_b32 v164, v20
	v_dual_mov_b32 v163, v19 :: v_dual_mov_b32 v162, v18
	v_dual_mov_b32 v161, v17 :: v_dual_mov_b32 v160, v16
	v_dual_mov_b32 v181, v25 :: v_dual_mov_b32 v180, v24
	v_dual_mov_b32 v179, v23 :: v_dual_mov_b32 v178, v22
	v_dual_mov_b32 v177, v21 :: v_dual_mov_b32 v176, v20
	v_dual_mov_b32 v175, v19 :: v_dual_mov_b32 v174, v18
	v_dual_mov_b32 v173, v17 :: v_dual_mov_b32 v172, v16
	v_dual_mov_b32 v171, v15 :: v_dual_mov_b32 v60, v10
	v_dual_mov_b32 v61, v11 :: v_dual_mov_b32 v58, v8
	v_dual_mov_b32 v59, v9 :: v_dual_mov_b32 v56, v6
	v_dual_mov_b32 v57, v7 :: v_dual_mov_b32 v54, v4
	v_dual_mov_b32 v55, v5 :: v_dual_mov_b32 v52, v2
	v_dual_mov_b32 v51, v1 :: v_dual_mov_b32 v96, v10
	v_dual_mov_b32 v97, v11 :: v_dual_mov_b32 v94, v8
	v_dual_mov_b32 v95, v9 :: v_dual_mov_b32 v92, v6
	v_dual_mov_b32 v93, v7 :: v_dual_mov_b32 v90, v4
	v_dual_mov_b32 v91, v5 :: v_dual_mov_b32 v88, v2
	v_dual_mov_b32 v87, v1 :: v_dual_mov_b32 v120, v10
	v_dual_mov_b32 v121, v11 :: v_dual_mov_b32 v118, v8
	v_dual_mov_b32 v119, v9 :: v_dual_mov_b32 v116, v6
	v_dual_mov_b32 v117, v7 :: v_dual_mov_b32 v114, v4
	v_dual_mov_b32 v115, v5 :: v_dual_mov_b32 v112, v2
	v_dual_mov_b32 v111, v1 :: v_dual_mov_b32 v144, v10
	v_dual_mov_b32 v145, v11 :: v_dual_mov_b32 v142, v8
	v_dual_mov_b32 v143, v9 :: v_dual_mov_b32 v140, v6
	v_dual_mov_b32 v141, v7 :: v_dual_mov_b32 v138, v4
	v_dual_mov_b32 v139, v5 :: v_dual_mov_b32 v136, v2
	v_dual_mov_b32 v135, v1 :: v_dual_mov_b32 v156, v10
	v_dual_mov_b32 v157, v11 :: v_dual_mov_b32 v154, v8
	v_dual_mov_b32 v155, v9 :: v_dual_mov_b32 v152, v6
	v_dual_mov_b32 v153, v7 :: v_dual_mov_b32 v150, v4
	v_dual_mov_b32 v151, v5 :: v_dual_mov_b32 v148, v2
	v_mov_b32_e32 v149, v3
	v_mov_b32_e32 v147, v1
	;; [unrolled: 1-line block ×3, first 2 shown]
	s_mov_b32 s2, exec_lo
	v_dual_mov_b32 v85, v25 :: v_dual_mov_b32 v84, v24
	v_dual_mov_b32 v83, v23 :: v_dual_mov_b32 v82, v22
	s_clause 0x2
	scratch_store_b128 off, v[1:4], off
	scratch_store_b128 off, v[5:8], off offset:16
	scratch_store_b128 off, v[9:12], off offset:32
	v_cmpx_lt_f32_e32 v28, v41
	s_cbranch_execz .LBB27_67
; %bb.66:
	v_dual_mov_b32 v158, v12 :: v_dual_mov_b32 v157, v11
	v_dual_mov_b32 v150, v4 :: v_dual_mov_b32 v149, v3
	;; [unrolled: 1-line block ×7, first 2 shown]
	s_clause 0x2
	scratch_store_b128 off, v[147:150], off
	scratch_store_b128 off, v[151:154], off offset:16
	scratch_store_b128 off, v[155:158], off offset:32
	v_dual_mov_b32 v182, v26 :: v_dual_mov_b32 v181, v25
	v_dual_mov_b32 v172, v16 :: v_dual_mov_b32 v171, v15
	;; [unrolled: 1-line block ×8, first 2 shown]
	s_delay_alu instid0(VALU_DEP_4) | instskip(SKIP_1) | instid1(VALU_DEP_4)
	v_dual_mov_b32 v160, v172 :: v_dual_mov_b32 v161, v173
	v_dual_mov_b32 v162, v174 :: v_dual_mov_b32 v163, v175
	;; [unrolled: 1-line block ×4, first 2 shown]
	v_mov_b32_e32 v170, v182
	v_dual_mov_b32 v166, v178 :: v_dual_mov_b32 v167, v179
	v_mov_b32_e32 v162, v18
	v_dual_mov_b32 v40, v41 :: v_dual_mov_b32 v41, v28
	v_mov_b32_e32 v3, v2
	v_mov_b32_e32 v17, v16
	;; [unrolled: 1-line block ×3, first 2 shown]
	v_dual_mov_b32 v137, v149 :: v_dual_mov_b32 v144, v156
	v_dual_mov_b32 v123, v159 :: v_dual_mov_b32 v136, v148
	;; [unrolled: 1-line block ×12, first 2 shown]
	v_mov_b32_e32 v133, v169
	v_dual_mov_b32 v111, v135 :: v_dual_mov_b32 v112, v136
	v_dual_mov_b32 v99, v123 :: v_dual_mov_b32 v100, v124
	;; [unrolled: 1-line block ×12, first 2 shown]
	v_mov_b32_e32 v104, v20
	v_dual_mov_b32 v116, v6 :: v_dual_mov_b32 v75, v99
	v_mov_b32_e32 v87, v111
	v_dual_mov_b32 v93, v117 :: v_dual_mov_b32 v78, v102
	s_delay_alu instid0(VALU_DEP_3)
	v_dual_mov_b32 v81, v105 :: v_dual_mov_b32 v92, v116
	v_dual_mov_b32 v90, v114 :: v_dual_mov_b32 v91, v115
	;; [unrolled: 1-line block ×11, first 2 shown]
	v_mov_b32_e32 v51, v87
	v_dual_mov_b32 v63, v75 :: v_dual_mov_b32 v66, v78
	v_dual_mov_b32 v55, v91 :: v_dual_mov_b32 v58, v94
	;; [unrolled: 1-line block ×13, first 2 shown]
	v_mov_b32_e32 v60, v10
	v_dual_mov_b32 v61, v14 :: v_dual_mov_b32 v62, v12
	v_dual_mov_b32 v70, v22 :: v_dual_mov_b32 v71, v23
	;; [unrolled: 1-line block ×3, first 2 shown]
	v_mov_b32_e32 v74, v26
.LBB27_67:
	s_or_b32 exec_lo, exec_lo, s2
	v_mov_b32_e32 v1, v42
	v_cmp_lt_f32_e32 vcc_lo, v11, v42
	s_mov_b32 s2, exec_lo
	s_clause 0x2
	scratch_load_b128 v[27:30], off, off
	scratch_load_b128 v[31:34], off, off offset:16
	scratch_load_b128 v[35:38], off, off offset:32
	s_and_b32 s3, s2, vcc_lo
	s_delay_alu instid0(SALU_CYCLE_1)
	s_mov_b32 exec_lo, s3
	s_cbranch_execz .LBB27_69
; %bb.68:
	v_mov_b32_e32 v173, v18
	s_waitcnt vmcnt(2)
	v_mov_b32_e32 v29, v4
	v_dual_mov_b32 v159, v171 :: v_dual_mov_b32 v162, v174
	s_waitcnt vmcnt(0)
	v_dual_mov_b32 v158, v38 :: v_dual_mov_b32 v157, v37
	v_dual_mov_b32 v156, v36 :: v_dual_mov_b32 v147, v27
	;; [unrolled: 1-line block ×6, first 2 shown]
	v_mov_b32_e32 v168, v180
	v_dual_mov_b32 v164, v176 :: v_dual_mov_b32 v165, v177
	v_dual_mov_b32 v170, v182 :: v_dual_mov_b32 v155, v35
	;; [unrolled: 1-line block ×4, first 2 shown]
	v_mov_b32_e32 v162, v17
	v_dual_mov_b32 v169, v181 :: v_dual_mov_b32 v150, v3
	v_dual_mov_b32 v123, v159 :: v_dual_mov_b32 v124, v160
	;; [unrolled: 1-line block ×3, first 2 shown]
	s_delay_alu instid0(VALU_DEP_3)
	v_dual_mov_b32 v137, v149 :: v_dual_mov_b32 v138, v150
	v_dual_mov_b32 v139, v151 :: v_dual_mov_b32 v140, v152
	;; [unrolled: 1-line block ×10, first 2 shown]
	v_mov_b32_e32 v127, v19
	v_mov_b32_e32 v139, v5
	v_dual_mov_b32 v99, v123 :: v_dual_mov_b32 v100, v124
	v_dual_mov_b32 v111, v135 :: v_dual_mov_b32 v114, v138
	;; [unrolled: 1-line block ×4, first 2 shown]
	v_mov_b32_e32 v120, v144
	v_dual_mov_b32 v104, v128 :: v_dual_mov_b32 v105, v129
	v_dual_mov_b32 v110, v134 :: v_dual_mov_b32 v115, v139
	;; [unrolled: 1-line block ×22, first 2 shown]
	v_mov_b32_e32 v93, v7
	v_dual_mov_b32 v63, v75 :: v_dual_mov_b32 v68, v80
	v_dual_mov_b32 v64, v76 :: v_dual_mov_b32 v51, v87
	;; [unrolled: 1-line block ×3, first 2 shown]
	s_delay_alu instid0(VALU_DEP_4)
	v_dual_mov_b32 v58, v94 :: v_dual_mov_b32 v57, v93
	v_dual_mov_b32 v60, v96 :: v_dual_mov_b32 v59, v95
	;; [unrolled: 1-line block ×8, first 2 shown]
	v_mov_b32_e32 v60, v10
	v_dual_mov_b32 v52, v88 :: v_dual_mov_b32 v53, v89
	v_dual_mov_b32 v56, v92 :: v_dual_mov_b32 v59, v9
	;; [unrolled: 1-line block ×3, first 2 shown]
	v_mov_b32_e32 v72, v24
	v_dual_mov_b32 v70, v22 :: v_dual_mov_b32 v71, v23
	v_dual_mov_b32 v73, v13 :: v_dual_mov_b32 v74, v26
	;; [unrolled: 1-line block ×3, first 2 shown]
	v_mov_b32_e32 v4, v3
.LBB27_69:
	s_or_b32 exec_lo, exec_lo, s2
	v_mov_b32_e32 v2, v43
	s_mov_b32 s2, exec_lo
	v_cmpx_lt_f32_e32 v1, v43
	s_cbranch_execz .LBB27_71
; %bb.70:
	v_mov_b32_e32 v174, v19
	s_waitcnt vmcnt(2)
	v_dual_mov_b32 v30, v5 :: v_dual_mov_b32 v123, v171
	s_waitcnt vmcnt(0)
	v_dual_mov_b32 v146, v38 :: v_dual_mov_b32 v143, v35
	v_dual_mov_b32 v145, v37 :: v_dual_mov_b32 v142, v34
	s_delay_alu instid0(VALU_DEP_3)
	v_dual_mov_b32 v139, v31 :: v_dual_mov_b32 v138, v30
	v_dual_mov_b32 v135, v27 :: v_dual_mov_b32 v124, v172
	;; [unrolled: 1-line block ×5, first 2 shown]
	v_mov_b32_e32 v127, v18
	v_dual_mov_b32 v134, v182 :: v_dual_mov_b32 v139, v4
	v_dual_mov_b32 v144, v36 :: v_dual_mov_b32 v141, v33
	;; [unrolled: 1-line block ×5, first 2 shown]
	s_delay_alu instid0(VALU_DEP_3)
	v_dual_mov_b32 v111, v135 :: v_dual_mov_b32 v112, v136
	v_dual_mov_b32 v99, v123 :: v_dual_mov_b32 v100, v124
	;; [unrolled: 1-line block ×12, first 2 shown]
	v_mov_b32_e32 v104, v20
	v_dual_mov_b32 v116, v6 :: v_dual_mov_b32 v75, v99
	v_mov_b32_e32 v87, v111
	v_dual_mov_b32 v93, v117 :: v_dual_mov_b32 v78, v102
	s_delay_alu instid0(VALU_DEP_3)
	v_dual_mov_b32 v81, v105 :: v_dual_mov_b32 v92, v116
	v_dual_mov_b32 v80, v104 :: v_dual_mov_b32 v83, v107
	;; [unrolled: 1-line block ×11, first 2 shown]
	v_mov_b32_e32 v63, v75
	s_delay_alu instid0(VALU_DEP_4)
	v_dual_mov_b32 v51, v87 :: v_dual_mov_b32 v52, v88
	v_dual_mov_b32 v71, v83 :: v_dual_mov_b32 v72, v84
	;; [unrolled: 1-line block ×14, first 2 shown]
	v_mov_b32_e32 v68, v80
	v_dual_mov_b32 v58, v8 :: v_dual_mov_b32 v59, v9
	v_dual_mov_b32 v60, v10 :: v_dual_mov_b32 v71, v23
	;; [unrolled: 1-line block ×16, first 2 shown]
	v_mov_b32_e32 v2, v1
.LBB27_71:
	s_or_b32 exec_lo, exec_lo, s2
	v_mov_b32_e32 v1, v44
	s_mov_b32 s2, exec_lo
	s_delay_alu instid0(VALU_DEP_2)
	v_cmpx_lt_f32_e32 v2, v44
	s_cbranch_execz .LBB27_73
; %bb.72:
	v_mov_b32_e32 v163, v20
	v_mov_b32_e32 v151, v6
	v_dual_mov_b32 v99, v159 :: v_dual_mov_b32 v100, v160
	v_dual_mov_b32 v111, v147 :: v_dual_mov_b32 v112, v148
	;; [unrolled: 1-line block ×10, first 2 shown]
	v_mov_b32_e32 v108, v168
	v_dual_mov_b32 v104, v164 :: v_dual_mov_b32 v107, v167
	v_mov_b32_e32 v116, v5
	v_dual_mov_b32 v109, v169 :: v_dual_mov_b32 v104, v19
	v_dual_mov_b32 v87, v111 :: v_dual_mov_b32 v88, v112
	;; [unrolled: 1-line block ×13, first 2 shown]
	v_mov_b32_e32 v93, v7
	v_dual_mov_b32 v43, v44 :: v_dual_mov_b32 v44, v2
	v_mov_b32_e32 v81, v21
	v_dual_mov_b32 v51, v87 :: v_dual_mov_b32 v56, v92
	v_dual_mov_b32 v52, v88 :: v_dual_mov_b32 v63, v75
	;; [unrolled: 1-line block ×14, first 2 shown]
	v_mov_b32_e32 v136, v148
	v_dual_mov_b32 v54, v90 :: v_dual_mov_b32 v59, v9
	v_dual_mov_b32 v62, v12 :: v_dual_mov_b32 v61, v14
	v_mov_b32_e32 v72, v24
	v_dual_mov_b32 v70, v22 :: v_dual_mov_b32 v71, v23
	v_dual_mov_b32 v73, v13 :: v_dual_mov_b32 v74, v26
	;; [unrolled: 1-line block ×13, first 2 shown]
	v_mov_b32_e32 v6, v5
.LBB27_73:
	s_or_b32 exec_lo, exec_lo, s2
	v_mov_b32_e32 v2, v45
	s_mov_b32 s2, exec_lo
	v_cmpx_lt_f32_e32 v1, v45
	s_cbranch_execz .LBB27_75
; %bb.74:
	v_mov_b32_e32 v140, v7
	v_dual_mov_b32 v128, v21 :: v_dual_mov_b32 v87, v135
	v_mov_b32_e32 v93, v141
	v_mov_b32_e32 v93, v6
	;; [unrolled: 1-line block ×3, first 2 shown]
	v_dual_mov_b32 v92, v140 :: v_dual_mov_b32 v95, v143
	v_dual_mov_b32 v96, v144 :: v_dual_mov_b32 v97, v145
	;; [unrolled: 1-line block ×42, first 2 shown]
	v_mov_b32_e32 v2, v1
.LBB27_75:
	s_or_b32 exec_lo, exec_lo, s2
	v_mov_b32_e32 v1, v46
	s_mov_b32 s2, exec_lo
	s_delay_alu instid0(VALU_DEP_2)
	v_cmpx_lt_f32_e32 v2, v46
	s_cbranch_execz .LBB27_77
; %bb.76:
	v_mov_b32_e32 v117, v8
	v_mov_b32_e32 v45, v46
	;; [unrolled: 1-line block ×4, first 2 shown]
	v_dual_mov_b32 v51, v111 :: v_dual_mov_b32 v54, v114
	v_dual_mov_b32 v56, v116 :: v_dual_mov_b32 v63, v99
	v_dual_mov_b32 v66, v102 :: v_dual_mov_b32 v53, v113
	v_dual_mov_b32 v58, v118 :: v_dual_mov_b32 v55, v115
	v_dual_mov_b32 v60, v120 :: v_dual_mov_b32 v57, v117
	v_dual_mov_b32 v62, v122 :: v_dual_mov_b32 v59, v119
	v_dual_mov_b32 v60, v10 :: v_dual_mov_b32 v61, v121
	v_mov_b32_e32 v58, v7
	v_dual_mov_b32 v67, v103 :: v_dual_mov_b32 v70, v106
	v_dual_mov_b32 v69, v105 :: v_dual_mov_b32 v72, v108
	v_dual_mov_b32 v71, v107 :: v_dual_mov_b32 v74, v110
	v_dual_mov_b32 v73, v109 :: v_dual_mov_b32 v72, v24
	v_dual_mov_b32 v75, v99 :: v_dual_mov_b32 v76, v100
	v_dual_mov_b32 v87, v111 :: v_dual_mov_b32 v88, v112
	v_dual_mov_b32 v52, v112 :: v_dual_mov_b32 v59, v9
	v_dual_mov_b32 v62, v12 :: v_dual_mov_b32 v61, v14
	v_dual_mov_b32 v64, v100 :: v_dual_mov_b32 v65, v101
	v_mov_b32_e32 v68, v104
	v_dual_mov_b32 v70, v21 :: v_dual_mov_b32 v71, v23
	v_dual_mov_b32 v73, v13 :: v_dual_mov_b32 v74, v26
	;; [unrolled: 10-line block ×3, first 2 shown]
	v_dual_mov_b32 v95, v119 :: v_dual_mov_b32 v96, v120
	v_dual_mov_b32 v97, v121 :: v_dual_mov_b32 v98, v122
.LBB27_77:
	s_or_b32 exec_lo, exec_lo, s2
	v_mov_b32_e32 v2, v47
	s_mov_b32 s2, exec_lo
	v_cmpx_lt_f32_e32 v1, v47
	s_cbranch_execz .LBB27_79
; %bb.78:
	v_dual_mov_b32 v83, v22 :: v_dual_mov_b32 v84, v24
	v_dual_mov_b32 v94, v9 :: v_dual_mov_b32 v95, v8
	;; [unrolled: 1-line block ×4, first 2 shown]
	v_mov_b32_e32 v86, v26
	v_dual_mov_b32 v46, v47 :: v_dual_mov_b32 v47, v1
	v_dual_mov_b32 v98, v12 :: v_dual_mov_b32 v63, v75
	;; [unrolled: 1-line block ×13, first 2 shown]
	v_mov_b32_e32 v62, v98
	v_mov_b32_e32 v2, v1
.LBB27_79:
	s_or_b32 exec_lo, exec_lo, s2
	s_delay_alu instid0(VALU_DEP_1)
	v_cmp_lt_f32_e32 vcc_lo, v2, v48
	v_dual_mov_b32 v1, v39 :: v_dual_mov_b32 v6, v44
	v_dual_mov_b32 v3, v41 :: v_dual_mov_b32 v8, v46
	s_waitcnt vmcnt(0)
	v_dual_cndmask_b32 v37, v72, v71 :: v_dual_mov_b32 v4, v42
	v_dual_cndmask_b32 v71, v71, v72 :: v_dual_cndmask_b32 v38, v60, v59
	v_dual_cndmask_b32 v59, v59, v60 :: v_dual_cndmask_b32 v10, v48, v2
	v_dual_cndmask_b32 v9, v47, v48 :: v_dual_mov_b32 v2, v40
	v_dual_mov_b32 v5, v43 :: v_dual_mov_b32 v12, v50
	v_mov_b32_e32 v7, v45
	v_mov_b32_e32 v11, v49
	s_mov_b32 s2, exec_lo
	v_cmpx_lt_f32_e32 v39, v40
	s_cbranch_execz .LBB27_81
; %bb.80:
	v_dual_mov_b32 v13, v2 :: v_dual_mov_b32 v14, v1
	v_dual_mov_b32 v15, v3 :: v_dual_mov_b32 v16, v4
	;; [unrolled: 1-line block ×6, first 2 shown]
	v_mov_b32_e32 v25, v63
	v_dual_mov_b32 v26, v51 :: v_dual_mov_b32 v1, v13
	v_swap_b32 v63, v64
	v_swap_b32 v51, v52
	v_dual_mov_b32 v2, v14 :: v_dual_mov_b32 v3, v15
	v_dual_mov_b32 v4, v16 :: v_dual_mov_b32 v5, v17
	;; [unrolled: 1-line block ×5, first 2 shown]
	v_mov_b32_e32 v12, v24
	v_mov_b32_e32 v40, v39
.LBB27_81:
	s_or_b32 exec_lo, exec_lo, s2
	v_mov_b32_e32 v60, v38
	v_dual_mov_b32 v72, v37 :: v_dual_mov_b32 v13, v51
	v_dual_mov_b32 v25, v63 :: v_dual_mov_b32 v98, v74
	;; [unrolled: 1-line block ×60, first 2 shown]
	s_mov_b32 s2, exec_lo
	v_dual_mov_b32 v96, v72 :: v_dual_mov_b32 v93, v69
	v_cmpx_lt_f32_e32 v40, v3
	s_cbranch_execz .LBB27_83
; %bb.82:
	v_dual_mov_b32 v134, v62 :: v_dual_mov_b32 v133, v61
	v_dual_mov_b32 v124, v52 :: v_dual_mov_b32 v123, v51
	v_mov_b32_e32 v124, v53
	v_dual_mov_b32 v128, v56 :: v_dual_mov_b32 v127, v55
	v_dual_mov_b32 v132, v60 :: v_dual_mov_b32 v131, v59
	;; [unrolled: 1-line block ×11, first 2 shown]
	v_mov_b32_e32 v141, v69
	v_dual_mov_b32 v136, v65 :: v_dual_mov_b32 v137, v64
	v_dual_mov_b32 v160, v124 :: v_dual_mov_b32 v159, v123
	;; [unrolled: 1-line block ×40, first 2 shown]
	v_mov_b32_e32 v22, v84
	v_dual_mov_b32 v22, v38 :: v_dual_mov_b32 v25, v87
	v_dual_mov_b32 v16, v78 :: v_dual_mov_b32 v19, v81
	;; [unrolled: 1-line block ×16, first 2 shown]
	v_mov_b32_e32 v35, v73
	v_dual_mov_b32 v34, v37 :: v_dual_mov_b32 v39, v40
	v_dual_mov_b32 v36, v74 :: v_dual_mov_b32 v65, v64
	v_mov_b32_e32 v53, v52
.LBB27_83:
	s_or_b32 exec_lo, exec_lo, s2
	v_mov_b32_e32 v40, v4
	s_mov_b32 s2, exec_lo
	v_cmpx_lt_f32_e32 v39, v4
	s_cbranch_execz .LBB27_85
; %bb.84:
	v_mov_b32_e32 v137, v66
	v_mov_b32_e32 v125, v54
	;; [unrolled: 1-line block ×4, first 2 shown]
	v_dual_mov_b32 v170, v134 :: v_dual_mov_b32 v169, v133
	v_dual_mov_b32 v168, v132 :: v_dual_mov_b32 v159, v123
	;; [unrolled: 1-line block ×9, first 2 shown]
	v_mov_b32_e32 v157, v145
	v_dual_mov_b32 v155, v143 :: v_dual_mov_b32 v152, v140
	v_mov_b32_e32 v162, v53
	v_mov_b32_e32 v149, v137
	v_dual_mov_b32 v150, v65 :: v_dual_mov_b32 v111, v159
	v_dual_mov_b32 v112, v160 :: v_dual_mov_b32 v99, v147
	;; [unrolled: 1-line block ×13, first 2 shown]
	v_mov_b32_e32 v115, v55
	v_dual_mov_b32 v87, v99 :: v_dual_mov_b32 v88, v100
	v_dual_mov_b32 v75, v111 :: v_dual_mov_b32 v78, v114
	;; [unrolled: 1-line block ×3, first 2 shown]
	s_delay_alu instid0(VALU_DEP_4)
	v_dual_mov_b32 v80, v116 :: v_dual_mov_b32 v79, v115
	v_dual_mov_b32 v82, v118 :: v_dual_mov_b32 v81, v117
	;; [unrolled: 1-line block ×6, first 2 shown]
	v_mov_b32_e32 v96, v108
	v_dual_mov_b32 v92, v104 :: v_dual_mov_b32 v93, v105
	v_dual_mov_b32 v98, v110 :: v_dual_mov_b32 v95, v107
	;; [unrolled: 1-line block ×21, first 2 shown]
	v_mov_b32_e32 v34, v37
	v_dual_mov_b32 v35, v73 :: v_dual_mov_b32 v36, v74
	v_mov_b32_e32 v40, v39
	v_mov_b32_e32 v66, v65
	;; [unrolled: 1-line block ×3, first 2 shown]
.LBB27_85:
	s_or_b32 exec_lo, exec_lo, s2
	v_mov_b32_e32 v39, v5
	s_mov_b32 s2, exec_lo
	v_cmpx_lt_f32_e32 v40, v5
	s_cbranch_execz .LBB27_87
; %bb.86:
	v_mov_b32_e32 v126, v55
	v_mov_b32_e32 v111, v123
	;; [unrolled: 1-line block ×3, first 2 shown]
	v_dual_mov_b32 v115, v54 :: v_dual_mov_b32 v116, v128
	v_dual_mov_b32 v138, v67 :: v_dual_mov_b32 v113, v125
	v_mov_b32_e32 v112, v124
	v_dual_mov_b32 v118, v130 :: v_dual_mov_b32 v119, v131
	v_dual_mov_b32 v120, v132 :: v_dual_mov_b32 v121, v133
	;; [unrolled: 1-line block ×24, first 2 shown]
	v_mov_b32_e32 v22, v84
	v_dual_mov_b32 v22, v38 :: v_dual_mov_b32 v25, v87
	v_dual_mov_b32 v16, v78 :: v_dual_mov_b32 v19, v81
	;; [unrolled: 1-line block ×18, first 2 shown]
	v_mov_b32_e32 v35, v73
	v_dual_mov_b32 v34, v37 :: v_dual_mov_b32 v155, v143
	v_dual_mov_b32 v36, v74 :: v_dual_mov_b32 v157, v145
	;; [unrolled: 1-line block ×12, first 2 shown]
	v_mov_b32_e32 v55, v54
.LBB27_87:
	s_or_b32 exec_lo, exec_lo, s2
	v_mov_b32_e32 v40, v6
	s_mov_b32 s2, exec_lo
	v_cmpx_lt_f32_e32 v39, v6
	s_cbranch_execz .LBB27_89
; %bb.88:
	v_mov_b32_e32 v163, v56
	v_dual_mov_b32 v75, v159 :: v_dual_mov_b32 v80, v164
	v_dual_mov_b32 v80, v55 :: v_dual_mov_b32 v81, v165
	;; [unrolled: 1-line block ×7, first 2 shown]
	v_mov_b32_e32 v85, v169
	v_dual_mov_b32 v89, v149 :: v_dual_mov_b32 v92, v152
	v_dual_mov_b32 v91, v151 :: v_dual_mov_b32 v94, v154
	v_dual_mov_b32 v93, v153 :: v_dual_mov_b32 v96, v156
	v_dual_mov_b32 v95, v155 :: v_dual_mov_b32 v98, v158
	v_dual_mov_b32 v97, v157 :: v_dual_mov_b32 v92, v67
	v_dual_mov_b32 v76, v160 :: v_dual_mov_b32 v5, v6
	v_mov_b32_e32 v88, v148
	v_mov_b32_e32 v6, v39
	s_delay_alu instid0(VALU_DEP_3) | instskip(NEXT) | instid1(VALU_DEP_3)
	v_dual_mov_b32 v13, v75 :: v_dual_mov_b32 v14, v76
	v_dual_mov_b32 v25, v87 :: v_dual_mov_b32 v26, v88
	;; [unrolled: 1-line block ×30, first 2 shown]
	v_mov_b32_e32 v40, v39
	v_mov_b32_e32 v68, v67
	;; [unrolled: 1-line block ×3, first 2 shown]
.LBB27_89:
	s_or_b32 exec_lo, exec_lo, s2
	v_mov_b32_e32 v39, v7
	s_mov_b32 s2, exec_lo
	v_cmpx_lt_f32_e32 v40, v7
	s_cbranch_execz .LBB27_91
; %bb.90:
	v_mov_b32_e32 v116, v57
	v_dual_mov_b32 v6, v7 :: v_dual_mov_b32 v7, v40
	v_dual_mov_b32 v104, v69 :: v_dual_mov_b32 v13, v111
	v_mov_b32_e32 v22, v120
	v_dual_mov_b32 v22, v38 :: v_dual_mov_b32 v25, v99
	v_mov_b32_e32 v34, v108
	v_dual_mov_b32 v34, v37 :: v_dual_mov_b32 v87, v99
	v_dual_mov_b32 v16, v114 :: v_dual_mov_b32 v19, v117
	;; [unrolled: 1-line block ×12, first 2 shown]
	v_mov_b32_e32 v23, v61
	v_dual_mov_b32 v21, v59 :: v_dual_mov_b32 v24, v62
	v_dual_mov_b32 v27, v101 :: v_dual_mov_b32 v26, v100
	;; [unrolled: 1-line block ×3, first 2 shown]
	v_mov_b32_e32 v35, v73
	v_dual_mov_b32 v33, v71 :: v_dual_mov_b32 v36, v74
	v_dual_mov_b32 v89, v101 :: v_dual_mov_b32 v88, v100
	v_dual_mov_b32 v91, v103 :: v_dual_mov_b32 v90, v102
	v_dual_mov_b32 v93, v105 :: v_dual_mov_b32 v92, v104
	v_dual_mov_b32 v95, v107 :: v_dual_mov_b32 v98, v110
	v_dual_mov_b32 v77, v113 :: v_dual_mov_b32 v76, v112
	v_dual_mov_b32 v79, v115 :: v_dual_mov_b32 v78, v114
	v_dual_mov_b32 v81, v117 :: v_dual_mov_b32 v80, v116
	v_dual_mov_b32 v83, v119 :: v_dual_mov_b32 v86, v122
	v_mov_b32_e32 v39, v40
	v_mov_b32_e32 v69, v68
	v_dual_mov_b32 v57, v56 :: v_dual_mov_b32 v94, v106
	v_dual_mov_b32 v97, v109 :: v_dual_mov_b32 v82, v118
	v_dual_mov_b32 v85, v121 :: v_dual_mov_b32 v84, v120
.LBB27_91:
	s_or_b32 exec_lo, exec_lo, s2
	v_mov_b32_e32 v40, v8
	s_mov_b32 s2, exec_lo
	v_cmpx_lt_f32_e32 v39, v8
	s_cbranch_execz .LBB27_93
; %bb.92:
	v_dual_mov_b32 v81, v58 :: v_dual_mov_b32 v82, v57
	v_dual_mov_b32 v83, v59 :: v_dual_mov_b32 v84, v38
	;; [unrolled: 1-line block ×19, first 2 shown]
	v_mov_b32_e32 v40, v39
.LBB27_93:
	s_or_b32 exec_lo, exec_lo, s2
	s_delay_alu instid0(VALU_DEP_1)
	v_cmp_lt_f32_e32 vcc_lo, v40, v9
	v_dual_mov_b32 v38, v2 :: v_dual_mov_b32 v41, v5
	v_dual_mov_b32 v42, v6 :: v_dual_mov_b32 v47, v11
	v_dual_cndmask_b32 v145, v33, v32 :: v_dual_cndmask_b32 v32, v32, v33
	v_dual_cndmask_b32 v146, v21, v20 :: v_dual_mov_b32 v39, v3
	v_dual_cndmask_b32 v20, v20, v21 :: v_dual_cndmask_b32 v45, v9, v40
	v_dual_cndmask_b32 v44, v8, v9 :: v_dual_mov_b32 v37, v1
	v_dual_mov_b32 v40, v4 :: v_dual_mov_b32 v43, v7
	v_mov_b32_e32 v46, v10
	v_mov_b32_e32 v48, v12
	s_mov_b32 s2, exec_lo
	v_cmpx_lt_f32_e32 v1, v2
	s_cbranch_execz .LBB27_95
; %bb.94:
	v_dual_mov_b32 v49, v38 :: v_dual_mov_b32 v50, v37
	v_dual_mov_b32 v51, v39 :: v_dual_mov_b32 v52, v40
	;; [unrolled: 1-line block ×6, first 2 shown]
	v_mov_b32_e32 v3, v25
	v_mov_b32_e32 v4, v13
	v_dual_mov_b32 v37, v49 :: v_dual_mov_b32 v40, v52
	v_swap_b32 v25, v26
	v_swap_b32 v13, v14
	v_dual_mov_b32 v38, v50 :: v_dual_mov_b32 v39, v51
	v_dual_mov_b32 v41, v53 :: v_dual_mov_b32 v42, v54
	;; [unrolled: 1-line block ×5, first 2 shown]
	v_mov_b32_e32 v2, v1
.LBB27_95:
	s_or_b32 exec_lo, exec_lo, s2
	v_mov_b32_e32 v21, v146
	v_dual_mov_b32 v33, v145 :: v_dual_mov_b32 v60, v24
	v_dual_mov_b32 v72, v36 :: v_dual_mov_b32 v61, v25
	;; [unrolled: 1-line block ×43, first 2 shown]
	v_mov_b32_e32 v97, v13
	v_mov_b32_e32 v1, v39
	s_mov_b32 s2, exec_lo
	v_dual_mov_b32 v95, v35 :: v_dual_mov_b32 v94, v34
	v_dual_mov_b32 v93, v33 :: v_dual_mov_b32 v92, v32
	;; [unrolled: 1-line block ×5, first 2 shown]
	v_cmpx_lt_f32_e32 v2, v39
	s_cbranch_execz .LBB27_97
; %bb.96:
	v_dual_mov_b32 v108, v24 :: v_dual_mov_b32 v107, v23
	v_dual_mov_b32 v98, v14 :: v_dual_mov_b32 v97, v13
	v_mov_b32_e32 v98, v15
	v_dual_mov_b32 v104, v20 :: v_dual_mov_b32 v103, v19
	v_dual_mov_b32 v100, v16 :: v_dual_mov_b32 v99, v15
	;; [unrolled: 1-line block ×26, first 2 shown]
	v_mov_b32_e32 v84, v144
	v_dual_mov_b32 v74, v134 :: v_dual_mov_b32 v77, v137
	v_mov_b32_e32 v75, v135
	v_dual_mov_b32 v38, v39 :: v_dual_mov_b32 v85, v121
	v_dual_mov_b32 v76, v136 :: v_dual_mov_b32 v79, v139
	;; [unrolled: 1-line block ×10, first 2 shown]
	v_mov_b32_e32 v39, v2
	v_dual_mov_b32 v49, v73 :: v_dual_mov_b32 v50, v74
	v_dual_mov_b32 v59, v83 :: v_dual_mov_b32 v60, v84
	;; [unrolled: 1-line block ×18, first 2 shown]
	v_mov_b32_e32 v70, v34
	v_dual_mov_b32 v72, v36 :: v_dual_mov_b32 v1, v2
	v_mov_b32_e32 v27, v26
	v_mov_b32_e32 v15, v14
.LBB27_97:
	s_or_b32 exec_lo, exec_lo, s2
	v_mov_b32_e32 v2, v40
	s_mov_b32 s2, exec_lo
	v_cmpx_lt_f32_e32 v1, v40
	s_cbranch_execz .LBB27_99
; %bb.98:
	v_mov_b32_e32 v99, v16
	v_mov_b32_e32 v144, v108
	;; [unrolled: 1-line block ×3, first 2 shown]
	v_dual_mov_b32 v136, v15 :: v_dual_mov_b32 v111, v28
	v_dual_mov_b32 v142, v106 :: v_dual_mov_b32 v133, v97
	;; [unrolled: 1-line block ×4, first 2 shown]
	v_mov_b32_e32 v135, v99
	v_dual_mov_b32 v125, v113 :: v_dual_mov_b32 v124, v112
	v_mov_b32_e32 v143, v107
	v_dual_mov_b32 v141, v105 :: v_dual_mov_b32 v140, v104
	v_dual_mov_b32 v139, v103 :: v_dual_mov_b32 v138, v102
	;; [unrolled: 1-line block ×18, first 2 shown]
	v_mov_b32_e32 v95, v131
	v_dual_mov_b32 v89, v29 :: v_dual_mov_b32 v88, v124
	v_dual_mov_b32 v49, v73 :: v_dual_mov_b32 v54, v78
	v_mov_b32_e32 v50, v74
	v_dual_mov_b32 v52, v76 :: v_dual_mov_b32 v61, v85
	s_delay_alu instid0(VALU_DEP_4)
	v_dual_mov_b32 v64, v88 :: v_dual_mov_b32 v51, v75
	v_dual_mov_b32 v56, v80 :: v_dual_mov_b32 v53, v77
	;; [unrolled: 1-line block ×12, first 2 shown]
	v_mov_b32_e32 v58, v22
	v_dual_mov_b32 v57, v146 :: v_dual_mov_b32 v60, v24
	v_dual_mov_b32 v59, v23 :: v_dual_mov_b32 v62, v86
	v_dual_mov_b32 v67, v31 :: v_dual_mov_b32 v68, v32
	v_dual_mov_b32 v69, v145 :: v_dual_mov_b32 v70, v34
	v_dual_mov_b32 v71, v35 :: v_dual_mov_b32 v72, v36
	v_mov_b32_e32 v2, v1
	v_mov_b32_e32 v28, v27
	v_mov_b32_e32 v16, v15
.LBB27_99:
	s_or_b32 exec_lo, exec_lo, s2
	v_mov_b32_e32 v1, v41
	s_mov_b32 s2, exec_lo
	v_cmpx_lt_f32_e32 v2, v41
	s_cbranch_execz .LBB27_101
; %bb.100:
	v_mov_b32_e32 v100, v17
	v_mov_b32_e32 v73, v97
	;; [unrolled: 1-line block ×3, first 2 shown]
	v_dual_mov_b32 v77, v16 :: v_dual_mov_b32 v78, v102
	v_dual_mov_b32 v112, v29 :: v_dual_mov_b32 v75, v99
	;; [unrolled: 1-line block ×3, first 2 shown]
	v_mov_b32_e32 v84, v108
	v_dual_mov_b32 v74, v98 :: v_dual_mov_b32 v85, v109
	v_mov_b32_e32 v86, v110
	v_dual_mov_b32 v76, v100 :: v_dual_mov_b32 v79, v103
	v_dual_mov_b32 v80, v104 :: v_dual_mov_b32 v81, v105
	;; [unrolled: 1-line block ×8, first 2 shown]
	v_mov_b32_e32 v49, v73
	v_dual_mov_b32 v89, v28 :: v_dual_mov_b32 v50, v74
	v_dual_mov_b32 v59, v83 :: v_dual_mov_b32 v60, v84
	;; [unrolled: 1-line block ×32, first 2 shown]
	v_mov_b32_e32 v17, v16
.LBB27_101:
	s_or_b32 exec_lo, exec_lo, s2
	v_mov_b32_e32 v2, v42
	s_mov_b32 s2, exec_lo
	v_cmpx_lt_f32_e32 v1, v42
	s_cbranch_execz .LBB27_103
; %bb.102:
	v_mov_b32_e32 v137, v18
	v_mov_b32_e32 v125, v30
	v_dual_mov_b32 v41, v42 :: v_dual_mov_b32 v42, v1
	v_dual_mov_b32 v49, v133 :: v_dual_mov_b32 v50, v134
	;; [unrolled: 1-line block ×13, first 2 shown]
	v_mov_b32_e32 v66, v29
	v_dual_mov_b32 v85, v121 :: v_dual_mov_b32 v86, v122
	v_dual_mov_b32 v73, v133 :: v_dual_mov_b32 v74, v134
	;; [unrolled: 1-line block ×4, first 2 shown]
	v_mov_b32_e32 v64, v124
	v_dual_mov_b32 v58, v22 :: v_dual_mov_b32 v59, v23
	v_dual_mov_b32 v67, v31 :: v_dual_mov_b32 v68, v32
	;; [unrolled: 1-line block ×8, first 2 shown]
	v_mov_b32_e32 v2, v1
	v_mov_b32_e32 v30, v29
	v_dual_mov_b32 v18, v17 :: v_dual_mov_b32 v91, v127
	v_dual_mov_b32 v92, v128 :: v_dual_mov_b32 v93, v129
	;; [unrolled: 1-line block ×6, first 2 shown]
	v_mov_b32_e32 v84, v144
.LBB27_103:
	s_or_b32 exec_lo, exec_lo, s2
	v_mov_b32_e32 v1, v43
	s_mov_b32 s2, exec_lo
	v_cmpx_lt_f32_e32 v2, v43
	s_cbranch_execz .LBB27_105
; %bb.104:
	v_dual_mov_b32 v94, v34 :: v_dual_mov_b32 v95, v35
	v_dual_mov_b32 v78, v19 :: v_dual_mov_b32 v79, v18
	;; [unrolled: 1-line block ×6, first 2 shown]
	v_mov_b32_e32 v96, v36
	v_dual_mov_b32 v42, v43 :: v_dual_mov_b32 v43, v2
	v_dual_mov_b32 v84, v24 :: v_dual_mov_b32 v61, v85
	;; [unrolled: 1-line block ×14, first 2 shown]
.LBB27_105:
	s_or_b32 exec_lo, exec_lo, s2
	s_delay_alu instid0(VALU_DEP_1)
	v_cmp_lt_f32_e32 vcc_lo, v1, v44
	v_dual_mov_b32 v3, v39 :: v_dual_mov_b32 v10, v46
	v_dual_mov_b32 v5, v41 :: v_dual_mov_b32 v12, v48
	v_dual_cndmask_b32 v121, v68, v67 :: v_dual_mov_b32 v2, v38
	v_dual_cndmask_b32 v67, v67, v68 :: v_dual_cndmask_b32 v122, v56, v55
	v_dual_cndmask_b32 v55, v55, v56 :: v_dual_cndmask_b32 v8, v44, v1
	v_dual_cndmask_b32 v7, v43, v44 :: v_dual_mov_b32 v4, v40
	v_dual_mov_b32 v1, v37 :: v_dual_mov_b32 v6, v42
	v_mov_b32_e32 v9, v45
	v_mov_b32_e32 v11, v47
	s_mov_b32 s2, exec_lo
	v_cmpx_lt_f32_e32 v37, v38
	s_cbranch_execz .LBB27_107
; %bb.106:
	v_dual_mov_b32 v13, v2 :: v_dual_mov_b32 v14, v1
	v_dual_mov_b32 v15, v3 :: v_dual_mov_b32 v16, v4
	;; [unrolled: 1-line block ×6, first 2 shown]
	v_mov_b32_e32 v25, v61
	v_mov_b32_e32 v26, v49
	v_dual_mov_b32 v1, v13 :: v_dual_mov_b32 v4, v16
	v_swap_b32 v61, v62
	v_swap_b32 v49, v50
	v_dual_mov_b32 v2, v14 :: v_dual_mov_b32 v3, v15
	v_dual_mov_b32 v5, v17 :: v_dual_mov_b32 v6, v18
	;; [unrolled: 1-line block ×5, first 2 shown]
	v_mov_b32_e32 v38, v37
.LBB27_107:
	s_or_b32 exec_lo, exec_lo, s2
	v_mov_b32_e32 v56, v122
	v_mov_b32_e32 v68, v121
	;; [unrolled: 1-line block ×3, first 2 shown]
	v_dual_mov_b32 v27, v51 :: v_dual_mov_b32 v84, v72
	v_mov_b32_e32 v81, v69
	v_dual_mov_b32 v83, v71 :: v_dual_mov_b32 v96, v60
	v_dual_mov_b32 v91, v55 :: v_dual_mov_b32 v120, v72
	;; [unrolled: 1-line block ×31, first 2 shown]
	v_mov_b32_e32 v24, v60
	s_mov_b32 s2, exec_lo
	v_dual_mov_b32 v118, v70 :: v_dual_mov_b32 v115, v67
	v_dual_mov_b32 v116, v68 :: v_dual_mov_b32 v113, v65
	;; [unrolled: 1-line block ×3, first 2 shown]
	v_cmpx_lt_f32_e32 v38, v3
	s_cbranch_execz .LBB27_109
; %bb.108:
	v_dual_mov_b32 v13, v49 :: v_dual_mov_b32 v14, v50
	v_dual_mov_b32 v23, v59 :: v_dual_mov_b32 v24, v60
	;; [unrolled: 1-line block ×30, first 2 shown]
	v_mov_b32_e32 v112, v64
	v_dual_mov_b32 v34, v94 :: v_dual_mov_b32 v35, v95
	v_dual_mov_b32 v35, v59 :: v_dual_mov_b32 v34, v58
	;; [unrolled: 1-line block ×15, first 2 shown]
	v_mov_b32_e32 v81, v69
	v_dual_mov_b32 v80, v121 :: v_dual_mov_b32 v83, v71
	v_mov_b32_e32 v82, v70
	v_dual_mov_b32 v84, v72 :: v_dual_mov_b32 v37, v38
	v_mov_b32_e32 v63, v62
	v_mov_b32_e32 v51, v50
.LBB27_109:
	s_or_b32 exec_lo, exec_lo, s2
	v_mov_b32_e32 v38, v4
	s_mov_b32 s2, exec_lo
	v_cmpx_lt_f32_e32 v37, v4
	s_cbranch_execz .LBB27_111
; %bb.110:
	v_mov_b32_e32 v15, v52
	v_mov_b32_e32 v96, v24
	;; [unrolled: 1-line block ×3, first 2 shown]
	v_dual_mov_b32 v88, v51 :: v_dual_mov_b32 v99, v64
	v_dual_mov_b32 v94, v22 :: v_dual_mov_b32 v85, v13
	;; [unrolled: 1-line block ×3, first 2 shown]
	v_mov_b32_e32 v95, v23
	v_dual_mov_b32 v93, v21 :: v_dual_mov_b32 v92, v20
	v_dual_mov_b32 v91, v19 :: v_dual_mov_b32 v90, v18
	;; [unrolled: 1-line block ×7, first 2 shown]
	v_mov_b32_e32 v87, v15
	v_dual_mov_b32 v111, v99 :: v_dual_mov_b32 v110, v98
	v_dual_mov_b32 v112, v63 :: v_dual_mov_b32 v25, v85
	v_dual_mov_b32 v26, v86 :: v_dual_mov_b32 v73, v109
	s_delay_alu instid0(VALU_DEP_3)
	v_dual_mov_b32 v74, v110 :: v_dual_mov_b32 v29, v89
	v_dual_mov_b32 v30, v90 :: v_dual_mov_b32 v31, v91
	;; [unrolled: 1-line block ×8, first 2 shown]
	v_mov_b32_e32 v84, v120
	v_dual_mov_b32 v3, v4 :: v_dual_mov_b32 v4, v37
	v_dual_mov_b32 v27, v87 :: v_dual_mov_b32 v28, v88
	;; [unrolled: 1-line block ×11, first 2 shown]
	v_mov_b32_e32 v38, v37
	v_mov_b32_e32 v64, v63
	;; [unrolled: 1-line block ×3, first 2 shown]
.LBB27_111:
	s_or_b32 exec_lo, exec_lo, s2
	v_mov_b32_e32 v16, v5
	s_mov_b32 s2, exec_lo
	v_cmpx_lt_f32_e32 v38, v5
	s_cbranch_execz .LBB27_113
; %bb.112:
	v_mov_b32_e32 v100, v65
	v_mov_b32_e32 v16, v53
	v_dual_mov_b32 v4, v5 :: v_dual_mov_b32 v5, v38
	v_dual_mov_b32 v36, v24 :: v_dual_mov_b32 v33, v21
	;; [unrolled: 1-line block ×3, first 2 shown]
	v_mov_b32_e32 v31, v19
	v_dual_mov_b32 v35, v59 :: v_dual_mov_b32 v34, v58
	v_dual_mov_b32 v73, v97 :: v_dual_mov_b32 v32, v20
	;; [unrolled: 1-line block ×8, first 2 shown]
	v_mov_b32_e32 v77, v64
	v_dual_mov_b32 v84, v108 :: v_dual_mov_b32 v79, v67
	v_dual_mov_b32 v120, v108 :: v_dual_mov_b32 v115, v103
	;; [unrolled: 1-line block ×19, first 2 shown]
	v_mov_b32_e32 v88, v16
	v_dual_mov_b32 v86, v14 :: v_dual_mov_b32 v65, v64
	v_dual_mov_b32 v16, v38 :: v_dual_mov_b32 v53, v52
	;; [unrolled: 1-line block ×3, first 2 shown]
.LBB27_113:
	s_or_b32 exec_lo, exec_lo, s2
	v_mov_b32_e32 v13, v6
	s_mov_b32 s2, exec_lo
	v_cmpx_lt_f32_e32 v16, v6
	s_cbranch_execz .LBB27_115
; %bb.114:
	v_dual_mov_b32 v89, v54 :: v_dual_mov_b32 v90, v53
	v_dual_mov_b32 v91, v55 :: v_dual_mov_b32 v92, v122
	;; [unrolled: 1-line block ×21, first 2 shown]
	v_mov_b32_e32 v13, v16
.LBB27_115:
	s_or_b32 exec_lo, exec_lo, s2
	s_delay_alu instid0(VALU_DEP_1)
	v_cmp_lt_f32_e32 vcc_lo, v13, v7
	v_dual_mov_b32 v14, v2 :: v_dual_mov_b32 v17, v5
	v_dual_mov_b32 v16, v4 :: v_dual_mov_b32 v21, v9
	v_dual_cndmask_b32 v37, v79, v78 :: v_dual_cndmask_b32 v78, v78, v79
	v_cndmask_b32_e32 v38, v31, v30, vcc_lo
	v_dual_cndmask_b32 v30, v30, v31 :: v_dual_cndmask_b32 v19, v7, v13
	v_dual_cndmask_b32 v18, v6, v7 :: v_dual_mov_b32 v15, v3
	v_dual_mov_b32 v13, v1 :: v_dual_mov_b32 v20, v8
	v_dual_mov_b32 v23, v11 :: v_dual_mov_b32 v22, v10
	v_mov_b32_e32 v24, v12
	s_mov_b32 s2, exec_lo
	v_cmpx_lt_f32_e32 v1, v2
	s_cbranch_execz .LBB27_117
; %bb.116:
	v_dual_mov_b32 v2, v14 :: v_dual_mov_b32 v3, v13
	v_dual_mov_b32 v12, v23 :: v_dual_mov_b32 v13, v24
	;; [unrolled: 1-line block ×6, first 2 shown]
	v_mov_b32_e32 v24, v13
	v_mov_b32_e32 v31, v73
	v_dual_mov_b32 v39, v25 :: v_dual_mov_b32 v18, v7
	v_swap_b32 v73, v74
	v_swap_b32 v25, v26
	v_dual_mov_b32 v23, v12 :: v_dual_mov_b32 v20, v9
	v_dual_mov_b32 v22, v11 :: v_dual_mov_b32 v21, v10
	v_dual_mov_b32 v16, v5 :: v_dual_mov_b32 v19, v8
	v_dual_mov_b32 v14, v3 :: v_dual_mov_b32 v17, v6
	v_mov_b32_e32 v15, v4
	v_dual_mov_b32 v13, v2 :: v_dual_mov_b32 v2, v1
.LBB27_117:
	s_or_b32 exec_lo, exec_lo, s2
	v_mov_b32_e32 v31, v38
	v_dual_mov_b32 v79, v37 :: v_dual_mov_b32 v50, v36
	v_dual_mov_b32 v51, v73 :: v_dual_mov_b32 v52, v74
	;; [unrolled: 1-line block ×24, first 2 shown]
	v_mov_b32_e32 v85, v25
	v_mov_b32_e32 v1, v15
	s_mov_b32 s2, exec_lo
	v_cmpx_lt_f32_e32 v2, v15
	s_cbranch_execz .LBB27_119
; %bb.118:
	v_dual_mov_b32 v96, v36 :: v_dual_mov_b32 v95, v35
	v_dual_mov_b32 v86, v26 :: v_dual_mov_b32 v85, v25
	;; [unrolled: 1-line block ×8, first 2 shown]
	v_mov_b32_e32 v105, v81
	v_dual_mov_b32 v43, v89 :: v_dual_mov_b32 v44, v90
	v_dual_mov_b32 v100, v76 :: v_dual_mov_b32 v97, v73
	;; [unrolled: 1-line block ×6, first 2 shown]
	v_mov_b32_e32 v98, v74
	v_dual_mov_b32 v98, v75 :: v_dual_mov_b32 v99, v74
	v_dual_mov_b32 v49, v95 :: v_dual_mov_b32 v50, v96
	v_dual_mov_b32 v50, v36 :: v_dual_mov_b32 v51, v97
	v_dual_mov_b32 v41, v87 :: v_dual_mov_b32 v42, v88
	v_dual_mov_b32 v45, v91 :: v_dual_mov_b32 v46, v92
	v_dual_mov_b32 v47, v93 :: v_dual_mov_b32 v48, v94
	v_dual_mov_b32 v54, v100 :: v_dual_mov_b32 v55, v101
	v_dual_mov_b32 v56, v102 :: v_dual_mov_b32 v57, v103
	v_dual_mov_b32 v58, v104 :: v_dual_mov_b32 v59, v105
	v_dual_mov_b32 v60, v106 :: v_dual_mov_b32 v61, v107
	v_dual_mov_b32 v62, v108 :: v_dual_mov_b32 v55, v77
	v_dual_mov_b32 v14, v15 :: v_dual_mov_b32 v15, v2
	v_mov_b32_e32 v40, v86
	v_dual_mov_b32 v42, v28 :: v_dual_mov_b32 v43, v29
	v_dual_mov_b32 v45, v38 :: v_dual_mov_b32 v46, v32
	;; [unrolled: 1-line block ×9, first 2 shown]
	v_mov_b32_e32 v75, v74
	v_mov_b32_e32 v27, v26
.LBB27_119:
	s_or_b32 exec_lo, exec_lo, s2
	v_mov_b32_e32 v2, v16
	s_mov_b32 s2, exec_lo
	v_cmpx_lt_f32_e32 v1, v16
	s_cbranch_execz .LBB27_121
; %bb.120:
	v_mov_b32_e32 v87, v28
	v_mov_b32_e32 v99, v76
	v_dual_mov_b32 v15, v16 :: v_dual_mov_b32 v16, v1
	v_dual_mov_b32 v39, v85 :: v_dual_mov_b32 v42, v88
	;; [unrolled: 1-line block ×13, first 2 shown]
	v_mov_b32_e32 v56, v78
	v_mov_b32_e32 v40, v86
	v_dual_mov_b32 v42, v27 :: v_dual_mov_b32 v43, v29
	v_dual_mov_b32 v45, v38 :: v_dual_mov_b32 v46, v32
	;; [unrolled: 1-line block ×8, first 2 shown]
	v_mov_b32_e32 v2, v1
	v_mov_b32_e32 v76, v75
	;; [unrolled: 1-line block ×3, first 2 shown]
.LBB27_121:
	s_or_b32 exec_lo, exec_lo, s2
	v_mov_b32_e32 v1, v17
	s_mov_b32 s2, exec_lo
	v_cmpx_lt_f32_e32 v2, v17
	s_cbranch_execz .LBB27_123
; %bb.122:
	v_dual_mov_b32 v106, v82 :: v_dual_mov_b32 v107, v83
	v_dual_mov_b32 v88, v29 :: v_dual_mov_b32 v89, v28
	;; [unrolled: 1-line block ×8, first 2 shown]
	v_mov_b32_e32 v108, v84
	v_dual_mov_b32 v16, v17 :: v_dual_mov_b32 v17, v2
	v_dual_mov_b32 v96, v36 :: v_dual_mov_b32 v51, v97
	;; [unrolled: 1-line block ×14, first 2 shown]
.LBB27_123:
	s_or_b32 exec_lo, exec_lo, s2
	s_delay_alu instid0(VALU_DEP_1)
	v_cmp_lt_f32_e32 vcc_lo, v1, v18
	v_dual_mov_b32 v27, v13 :: v_dual_mov_b32 v34, v20
	v_dual_mov_b32 v29, v15 :: v_dual_mov_b32 v36, v22
	v_dual_cndmask_b32 v63, v56, v55 :: v_dual_cndmask_b32 v32, v18, v1
	v_dual_cndmask_b32 v55, v55, v56 :: v_dual_cndmask_b32 v64, v44, v43
	v_dual_cndmask_b32 v43, v43, v44 :: v_dual_mov_b32 v28, v14
	v_dual_cndmask_b32 v31, v17, v18 :: v_dual_mov_b32 v30, v16
	v_dual_mov_b32 v33, v19 :: v_dual_mov_b32 v38, v24
	v_mov_b32_e32 v35, v21
	v_mov_b32_e32 v37, v23
	s_mov_b32 s2, exec_lo
	v_cmpx_lt_f32_e32 v13, v14
	s_cbranch_execz .LBB27_125
; %bb.124:
	s_delay_alu instid0(VALU_DEP_2)
	v_dual_mov_b32 v11, v37 :: v_dual_mov_b32 v12, v38
	v_dual_mov_b32 v1, v28 :: v_dual_mov_b32 v2, v27
	;; [unrolled: 1-line block ×7, first 2 shown]
	s_delay_alu instid0(VALU_DEP_2)
	v_dual_mov_b32 v16, v39 :: v_dual_mov_b32 v35, v9
	v_swap_b32 v51, v52
	v_swap_b32 v39, v40
	v_dual_mov_b32 v37, v11 :: v_dual_mov_b32 v36, v10
	v_dual_mov_b32 v34, v8 :: v_dual_mov_b32 v33, v7
	;; [unrolled: 1-line block ×5, first 2 shown]
	v_mov_b32_e32 v14, v13
.LBB27_125:
	s_or_b32 exec_lo, exec_lo, s2
	v_mov_b32_e32 v44, v64
	v_mov_b32_e32 v56, v63
	;; [unrolled: 1-line block ×4, first 2 shown]
	v_dual_mov_b32 v15, v51 :: v_dual_mov_b32 v2, v40
	v_dual_mov_b32 v16, v52 :: v_dual_mov_b32 v17, v53
	;; [unrolled: 1-line block ×11, first 2 shown]
	v_mov_b32_e32 v12, v50
	s_mov_b32 s2, exec_lo
	v_cmpx_lt_f32_e32 v14, v29
	s_cbranch_execz .LBB27_127
; %bb.126:
	v_dual_mov_b32 v1, v39 :: v_dual_mov_b32 v2, v40
	v_dual_mov_b32 v11, v49 :: v_dual_mov_b32 v12, v50
	;; [unrolled: 1-line block ×25, first 2 shown]
	v_mov_b32_e32 v41, v40
.LBB27_127:
	s_or_b32 exec_lo, exec_lo, s2
	v_mov_b32_e32 v39, v30
	s_mov_b32 s2, exec_lo
	v_cmpx_lt_f32_e32 v13, v30
	s_cbranch_execz .LBB27_129
; %bb.128:
	v_dual_mov_b32 v29, v30 :: v_dual_mov_b32 v30, v13
	v_dual_mov_b32 v3, v42 :: v_dual_mov_b32 v4, v41
	;; [unrolled: 1-line block ×11, first 2 shown]
	v_mov_b32_e32 v39, v13
.LBB27_129:
	s_or_b32 exec_lo, exec_lo, s2
	s_delay_alu instid0(VALU_DEP_1)
	v_cmp_lt_f32_e32 vcc_lo, v39, v31
	v_dual_mov_b32 v40, v28 :: v_dual_mov_b32 v45, v33
	v_dual_mov_b32 v44, v32 :: v_dual_mov_b32 v47, v35
	v_dual_cndmask_b32 v13, v19, v18 :: v_dual_cndmask_b32 v18, v18, v19
	v_dual_cndmask_b32 v14, v5, v4 :: v_dual_cndmask_b32 v43, v31, v39
	v_dual_cndmask_b32 v4, v4, v5 :: v_dual_mov_b32 v39, v27
	v_dual_cndmask_b32 v42, v30, v31 :: v_dual_mov_b32 v41, v29
	v_dual_mov_b32 v46, v34 :: v_dual_mov_b32 v49, v37
	v_mov_b32_e32 v48, v36
	v_mov_b32_e32 v50, v38
	s_mov_b32 s2, exec_lo
	v_cmpx_lt_f32_e32 v27, v28
	s_cbranch_execz .LBB27_131
; %bb.130:
	v_dual_mov_b32 v28, v40 :: v_dual_mov_b32 v29, v39
	v_dual_mov_b32 v38, v49 :: v_dual_mov_b32 v39, v50
	;; [unrolled: 1-line block ×7, first 2 shown]
	v_mov_b32_e32 v5, v15
	v_swap_b32 v15, v16
	s_delay_alu instid0(VALU_DEP_4)
	v_mov_b32_e32 v48, v37
	v_swap_b32 v1, v2
	v_dual_mov_b32 v49, v38 :: v_dual_mov_b32 v46, v35
	v_dual_mov_b32 v47, v36 :: v_dual_mov_b32 v44, v33
	;; [unrolled: 1-line block ×4, first 2 shown]
	v_mov_b32_e32 v41, v30
	v_dual_mov_b32 v39, v28 :: v_dual_mov_b32 v28, v27
.LBB27_131:
	s_or_b32 exec_lo, exec_lo, s2
	v_mov_b32_e32 v5, v14
	v_mov_b32_e32 v19, v13
	;; [unrolled: 1-line block ×3, first 2 shown]
	s_mov_b32 s2, exec_lo
	v_cmpx_lt_f32_e32 v28, v41
	s_cbranch_execz .LBB27_133
; %bb.132:
	v_dual_mov_b32 v74, v26 :: v_dual_mov_b32 v73, v25
	v_dual_mov_b32 v62, v12 :: v_dual_mov_b32 v61, v11
	;; [unrolled: 1-line block ×22, first 2 shown]
	v_mov_b32_e32 v74, v26
	v_dual_mov_b32 v40, v41 :: v_dual_mov_b32 v41, v28
	v_dual_mov_b32 v62, v12 :: v_dual_mov_b32 v15, v63
	;; [unrolled: 1-line block ×14, first 2 shown]
.LBB27_133:
	s_or_b32 exec_lo, exec_lo, s2
	s_delay_alu instid0(VALU_DEP_1)
	v_cmp_lt_f32_e32 vcc_lo, v27, v42
	v_dual_mov_b32 v29, v24 :: v_dual_mov_b32 v32, v5
	v_dual_mov_b32 v31, v26 :: v_dual_mov_b32 v34, v7
	v_dual_cndmask_b32 v13, v18, v17 :: v_dual_cndmask_b32 v14, v4, v3
	v_cndmask_b32_e32 v51, v17, v18, vcc_lo
	v_dual_cndmask_b32 v59, v3, v4 :: v_dual_cndmask_b32 v60, v41, v42
	v_dual_cndmask_b32 v3, v42, v27 :: v_dual_mov_b32 v18, v21
	v_cmp_lt_f32_e32 vcc_lo, v39, v40
	v_dual_mov_b32 v4, v19 :: v_dual_mov_b32 v17, v20
	v_dual_mov_b32 v28, v23 :: v_dual_mov_b32 v27, v22
	v_dual_mov_b32 v30, v25 :: v_dual_mov_b32 v33, v6
	v_dual_mov_b32 v36, v9 :: v_dual_mov_b32 v35, v8
	v_dual_mov_b32 v38, v11 :: v_dual_mov_b32 v37, v10
	v_dual_mov_b32 v42, v43 :: v_dual_mov_b32 v41, v12
	v_dual_mov_b32 v54, v46 :: v_dual_mov_b32 v61, v40
	v_mov_b32_e32 v58, v50
	v_dual_mov_b32 v52, v44 :: v_dual_mov_b32 v53, v45
	v_dual_mov_b32 v55, v47 :: v_dual_mov_b32 v56, v48
	v_mov_b32_e32 v57, v49
	s_and_saveexec_b32 s2, vcc_lo
	s_cbranch_execz .LBB27_135
; %bb.134:
	v_dual_mov_b32 v42, v40 :: v_dual_mov_b32 v27, v22
	v_dual_mov_b32 v4, v15 :: v_dual_mov_b32 v17, v20
	;; [unrolled: 1-line block ×3, first 2 shown]
	v_swap_b32 v15, v16
	v_swap_b32 v1, v2
	v_dual_mov_b32 v40, v39 :: v_dual_mov_b32 v29, v24
	v_dual_mov_b32 v4, v19 :: v_dual_mov_b32 v31, v26
	;; [unrolled: 1-line block ×10, first 2 shown]
	v_mov_b32_e32 v52, v44
	v_mov_b32_e32 v54, v46
	;; [unrolled: 1-line block ×4, first 2 shown]
.LBB27_135:
	s_or_b32 exec_lo, exec_lo, s2
	s_clause 0x1
	s_load_b32 s8, s[0:1], 0x28
	s_load_b128 s[4:7], s[0:1], 0x10
	v_mov_b32_e32 v6, 0
	s_waitcnt lgkmcnt(0)
	s_cmp_lt_i32 s8, 1
	s_cbranch_scc1 .LBB27_141
; %bb.136:
	v_cmp_lt_f32_e32 vcc_lo, v40, v60
	v_mov_b32_e32 v7, 0
	s_mov_b32 s9, 0x76543210
	s_mov_b32 s10, s8
	v_mov_b32_e32 v6, 0
	v_cndmask_b32_e32 v8, v60, v40, vcc_lo
	v_cndmask_b32_e32 v19, v61, v60, vcc_lo
	v_dual_cndmask_b32 v5, v59, v2 :: v_dual_cndmask_b32 v2, v2, v59
	v_dual_cndmask_b32 v9, v51, v16 :: v_dual_cndmask_b32 v20, v16, v51
	s_delay_alu instid0(VALU_DEP_3) | instskip(NEXT) | instid1(VALU_DEP_1)
	v_cmp_lt_f32_e64 s2, v39, v19
	v_cndmask_b32_e64 v10, v2, v1, s2
	v_cndmask_b32_e64 v11, v1, v2, s2
	;; [unrolled: 1-line block ×6, first 2 shown]
	v_dual_mov_b32 v20, v0 :: v_dual_mov_b32 v1, 0
	v_mov_b32_e32 v2, 0
.LBB27_137:                             ; =>This Inner Loop Header: Depth=1
	v_cmp_eq_u32_e32 vcc_lo, 1, v7
	v_cmp_eq_u32_e64 s2, 2, v7
	v_dual_cndmask_b32 v21, v16, v12 :: v_dual_cndmask_b32 v22, v11, v10
	s_delay_alu instid0(VALU_DEP_1) | instskip(NEXT) | instid1(VALU_DEP_2)
	v_cndmask_b32_e64 v21, v21, v8, s2
	v_cndmask_b32_e64 v22, v22, v5, s2
	v_cndmask_b32_e32 v23, v15, v19, vcc_lo
	v_cmp_eq_u32_e32 vcc_lo, 3, v7
	s_delay_alu instid0(VALU_DEP_3) | instskip(NEXT) | instid1(VALU_DEP_3)
	v_cndmask_b32_e32 v22, v22, v14, vcc_lo
	v_cndmask_b32_e64 v23, v23, v9, s2
	v_cmp_eq_u32_e64 s2, 4, v7
	s_delay_alu instid0(VALU_DEP_2) | instskip(NEXT) | instid1(VALU_DEP_2)
	v_cndmask_b32_e32 v23, v23, v13, vcc_lo
	v_cndmask_b32_e64 v22, v22, v32, s2
	v_cndmask_b32_e32 v21, v21, v3, vcc_lo
	v_cmp_eq_u32_e32 vcc_lo, 5, v7
	s_delay_alu instid0(VALU_DEP_4) | instskip(NEXT) | instid1(VALU_DEP_4)
	v_cndmask_b32_e64 v23, v23, v4, s2
	v_cndmask_b32_e32 v22, v22, v33, vcc_lo
	s_delay_alu instid0(VALU_DEP_4) | instskip(SKIP_1) | instid1(VALU_DEP_4)
	v_cndmask_b32_e64 v21, v21, v42, s2
	v_cmp_eq_u32_e64 s2, 6, v7
	v_cndmask_b32_e32 v23, v23, v17, vcc_lo
	s_delay_alu instid0(VALU_DEP_3) | instskip(SKIP_1) | instid1(VALU_DEP_4)
	v_cndmask_b32_e32 v21, v21, v52, vcc_lo
	v_cmp_eq_u32_e32 vcc_lo, 7, v7
	v_cndmask_b32_e64 v22, v22, v34, s2
	s_delay_alu instid0(VALU_DEP_4) | instskip(NEXT) | instid1(VALU_DEP_4)
	v_cndmask_b32_e64 v23, v23, v18, s2
	v_cndmask_b32_e64 v21, v21, v53, s2
	v_cmp_eq_u32_e64 s2, 8, v7
	s_delay_alu instid0(VALU_DEP_4) | instskip(NEXT) | instid1(VALU_DEP_4)
	v_cndmask_b32_e32 v22, v22, v35, vcc_lo
	v_cndmask_b32_e32 v23, v23, v27, vcc_lo
	s_delay_alu instid0(VALU_DEP_4) | instskip(SKIP_1) | instid1(VALU_DEP_4)
	v_cndmask_b32_e32 v21, v21, v54, vcc_lo
	v_cmp_eq_u32_e32 vcc_lo, 9, v7
	v_cndmask_b32_e64 v22, v22, v36, s2
	s_delay_alu instid0(VALU_DEP_4) | instskip(NEXT) | instid1(VALU_DEP_4)
	v_cndmask_b32_e64 v23, v23, v28, s2
	v_cndmask_b32_e64 v21, v21, v55, s2
	v_cmp_eq_u32_e64 s2, 10, v7
	s_delay_alu instid0(VALU_DEP_4) | instskip(NEXT) | instid1(VALU_DEP_4)
	v_cndmask_b32_e32 v22, v22, v37, vcc_lo
	v_cndmask_b32_e32 v23, v23, v29, vcc_lo
	s_delay_alu instid0(VALU_DEP_4) | instskip(SKIP_1) | instid1(VALU_DEP_4)
	v_cndmask_b32_e32 v21, v21, v56, vcc_lo
	v_cmp_eq_u32_e32 vcc_lo, 11, v7
	v_cndmask_b32_e64 v22, v22, v38, s2
	s_delay_alu instid0(VALU_DEP_4) | instskip(NEXT) | instid1(VALU_DEP_4)
	v_cndmask_b32_e64 v23, v23, v30, s2
	v_cndmask_b32_e64 v21, v21, v57, s2
	v_cmp_gt_u32_e64 s2, 12, v7
	s_delay_alu instid0(VALU_DEP_2) | instskip(NEXT) | instid1(VALU_DEP_1)
	v_dual_cndmask_b32 v22, v22, v41 :: v_dual_cndmask_b32 v21, v21, v58
	v_cndmask_b32_e64 v24, 0, v22, s2
	s_delay_alu instid0(VALU_DEP_2)
	v_cndmask_b32_e64 v21, 0xff800000, v21, s2
	;;#ASMSTART
	v_max_f32 v25, v21, v21 quad_perm:[1,0,3,2] row_mask:0xf bank_mask:0xf bound_ctrl:1
	;;#ASMEND
	;;#ASMSTART
	v_max_f32 v26, v25, v25 quad_perm:[2,3,0,1] row_mask:0xf bank_mask:0xf bound_ctrl:1
	;;#ASMEND
	;;#ASMSTART
	v_max_f32 v25, v26, v26 row_half_mirror row_mask:0xf bank_mask:0xf bound_ctrl:1
	;;#ASMEND
	;;#ASMSTART
	v_max_f32 v26, v25, v25 row_mirror row_mask:0xf bank_mask:0xf bound_ctrl:1
	;;#ASMEND
	v_permlanex16_b32 v25, v26, s9, 0xfedcba98 op_sel:[1,1]
	s_delay_alu instid0(VALU_DEP_1) | instskip(NEXT) | instid1(VALU_DEP_1)
	v_dual_max_f32 v26, v26, v26 :: v_dual_max_f32 v25, v25, v25
	v_max_f32_e32 v25, v26, v25
	s_delay_alu instid0(VALU_DEP_1) | instskip(SKIP_1) | instid1(VALU_DEP_2)
	v_cmp_eq_f32_e64 s3, v21, v25
	v_cndmask_b32_e32 v21, v23, v31, vcc_lo
	s_ctz_i32_b32 s11, s3
	s_cmp_lg_u32 s3, 0
	s_cselect_b32 s3, s11, 0
	s_add_i32 s10, s10, -1
	v_readlane_b32 s3, v24, s3
	s_delay_alu instid0(VALU_DEP_1)
	v_cmp_eq_u32_e32 vcc_lo, s3, v22
	s_and_b32 vcc_lo, s2, vcc_lo
	s_and_b32 s2, s3, 31
	v_cndmask_b32_e32 v21, 0, v21, vcc_lo
	v_add_co_ci_u32_e32 v7, vcc_lo, 0, v7, vcc_lo
	s_cmp_eq_u32 s10, 0
	s_delay_alu instid0(VALU_DEP_2) | instskip(SKIP_2) | instid1(VALU_DEP_3)
	v_readlane_b32 s11, v21, s2
	v_cmp_eq_u32_e64 s2, 0, v20
	v_add_nc_u32_e32 v20, -1, v20
	v_add_f32_e32 v6, s11, v6
	s_delay_alu instid0(VALU_DEP_3)
	v_cndmask_b32_e64 v2, v2, s11, s2
	v_cndmask_b32_e64 v1, v1, s3, s2
	s_cbranch_scc0 .LBB27_137
; %bb.138:
	s_mov_b32 s2, exec_lo
	v_cmpx_gt_i32_e64 s8, v0
	s_cbranch_execz .LBB27_140
.LBB27_139:
	s_load_b32 s2, s[0:1], 0x30
	v_max_f32_e32 v0, v6, v6
	s_load_b64 s[0:1], s[0:1], 0x20
	s_ashr_i32 s3, s15, 31
	s_delay_alu instid0(VALU_DEP_1) | instskip(SKIP_1) | instid1(VALU_DEP_1)
	v_max_f32_e32 v0, 0x1e3ce508, v0
	s_waitcnt lgkmcnt(0)
	v_div_scale_f32 v3, null, v0, v0, s2
	v_div_scale_f32 v6, vcc_lo, s2, v0, s2
	s_mul_i32 s1, s15, s1
	s_delay_alu instid0(VALU_DEP_2)
	v_rcp_f32_e32 v4, v3
	s_mul_hi_u32 s8, s15, s0
	s_mul_i32 s3, s3, s0
	s_add_i32 s1, s8, s1
	s_mul_i32 s0, s15, s0
	s_add_i32 s1, s1, s3
	s_delay_alu instid0(SALU_CYCLE_1) | instskip(SKIP_2) | instid1(VALU_DEP_1)
	s_lshl_b64 s[0:1], s[0:1], 2
	s_waitcnt_depctr 0xfff
	v_fma_f32 v5, -v3, v4, 1.0
	v_fmac_f32_e32 v4, v5, v4
	s_delay_alu instid0(VALU_DEP_1) | instskip(NEXT) | instid1(VALU_DEP_1)
	v_mul_f32_e32 v5, v6, v4
	v_fma_f32 v7, -v3, v5, v6
	s_delay_alu instid0(VALU_DEP_1) | instskip(NEXT) | instid1(VALU_DEP_1)
	v_fmac_f32_e32 v5, v7, v4
	v_fma_f32 v3, -v3, v5, v6
	s_delay_alu instid0(VALU_DEP_1) | instskip(NEXT) | instid1(VALU_DEP_1)
	v_div_fmas_f32 v3, v3, v4, v5
	v_div_fixup_f32 v0, v3, v0, s2
	s_add_u32 s2, s4, s0
	s_addc_u32 s3, s5, s1
	s_add_u32 s0, s6, s0
	s_addc_u32 s1, s7, s1
	v_mul_f32_e32 v0, v2, v0
	s_clause 0x1
	global_store_b32 v183, v0, s[2:3]
	global_store_b32 v183, v1, s[0:1]
.LBB27_140:
	s_endpgm
.LBB27_141:
	v_dual_mov_b32 v1, 0 :: v_dual_mov_b32 v2, 0
	s_mov_b32 s2, exec_lo
	v_cmpx_gt_i32_e64 s8, v0
	s_cbranch_execnz .LBB27_139
	s_branch .LBB27_140
	.section	.rodata,"a",@progbits
	.p2align	6, 0x0
	.amdhsa_kernel _ZN5aiter24topk_softplus_kernel_optIffLi384ELb1ELi0EEEvPKT_PKT0_PfPimiif
		.amdhsa_group_segment_fixed_size 0
		.amdhsa_private_segment_fixed_size 196
		.amdhsa_kernarg_size 52
		.amdhsa_user_sgpr_count 15
		.amdhsa_user_sgpr_dispatch_ptr 0
		.amdhsa_user_sgpr_queue_ptr 0
		.amdhsa_user_sgpr_kernarg_segment_ptr 1
		.amdhsa_user_sgpr_dispatch_id 0
		.amdhsa_user_sgpr_private_segment_size 0
		.amdhsa_wavefront_size32 1
		.amdhsa_uses_dynamic_stack 0
		.amdhsa_enable_private_segment 1
		.amdhsa_system_sgpr_workgroup_id_x 1
		.amdhsa_system_sgpr_workgroup_id_y 0
		.amdhsa_system_sgpr_workgroup_id_z 0
		.amdhsa_system_sgpr_workgroup_info 0
		.amdhsa_system_vgpr_workitem_id 0
		.amdhsa_next_free_vgpr 184
		.amdhsa_next_free_sgpr 16
		.amdhsa_reserve_vcc 1
		.amdhsa_float_round_mode_32 0
		.amdhsa_float_round_mode_16_64 0
		.amdhsa_float_denorm_mode_32 3
		.amdhsa_float_denorm_mode_16_64 3
		.amdhsa_dx10_clamp 1
		.amdhsa_ieee_mode 1
		.amdhsa_fp16_overflow 0
		.amdhsa_workgroup_processor_mode 1
		.amdhsa_memory_ordered 1
		.amdhsa_forward_progress 0
		.amdhsa_shared_vgpr_count 0
		.amdhsa_exception_fp_ieee_invalid_op 0
		.amdhsa_exception_fp_denorm_src 0
		.amdhsa_exception_fp_ieee_div_zero 0
		.amdhsa_exception_fp_ieee_overflow 0
		.amdhsa_exception_fp_ieee_underflow 0
		.amdhsa_exception_fp_ieee_inexact 0
		.amdhsa_exception_int_div_zero 0
	.end_amdhsa_kernel
	.section	.text._ZN5aiter24topk_softplus_kernel_optIffLi384ELb1ELi0EEEvPKT_PKT0_PfPimiif,"axG",@progbits,_ZN5aiter24topk_softplus_kernel_optIffLi384ELb1ELi0EEEvPKT_PKT0_PfPimiif,comdat
.Lfunc_end27:
	.size	_ZN5aiter24topk_softplus_kernel_optIffLi384ELb1ELi0EEEvPKT_PKT0_PfPimiif, .Lfunc_end27-_ZN5aiter24topk_softplus_kernel_optIffLi384ELb1ELi0EEEvPKT_PKT0_PfPimiif
                                        ; -- End function
	.section	.AMDGPU.csdata,"",@progbits
; Kernel info:
; codeLenInByte = 30408
; NumSgprs: 18
; NumVgprs: 184
; ScratchSize: 196
; MemoryBound: 0
; FloatMode: 240
; IeeeMode: 1
; LDSByteSize: 0 bytes/workgroup (compile time only)
; SGPRBlocks: 2
; VGPRBlocks: 22
; NumSGPRsForWavesPerEU: 18
; NumVGPRsForWavesPerEU: 184
; Occupancy: 8
; WaveLimiterHint : 0
; COMPUTE_PGM_RSRC2:SCRATCH_EN: 1
; COMPUTE_PGM_RSRC2:USER_SGPR: 15
; COMPUTE_PGM_RSRC2:TRAP_HANDLER: 0
; COMPUTE_PGM_RSRC2:TGID_X_EN: 1
; COMPUTE_PGM_RSRC2:TGID_Y_EN: 0
; COMPUTE_PGM_RSRC2:TGID_Z_EN: 0
; COMPUTE_PGM_RSRC2:TIDIG_COMP_CNT: 0
	.section	.text._ZN5aiter24topk_softplus_kernel_optIffLi384ELb0ELi0EEEvPKT_PKT0_PfPimiif,"axG",@progbits,_ZN5aiter24topk_softplus_kernel_optIffLi384ELb0ELi0EEEvPKT_PKT0_PfPimiif,comdat
	.protected	_ZN5aiter24topk_softplus_kernel_optIffLi384ELb0ELi0EEEvPKT_PKT0_PfPimiif ; -- Begin function _ZN5aiter24topk_softplus_kernel_optIffLi384ELb0ELi0EEEvPKT_PKT0_PfPimiif
	.globl	_ZN5aiter24topk_softplus_kernel_optIffLi384ELb0ELi0EEEvPKT_PKT0_PfPimiif
	.p2align	8
	.type	_ZN5aiter24topk_softplus_kernel_optIffLi384ELb0ELi0EEEvPKT_PKT0_PfPimiif,@function
_ZN5aiter24topk_softplus_kernel_optIffLi384ELb0ELi0EEEvPKT_PKT0_PfPimiif: ; @_ZN5aiter24topk_softplus_kernel_optIffLi384ELb0ELi0EEEvPKT_PKT0_PfPimiif
; %bb.0:
	s_load_b128 s[4:7], s[0:1], 0x0
	s_mul_i32 s2, s15, 0x180
	v_lshlrev_b32_e32 v183, 2, v0
	s_ashr_i32 s3, s2, 31
	s_delay_alu instid0(SALU_CYCLE_1)
	s_lshl_b64 s[2:3], s[2:3], 2
	s_waitcnt lgkmcnt(0)
	s_add_u32 s4, s4, s2
	s_addc_u32 s5, s5, s3
	s_cmp_lg_u64 s[6:7], 0
	global_load_b32 v1, v183, s[4:5]
	s_cselect_b32 s3, -1, 0
	s_waitcnt vmcnt(0)
	v_mul_f32_e32 v2, 0x3fb8aa3b, v1
	s_delay_alu instid0(VALU_DEP_1) | instskip(SKIP_2) | instid1(VALU_DEP_2)
	v_cmp_gt_f32_e32 vcc_lo, 0xc2fc0000, v2
	v_cndmask_b32_e64 v2, 0, 0x42800000, vcc_lo
	v_cndmask_b32_e64 v3, 1.0, 0x1f800000, vcc_lo
	v_fmac_f32_e32 v2, 0x3fb8aa3b, v1
	s_delay_alu instid0(VALU_DEP_1) | instskip(SKIP_2) | instid1(VALU_DEP_1)
	v_exp_f32_e32 v2, v2
	s_waitcnt_depctr 0xfff
	v_fma_f32 v2, v2, v3, 1.0
	v_cmp_gt_f32_e32 vcc_lo, 0x800000, v2
	v_cndmask_b32_e64 v3, 1.0, 0x4f800000, vcc_lo
	s_delay_alu instid0(VALU_DEP_1) | instskip(SKIP_2) | instid1(VALU_DEP_3)
	v_mul_f32_e32 v2, v2, v3
	v_cndmask_b32_e64 v3, 0, 0x42000000, vcc_lo
	v_cmp_lt_f32_e32 vcc_lo, 0x41a00000, v1
	v_log_f32_e32 v2, v2
	s_waitcnt_depctr 0xfff
	v_sub_f32_e32 v2, v2, v3
	s_delay_alu instid0(VALU_DEP_1) | instskip(NEXT) | instid1(VALU_DEP_1)
	v_mul_f32_e32 v2, 0x3f317218, v2
	v_cndmask_b32_e32 v1, v2, v1, vcc_lo
	s_delay_alu instid0(VALU_DEP_1) | instskip(SKIP_1) | instid1(VALU_DEP_2)
	v_mul_f32_e32 v2, 0x4f800000, v1
	v_cmp_gt_f32_e32 vcc_lo, 0xf800000, v1
	v_cndmask_b32_e32 v1, v1, v2, vcc_lo
	s_delay_alu instid0(VALU_DEP_1) | instskip(SKIP_3) | instid1(VALU_DEP_2)
	v_sqrt_f32_e32 v2, v1
	s_waitcnt_depctr 0xfff
	v_add_nc_u32_e32 v3, -1, v2
	v_add_nc_u32_e32 v4, 1, v2
	v_fma_f32 v5, -v3, v2, v1
	s_delay_alu instid0(VALU_DEP_2) | instskip(NEXT) | instid1(VALU_DEP_2)
	v_fma_f32 v6, -v4, v2, v1
	v_cmp_ge_f32_e64 s2, 0, v5
	s_delay_alu instid0(VALU_DEP_1) | instskip(NEXT) | instid1(VALU_DEP_3)
	v_cndmask_b32_e64 v2, v2, v3, s2
	v_cmp_lt_f32_e64 s2, 0, v6
	s_delay_alu instid0(VALU_DEP_1) | instskip(SKIP_1) | instid1(VALU_DEP_1)
	v_cndmask_b32_e64 v2, v2, v4, s2
	v_add_co_u32 v12, s2, s4, v183
	v_add_co_ci_u32_e64 v13, null, s5, 0, s2
	s_delay_alu instid0(VALU_DEP_3) | instskip(NEXT) | instid1(VALU_DEP_1)
	v_mul_f32_e32 v3, 0x37800000, v2
	v_cndmask_b32_e32 v2, v2, v3, vcc_lo
	v_cmp_class_f32_e64 vcc_lo, v1, 0x260
	s_delay_alu instid0(VALU_DEP_2) | instskip(SKIP_1) | instid1(VALU_DEP_1)
	v_cndmask_b32_e32 v49, v2, v1, vcc_lo
	s_and_b32 vcc_lo, exec_lo, s3
	v_mov_b32_e32 v37, v49
	s_cbranch_vccz .LBB28_2
; %bb.1:
	global_load_b32 v1, v183, s[6:7]
	s_waitcnt vmcnt(0)
	v_add_f32_e32 v37, v49, v1
.LBB28_2:
	global_load_b32 v1, v[12:13], off offset:128
	s_waitcnt vmcnt(0)
	v_mul_f32_e32 v2, 0x3fb8aa3b, v1
	s_delay_alu instid0(VALU_DEP_1) | instskip(SKIP_2) | instid1(VALU_DEP_2)
	v_cmp_gt_f32_e32 vcc_lo, 0xc2fc0000, v2
	v_cndmask_b32_e64 v3, 0, 0x42800000, vcc_lo
	v_cndmask_b32_e64 v2, 1.0, 0x1f800000, vcc_lo
	v_fmac_f32_e32 v3, 0x3fb8aa3b, v1
	s_delay_alu instid0(VALU_DEP_1) | instskip(SKIP_2) | instid1(VALU_DEP_1)
	v_exp_f32_e32 v3, v3
	s_waitcnt_depctr 0xfff
	v_fma_f32 v2, v3, v2, 1.0
	v_cmp_gt_f32_e32 vcc_lo, 0x800000, v2
	v_cndmask_b32_e64 v3, 1.0, 0x4f800000, vcc_lo
	s_delay_alu instid0(VALU_DEP_1) | instskip(SKIP_2) | instid1(VALU_DEP_3)
	v_mul_f32_e32 v2, v2, v3
	v_cndmask_b32_e64 v3, 0, 0x42000000, vcc_lo
	v_cmp_lt_f32_e32 vcc_lo, 0x41a00000, v1
	v_log_f32_e32 v2, v2
	s_waitcnt_depctr 0xfff
	v_sub_f32_e32 v2, v2, v3
	s_delay_alu instid0(VALU_DEP_1) | instskip(NEXT) | instid1(VALU_DEP_1)
	v_mul_f32_e32 v2, 0x3f317218, v2
	v_cndmask_b32_e32 v1, v2, v1, vcc_lo
	s_delay_alu instid0(VALU_DEP_1) | instskip(SKIP_1) | instid1(VALU_DEP_2)
	v_mul_f32_e32 v2, 0x4f800000, v1
	v_cmp_gt_f32_e32 vcc_lo, 0xf800000, v1
	v_cndmask_b32_e32 v2, v1, v2, vcc_lo
	s_delay_alu instid0(VALU_DEP_1) | instskip(SKIP_3) | instid1(VALU_DEP_2)
	v_sqrt_f32_e32 v1, v2
	s_waitcnt_depctr 0xfff
	v_add_nc_u32_e32 v3, -1, v1
	v_add_nc_u32_e32 v4, 1, v1
	v_fma_f32 v5, -v3, v1, v2
	s_delay_alu instid0(VALU_DEP_2) | instskip(NEXT) | instid1(VALU_DEP_2)
	v_fma_f32 v6, -v4, v1, v2
	v_cmp_ge_f32_e64 s2, 0, v5
	s_delay_alu instid0(VALU_DEP_1) | instskip(NEXT) | instid1(VALU_DEP_3)
	v_cndmask_b32_e64 v1, v1, v3, s2
	v_cmp_lt_f32_e64 s2, 0, v6
	s_delay_alu instid0(VALU_DEP_1) | instskip(NEXT) | instid1(VALU_DEP_1)
	v_cndmask_b32_e64 v1, v1, v4, s2
	v_mul_f32_e32 v3, 0x37800000, v1
	s_delay_alu instid0(VALU_DEP_1) | instskip(SKIP_2) | instid1(VALU_DEP_3)
	v_cndmask_b32_e32 v3, v1, v3, vcc_lo
	v_cmp_class_f32_e64 vcc_lo, v2, 0x260
	v_cndmask_b32_e64 v1, 0, 1, s3
	v_cndmask_b32_e32 v2, v3, v2, vcc_lo
	s_and_not1_b32 vcc_lo, exec_lo, s3
	s_delay_alu instid0(VALU_DEP_1)
	v_mov_b32_e32 v38, v2
	s_cbranch_vccnz .LBB28_4
; %bb.3:
	global_load_b32 v3, v183, s[6:7] offset:128
	s_waitcnt vmcnt(0)
	v_add_f32_e32 v38, v2, v3
.LBB28_4:
	global_load_b32 v3, v[12:13], off offset:256
	s_waitcnt vmcnt(0)
	v_mul_f32_e32 v4, 0x3fb8aa3b, v3
	s_delay_alu instid0(VALU_DEP_1) | instskip(SKIP_2) | instid1(VALU_DEP_2)
	v_cmp_gt_f32_e32 vcc_lo, 0xc2fc0000, v4
	v_cndmask_b32_e64 v5, 0, 0x42800000, vcc_lo
	v_cndmask_b32_e64 v4, 1.0, 0x1f800000, vcc_lo
	v_fmac_f32_e32 v5, 0x3fb8aa3b, v3
	s_delay_alu instid0(VALU_DEP_1) | instskip(SKIP_2) | instid1(VALU_DEP_1)
	v_exp_f32_e32 v5, v5
	s_waitcnt_depctr 0xfff
	v_fma_f32 v4, v5, v4, 1.0
	v_cmp_gt_f32_e32 vcc_lo, 0x800000, v4
	v_cndmask_b32_e64 v5, 1.0, 0x4f800000, vcc_lo
	s_delay_alu instid0(VALU_DEP_1) | instskip(SKIP_2) | instid1(VALU_DEP_3)
	v_mul_f32_e32 v4, v4, v5
	v_cndmask_b32_e64 v5, 0, 0x42000000, vcc_lo
	v_cmp_lt_f32_e32 vcc_lo, 0x41a00000, v3
	v_log_f32_e32 v4, v4
	s_waitcnt_depctr 0xfff
	v_sub_f32_e32 v4, v4, v5
	s_delay_alu instid0(VALU_DEP_1) | instskip(NEXT) | instid1(VALU_DEP_1)
	v_mul_f32_e32 v4, 0x3f317218, v4
	v_cndmask_b32_e32 v3, v4, v3, vcc_lo
	s_delay_alu instid0(VALU_DEP_1) | instskip(SKIP_1) | instid1(VALU_DEP_2)
	v_mul_f32_e32 v4, 0x4f800000, v3
	v_cmp_gt_f32_e32 vcc_lo, 0xf800000, v3
	v_cndmask_b32_e32 v3, v3, v4, vcc_lo
	s_delay_alu instid0(VALU_DEP_1) | instskip(SKIP_3) | instid1(VALU_DEP_2)
	v_sqrt_f32_e32 v4, v3
	s_waitcnt_depctr 0xfff
	v_add_nc_u32_e32 v5, -1, v4
	v_add_nc_u32_e32 v6, 1, v4
	v_fma_f32 v7, -v5, v4, v3
	s_delay_alu instid0(VALU_DEP_2) | instskip(NEXT) | instid1(VALU_DEP_2)
	v_fma_f32 v8, -v6, v4, v3
	v_cmp_ge_f32_e64 s2, 0, v7
	s_delay_alu instid0(VALU_DEP_1) | instskip(NEXT) | instid1(VALU_DEP_3)
	v_cndmask_b32_e64 v4, v4, v5, s2
	v_cmp_lt_f32_e64 s2, 0, v8
	s_delay_alu instid0(VALU_DEP_1) | instskip(NEXT) | instid1(VALU_DEP_1)
	v_cndmask_b32_e64 v4, v4, v6, s2
	v_mul_f32_e32 v5, 0x37800000, v4
	s_delay_alu instid0(VALU_DEP_1) | instskip(SKIP_1) | instid1(VALU_DEP_2)
	v_cndmask_b32_e32 v4, v4, v5, vcc_lo
	v_cmp_class_f32_e64 vcc_lo, v3, 0x260
	v_cndmask_b32_e32 v3, v4, v3, vcc_lo
	v_cmp_ne_u32_e32 vcc_lo, 1, v1
	s_delay_alu instid0(VALU_DEP_2)
	v_mov_b32_e32 v39, v3
	s_cbranch_vccnz .LBB28_6
; %bb.5:
	global_load_b32 v4, v183, s[6:7] offset:256
	s_waitcnt vmcnt(0)
	v_add_f32_e32 v39, v3, v4
.LBB28_6:
	global_load_b32 v4, v[12:13], off offset:384
	s_waitcnt vmcnt(0)
	v_mul_f32_e32 v5, 0x3fb8aa3b, v4
	s_delay_alu instid0(VALU_DEP_1) | instskip(SKIP_2) | instid1(VALU_DEP_2)
	v_cmp_gt_f32_e32 vcc_lo, 0xc2fc0000, v5
	v_cndmask_b32_e64 v6, 0, 0x42800000, vcc_lo
	v_cndmask_b32_e64 v5, 1.0, 0x1f800000, vcc_lo
	v_fmac_f32_e32 v6, 0x3fb8aa3b, v4
	s_delay_alu instid0(VALU_DEP_1) | instskip(SKIP_2) | instid1(VALU_DEP_1)
	v_exp_f32_e32 v6, v6
	s_waitcnt_depctr 0xfff
	v_fma_f32 v5, v6, v5, 1.0
	v_cmp_gt_f32_e32 vcc_lo, 0x800000, v5
	v_cndmask_b32_e64 v6, 1.0, 0x4f800000, vcc_lo
	s_delay_alu instid0(VALU_DEP_1) | instskip(SKIP_2) | instid1(VALU_DEP_3)
	v_mul_f32_e32 v5, v5, v6
	v_cndmask_b32_e64 v6, 0, 0x42000000, vcc_lo
	v_cmp_lt_f32_e32 vcc_lo, 0x41a00000, v4
	v_log_f32_e32 v5, v5
	s_waitcnt_depctr 0xfff
	v_sub_f32_e32 v5, v5, v6
	s_delay_alu instid0(VALU_DEP_1) | instskip(NEXT) | instid1(VALU_DEP_1)
	v_mul_f32_e32 v5, 0x3f317218, v5
	v_cndmask_b32_e32 v4, v5, v4, vcc_lo
	s_delay_alu instid0(VALU_DEP_1) | instskip(SKIP_1) | instid1(VALU_DEP_2)
	v_mul_f32_e32 v5, 0x4f800000, v4
	v_cmp_gt_f32_e32 vcc_lo, 0xf800000, v4
	v_cndmask_b32_e32 v4, v4, v5, vcc_lo
	s_delay_alu instid0(VALU_DEP_1) | instskip(SKIP_3) | instid1(VALU_DEP_2)
	v_sqrt_f32_e32 v5, v4
	s_waitcnt_depctr 0xfff
	v_add_nc_u32_e32 v6, -1, v5
	v_add_nc_u32_e32 v7, 1, v5
	v_fma_f32 v8, -v6, v5, v4
	s_delay_alu instid0(VALU_DEP_2) | instskip(NEXT) | instid1(VALU_DEP_2)
	v_fma_f32 v9, -v7, v5, v4
	v_cmp_ge_f32_e64 s2, 0, v8
	s_delay_alu instid0(VALU_DEP_1) | instskip(NEXT) | instid1(VALU_DEP_3)
	v_cndmask_b32_e64 v5, v5, v6, s2
	v_cmp_lt_f32_e64 s2, 0, v9
	s_delay_alu instid0(VALU_DEP_1) | instskip(NEXT) | instid1(VALU_DEP_1)
	v_cndmask_b32_e64 v5, v5, v7, s2
	v_mul_f32_e32 v6, 0x37800000, v5
	s_delay_alu instid0(VALU_DEP_1) | instskip(SKIP_1) | instid1(VALU_DEP_2)
	v_cndmask_b32_e32 v5, v5, v6, vcc_lo
	v_cmp_class_f32_e64 vcc_lo, v4, 0x260
	v_cndmask_b32_e32 v4, v5, v4, vcc_lo
	v_cmp_ne_u32_e32 vcc_lo, 1, v1
	s_delay_alu instid0(VALU_DEP_2)
	;; [unrolled: 56-line block ×9, first 2 shown]
	v_mov_b32_e32 v47, v11
	s_cbranch_vccnz .LBB28_22
; %bb.21:
	global_load_b32 v14, v183, s[6:7] offset:1280
	s_waitcnt vmcnt(0)
	v_add_f32_e32 v47, v11, v14
.LBB28_22:
	global_load_b32 v12, v[12:13], off offset:1408
	s_waitcnt vmcnt(0)
	v_mul_f32_e32 v13, 0x3fb8aa3b, v12
	s_delay_alu instid0(VALU_DEP_1) | instskip(SKIP_2) | instid1(VALU_DEP_2)
	v_cmp_gt_f32_e32 vcc_lo, 0xc2fc0000, v13
	v_cndmask_b32_e64 v14, 0, 0x42800000, vcc_lo
	v_cndmask_b32_e64 v13, 1.0, 0x1f800000, vcc_lo
	v_fmac_f32_e32 v14, 0x3fb8aa3b, v12
	s_delay_alu instid0(VALU_DEP_1) | instskip(SKIP_2) | instid1(VALU_DEP_1)
	v_exp_f32_e32 v14, v14
	s_waitcnt_depctr 0xfff
	v_fma_f32 v13, v14, v13, 1.0
	v_cmp_gt_f32_e32 vcc_lo, 0x800000, v13
	v_cndmask_b32_e64 v14, 1.0, 0x4f800000, vcc_lo
	s_delay_alu instid0(VALU_DEP_1) | instskip(SKIP_2) | instid1(VALU_DEP_3)
	v_mul_f32_e32 v13, v13, v14
	v_cndmask_b32_e64 v14, 0, 0x42000000, vcc_lo
	v_cmp_lt_f32_e32 vcc_lo, 0x41a00000, v12
	v_log_f32_e32 v13, v13
	s_waitcnt_depctr 0xfff
	v_sub_f32_e32 v13, v13, v14
	s_delay_alu instid0(VALU_DEP_1) | instskip(NEXT) | instid1(VALU_DEP_1)
	v_mul_f32_e32 v13, 0x3f317218, v13
	v_cndmask_b32_e32 v12, v13, v12, vcc_lo
	s_delay_alu instid0(VALU_DEP_1) | instskip(SKIP_1) | instid1(VALU_DEP_2)
	v_mul_f32_e32 v13, 0x4f800000, v12
	v_cmp_gt_f32_e32 vcc_lo, 0xf800000, v12
	v_cndmask_b32_e32 v12, v12, v13, vcc_lo
	s_delay_alu instid0(VALU_DEP_1) | instskip(SKIP_3) | instid1(VALU_DEP_2)
	v_sqrt_f32_e32 v13, v12
	s_waitcnt_depctr 0xfff
	v_add_nc_u32_e32 v14, -1, v13
	v_add_nc_u32_e32 v15, 1, v13
	v_fma_f32 v16, -v14, v13, v12
	s_delay_alu instid0(VALU_DEP_2) | instskip(NEXT) | instid1(VALU_DEP_2)
	v_fma_f32 v17, -v15, v13, v12
	v_cmp_ge_f32_e64 s2, 0, v16
	s_delay_alu instid0(VALU_DEP_1) | instskip(NEXT) | instid1(VALU_DEP_3)
	v_cndmask_b32_e64 v13, v13, v14, s2
	v_cmp_lt_f32_e64 s2, 0, v17
	s_delay_alu instid0(VALU_DEP_1) | instskip(NEXT) | instid1(VALU_DEP_1)
	v_cndmask_b32_e64 v13, v13, v15, s2
	v_mul_f32_e32 v14, 0x37800000, v13
	s_delay_alu instid0(VALU_DEP_1) | instskip(SKIP_1) | instid1(VALU_DEP_2)
	v_cndmask_b32_e32 v13, v13, v14, vcc_lo
	v_cmp_class_f32_e64 vcc_lo, v12, 0x260
	v_cndmask_b32_e32 v12, v13, v12, vcc_lo
	v_cmp_ne_u32_e32 vcc_lo, 1, v1
	s_cbranch_vccnz .LBB28_24
; %bb.23:
	global_load_b32 v1, v183, s[6:7] offset:1408
	s_waitcnt vmcnt(0)
	v_add_f32_e32 v48, v12, v1
	s_branch .LBB28_25
.LBB28_24:
	s_delay_alu instid0(VALU_DEP_2)
	v_mov_b32_e32 v48, v12
.LBB28_25:
	v_dual_mov_b32 v13, v37 :: v_dual_add_nc_u32 v26, 32, v0
	v_dual_mov_b32 v14, v38 :: v_dual_add_nc_u32 v27, 64, v0
	;; [unrolled: 1-line block ×11, first 2 shown]
	v_dual_mov_b32 v24, v48 :: v_dual_mov_b32 v1, v49
	v_mov_b32_e32 v25, v0
	s_mov_b32 s2, exec_lo
	v_cmpx_lt_f32_e32 v37, v38
	s_xor_b32 s2, exec_lo, s2
; %bb.26:
	v_dual_mov_b32 v13, v38 :: v_dual_mov_b32 v14, v37
	v_dual_mov_b32 v15, v39 :: v_dual_mov_b32 v16, v40
	;; [unrolled: 1-line block ×8, first 2 shown]
	v_mov_b32_e32 v26, v0
; %bb.27:
	s_or_b32 exec_lo, exec_lo, s2
	v_dual_mov_b32 v37, v15 :: v_dual_mov_b32 v86, v12
	v_dual_mov_b32 v75, v1 :: v_dual_mov_b32 v146, v12
	;; [unrolled: 1-line block ×36, first 2 shown]
	s_clause 0x8
	scratch_store_b128 off, v[1:4], off
	scratch_store_b128 off, v[5:8], off offset:16
	scratch_store_b128 off, v[9:12], off offset:32
	;; [unrolled: 1-line block ×8, first 2 shown]
	v_dual_mov_b32 v73, v35 :: v_dual_mov_b32 v72, v34
	v_dual_mov_b32 v71, v33 :: v_dual_mov_b32 v70, v32
	;; [unrolled: 1-line block ×30, first 2 shown]
	v_mov_b32_e32 v159, v25
	s_clause 0x2
	scratch_store_b128 off, v[25:28], off offset:144
	scratch_store_b128 off, v[29:32], off offset:160
	scratch_store_b128 off, v[33:36], off offset:176
	s_mov_b32 s2, exec_lo
	v_dual_mov_b32 v182, v36 :: v_dual_mov_b32 v181, v35
	v_dual_mov_b32 v180, v34 :: v_dual_mov_b32 v179, v33
	;; [unrolled: 1-line block ×6, first 2 shown]
	v_cmpx_lt_f32_e32 v38, v15
	s_cbranch_execz .LBB28_29
; %bb.28:
	v_dual_mov_b32 v37, v38 :: v_dual_mov_b32 v182, v36
	v_dual_mov_b32 v173, v27 :: v_dual_mov_b32 v172, v26
	;; [unrolled: 1-line block ×14, first 2 shown]
	v_mov_b32_e32 v125, v2
	v_dual_mov_b32 v159, v171 :: v_dual_mov_b32 v162, v174
	v_dual_mov_b32 v161, v173 :: v_dual_mov_b32 v164, v176
	;; [unrolled: 1-line block ×6, first 2 shown]
	v_mov_b32_e32 v162, v28
	s_clause 0x2
	scratch_store_b128 off, v[123:126], off offset:96
	scratch_store_b128 off, v[127:130], off offset:112
	;; [unrolled: 1-line block ×3, first 2 shown]
	v_dual_mov_b32 v14, v15 :: v_dual_mov_b32 v15, v38
	v_dual_mov_b32 v43, v164 :: v_dual_mov_b32 v44, v165
	;; [unrolled: 1-line block ×7, first 2 shown]
	s_clause 0x2
	scratch_store_b128 off, v[38:41], off offset:144
	scratch_store_b128 off, v[42:45], off offset:160
	;; [unrolled: 1-line block ×3, first 2 shown]
	v_mov_b32_e32 v163, v29
	v_mov_b32_e32 v27, v26
	v_dual_mov_b32 v43, v128 :: v_dual_mov_b32 v44, v129
	v_dual_mov_b32 v47, v132 :: v_dual_mov_b32 v38, v123
	;; [unrolled: 1-line block ×5, first 2 shown]
	v_mov_b32_e32 v41, v126
	v_dual_mov_b32 v147, v159 :: v_dual_mov_b32 v154, v166
	v_mov_b32_e32 v148, v160
	v_mov_b32_e32 v150, v162
	s_clause 0x2
	scratch_store_b128 off, v[38:41], off offset:48
	scratch_store_b128 off, v[42:45], off offset:64
	;; [unrolled: 1-line block ×3, first 2 shown]
	v_dual_mov_b32 v127, v5 :: v_dual_mov_b32 v152, v164
	v_dual_mov_b32 v153, v165 :: v_dual_mov_b32 v152, v30
	;; [unrolled: 1-line block ×7, first 2 shown]
	v_mov_b32_e32 v41, v126
	v_dual_mov_b32 v128, v6 :: v_dual_mov_b32 v99, v147
	v_dual_mov_b32 v105, v153 :: v_dual_mov_b32 v106, v154
	;; [unrolled: 1-line block ×3, first 2 shown]
	v_mov_b32_e32 v105, v31
	v_dual_mov_b32 v103, v151 :: v_dual_mov_b32 v104, v152
	v_dual_mov_b32 v107, v155 :: v_dual_mov_b32 v108, v156
	;; [unrolled: 1-line block ×6, first 2 shown]
	v_mov_b32_e32 v60, v132
	v_dual_mov_b32 v52, v124 :: v_dual_mov_b32 v55, v127
	v_dual_mov_b32 v58, v130 :: v_dual_mov_b32 v61, v133
	v_mov_b32_e32 v57, v7
	v_dual_mov_b32 v53, v125 :: v_dual_mov_b32 v56, v128
	s_clause 0x2
	scratch_store_b128 off, v[38:41], off
	scratch_store_b128 off, v[42:45], off offset:16
	scratch_store_b128 off, v[46:49], off offset:32
	v_dual_mov_b32 v39, v99 :: v_dual_mov_b32 v44, v104
	v_dual_mov_b32 v45, v105 :: v_dual_mov_b32 v50, v110
	;; [unrolled: 1-line block ×6, first 2 shown]
	v_mov_b32_e32 v122, v62
	v_dual_mov_b32 v46, v32 :: v_dual_mov_b32 v111, v51
	v_dual_mov_b32 v121, v61 :: v_dual_mov_b32 v120, v60
	;; [unrolled: 1-line block ×6, first 2 shown]
	v_mov_b32_e32 v118, v8
	v_dual_mov_b32 v98, v50 :: v_dual_mov_b32 v97, v49
	v_dual_mov_b32 v96, v48 :: v_dual_mov_b32 v95, v47
	;; [unrolled: 1-line block ×7, first 2 shown]
	v_mov_b32_e32 v135, v111
	v_dual_mov_b32 v3, v2 :: v_dual_mov_b32 v144, v120
	v_dual_mov_b32 v145, v121 :: v_dual_mov_b32 v142, v118
	;; [unrolled: 1-line block ×5, first 2 shown]
	v_mov_b32_e32 v137, v113
	v_mov_b32_e32 v143, v9
	v_dual_mov_b32 v63, v87 :: v_dual_mov_b32 v70, v94
	v_mov_b32_e32 v64, v88
	v_mov_b32_e32 v66, v90
	v_dual_mov_b32 v68, v92 :: v_dual_mov_b32 v75, v135
	v_dual_mov_b32 v80, v140 :: v_dual_mov_b32 v65, v89
	;; [unrolled: 1-line block ×13, first 2 shown]
.LBB28_29:
	s_or_b32 exec_lo, exec_lo, s2
	v_mov_b32_e32 v1, v16
	s_mov_b32 s2, exec_lo
	v_cmpx_lt_f32_e32 v37, v16
	s_cbranch_execz .LBB28_31
; %bb.30:
	s_clause 0x2
	scratch_load_b128 v[38:41], off, off offset:96
	scratch_load_b128 v[42:45], off, off offset:112
	;; [unrolled: 1-line block ×3, first 2 shown]
	v_mov_b32_e32 v173, v28
	v_dual_mov_b32 v15, v16 :: v_dual_mov_b32 v16, v37
	v_dual_mov_b32 v1, v37 :: v_dual_mov_b32 v28, v27
	s_waitcnt vmcnt(2)
	v_dual_mov_b32 v124, v39 :: v_dual_mov_b32 v123, v38
	s_waitcnt vmcnt(0)
	v_dual_mov_b32 v134, v49 :: v_dual_mov_b32 v125, v4
	v_dual_mov_b32 v159, v171 :: v_dual_mov_b32 v160, v172
	v_mov_b32_e32 v162, v174
	v_dual_mov_b32 v38, v123 :: v_dual_mov_b32 v39, v124
	v_dual_mov_b32 v161, v173 :: v_dual_mov_b32 v164, v176
	;; [unrolled: 1-line block ×10, first 2 shown]
	v_mov_b32_e32 v126, v41
	s_clause 0x2
	scratch_store_b128 off, v[38:41], off offset:96
	scratch_store_b128 off, v[42:45], off offset:112
	;; [unrolled: 1-line block ×3, first 2 shown]
	v_dual_mov_b32 v43, v164 :: v_dual_mov_b32 v38, v159
	v_dual_mov_b32 v41, v162 :: v_dual_mov_b32 v126, v3
	v_dual_mov_b32 v45, v166 :: v_dual_mov_b32 v44, v165
	v_dual_mov_b32 v47, v168 :: v_dual_mov_b32 v46, v167
	v_dual_mov_b32 v49, v170 :: v_dual_mov_b32 v48, v169
	v_dual_mov_b32 v39, v160 :: v_dual_mov_b32 v40, v161
	v_dual_mov_b32 v163, v29 :: v_dual_mov_b32 v4, v3
	s_clause 0x2
	scratch_store_b128 off, v[38:41], off offset:144
	scratch_store_b128 off, v[42:45], off offset:160
	;; [unrolled: 1-line block ×3, first 2 shown]
	v_dual_mov_b32 v43, v128 :: v_dual_mov_b32 v46, v131
	v_dual_mov_b32 v49, v134 :: v_dual_mov_b32 v38, v123
	v_dual_mov_b32 v44, v129 :: v_dual_mov_b32 v45, v130
	v_dual_mov_b32 v47, v132 :: v_dual_mov_b32 v48, v133
	v_dual_mov_b32 v39, v124 :: v_dual_mov_b32 v40, v125
	v_mov_b32_e32 v41, v126
	v_dual_mov_b32 v147, v159 :: v_dual_mov_b32 v152, v164
	v_dual_mov_b32 v148, v160 :: v_dual_mov_b32 v127, v5
	v_dual_mov_b32 v150, v162 :: v_dual_mov_b32 v149, v161
	v_dual_mov_b32 v154, v166 :: v_dual_mov_b32 v153, v165
	v_dual_mov_b32 v158, v170 :: v_dual_mov_b32 v155, v167
	v_dual_mov_b32 v152, v30 :: v_dual_mov_b32 v151, v163
	v_dual_mov_b32 v156, v168 :: v_dual_mov_b32 v157, v169
	s_clause 0x2
	scratch_store_b128 off, v[38:41], off offset:48
	scratch_store_b128 off, v[42:45], off offset:64
	;; [unrolled: 1-line block ×3, first 2 shown]
	v_dual_mov_b32 v38, v123 :: v_dual_mov_b32 v39, v124
	v_dual_mov_b32 v40, v125 :: v_dual_mov_b32 v41, v126
	v_mov_b32_e32 v42, v127
	v_dual_mov_b32 v128, v6 :: v_dual_mov_b32 v99, v147
	v_dual_mov_b32 v106, v154 :: v_dual_mov_b32 v107, v155
	;; [unrolled: 1-line block ×3, first 2 shown]
	v_mov_b32_e32 v52, v124
	v_dual_mov_b32 v100, v148 :: v_dual_mov_b32 v101, v149
	v_dual_mov_b32 v102, v150 :: v_dual_mov_b32 v103, v151
	;; [unrolled: 1-line block ×6, first 2 shown]
	v_mov_b32_e32 v105, v31
	v_dual_mov_b32 v57, v129 :: v_dual_mov_b32 v58, v130
	v_dual_mov_b32 v53, v125 :: v_dual_mov_b32 v54, v126
	;; [unrolled: 1-line block ×3, first 2 shown]
	v_mov_b32_e32 v57, v7
	s_clause 0x2
	scratch_store_b128 off, v[38:41], off
	scratch_store_b128 off, v[42:45], off offset:16
	scratch_store_b128 off, v[46:49], off offset:32
	v_dual_mov_b32 v39, v99 :: v_dual_mov_b32 v42, v102
	v_dual_mov_b32 v47, v107 :: v_dual_mov_b32 v50, v110
	;; [unrolled: 1-line block ×9, first 2 shown]
	v_mov_b32_e32 v46, v32
	v_dual_mov_b32 v118, v58 :: v_dual_mov_b32 v117, v57
	v_dual_mov_b32 v116, v56 :: v_dual_mov_b32 v115, v55
	;; [unrolled: 1-line block ×3, first 2 shown]
	v_mov_b32_e32 v118, v8
	v_dual_mov_b32 v98, v50 :: v_dual_mov_b32 v95, v47
	v_dual_mov_b32 v97, v49 :: v_dual_mov_b32 v90, v42
	;; [unrolled: 1-line block ×9, first 2 shown]
	v_mov_b32_e32 v89, v41
	v_dual_mov_b32 v143, v9 :: v_dual_mov_b32 v142, v118
	v_dual_mov_b32 v141, v117 :: v_dual_mov_b32 v140, v116
	;; [unrolled: 1-line block ×3, first 2 shown]
	v_mov_b32_e32 v137, v113
	v_dual_mov_b32 v63, v87 :: v_dual_mov_b32 v66, v90
	v_dual_mov_b32 v64, v88 :: v_dual_mov_b32 v75, v135
	;; [unrolled: 1-line block ×13, first 2 shown]
	v_mov_b32_e32 v82, v142
	v_dual_mov_b32 v84, v10 :: v_dual_mov_b32 v85, v11
	v_mov_b32_e32 v86, v12
.LBB28_31:
	s_or_b32 exec_lo, exec_lo, s2
	v_mov_b32_e32 v2, v17
	s_mov_b32 s2, exec_lo
	v_cmpx_lt_f32_e32 v1, v17
	s_cbranch_execz .LBB28_33
; %bb.32:
	s_clause 0x2
	scratch_load_b128 v[37:40], off, off offset:96
	scratch_load_b128 v[41:44], off, off offset:112
	scratch_load_b128 v[45:48], off, off offset:128
	v_mov_b32_e32 v174, v29
	v_dual_mov_b32 v2, v1 :: v_dual_mov_b32 v29, v28
	v_mov_b32_e32 v16, v17
	s_waitcnt vmcnt(0)
	v_dual_mov_b32 v74, v48 :: v_dual_mov_b32 v71, v45
	v_dual_mov_b32 v68, v42 :: v_dual_mov_b32 v65, v39
	;; [unrolled: 1-line block ×18, first 2 shown]
	v_mov_b32_e32 v125, v65
	v_mov_b32_e32 v127, v4
	v_dual_mov_b32 v147, v159 :: v_dual_mov_b32 v148, v160
	v_dual_mov_b32 v153, v165 :: v_dual_mov_b32 v156, v168
	;; [unrolled: 1-line block ×3, first 2 shown]
	v_mov_b32_e32 v157, v169
	v_dual_mov_b32 v151, v163 :: v_dual_mov_b32 v154, v166
	v_dual_mov_b32 v149, v161 :: v_dual_mov_b32 v152, v164
	;; [unrolled: 1-line block ×4, first 2 shown]
	v_mov_b32_e32 v38, v124
	v_dual_mov_b32 v152, v30 :: v_dual_mov_b32 v45, v131
	v_dual_mov_b32 v46, v132 :: v_dual_mov_b32 v47, v133
	;; [unrolled: 1-line block ×13, first 2 shown]
	s_clause 0x2
	scratch_store_b128 off, v[37:40], off
	scratch_store_b128 off, v[41:44], off offset:16
	scratch_store_b128 off, v[45:48], off offset:32
	v_dual_mov_b32 v57, v129 :: v_dual_mov_b32 v60, v132
	v_dual_mov_b32 v55, v127 :: v_dual_mov_b32 v58, v130
	v_mov_b32_e32 v61, v133
	v_mov_b32_e32 v57, v7
	v_dual_mov_b32 v39, v99 :: v_dual_mov_b32 v44, v104
	v_dual_mov_b32 v17, v1 :: v_dual_mov_b32 v52, v124
	;; [unrolled: 1-line block ×8, first 2 shown]
	v_mov_b32_e32 v122, v62
	v_dual_mov_b32 v46, v32 :: v_dual_mov_b32 v119, v59
	v_dual_mov_b32 v118, v58 :: v_dual_mov_b32 v111, v51
	;; [unrolled: 1-line block ×6, first 2 shown]
	v_mov_b32_e32 v112, v52
	v_dual_mov_b32 v98, v50 :: v_dual_mov_b32 v97, v49
	v_dual_mov_b32 v96, v48 :: v_dual_mov_b32 v95, v47
	;; [unrolled: 1-line block ×8, first 2 shown]
	v_mov_b32_e32 v135, v111
	v_dual_mov_b32 v145, v121 :: v_dual_mov_b32 v144, v120
	v_dual_mov_b32 v141, v117 :: v_dual_mov_b32 v140, v116
	v_mov_b32_e32 v143, v9
	v_dual_mov_b32 v139, v115 :: v_dual_mov_b32 v138, v114
	v_dual_mov_b32 v137, v113 :: v_dual_mov_b32 v136, v112
	s_clause 0x5
	scratch_store_b128 off, v[63:66], off offset:48
	scratch_store_b128 off, v[67:70], off offset:64
	;; [unrolled: 1-line block ×6, first 2 shown]
	v_dual_mov_b32 v63, v87 :: v_dual_mov_b32 v68, v92
	v_mov_b32_e32 v64, v88
	v_dual_mov_b32 v66, v90 :: v_dual_mov_b32 v75, v135
	v_dual_mov_b32 v78, v138 :: v_dual_mov_b32 v67, v91
	;; [unrolled: 1-line block ×14, first 2 shown]
.LBB28_33:
	s_or_b32 exec_lo, exec_lo, s2
	v_mov_b32_e32 v1, v18
	s_mov_b32 s2, exec_lo
	v_cmpx_lt_f32_e32 v2, v18
	s_cbranch_execz .LBB28_35
; %bb.34:
	s_clause 0x2
	scratch_load_b128 v[37:40], off, off offset:144
	scratch_load_b128 v[41:44], off, off offset:160
	;; [unrolled: 1-line block ×3, first 2 shown]
	s_waitcnt vmcnt(0)
	v_dual_mov_b32 v17, v18 :: v_dual_mov_b32 v170, v48
	v_dual_mov_b32 v169, v47 :: v_dual_mov_b32 v162, v40
	;; [unrolled: 1-line block ×6, first 2 shown]
	s_clause 0x2
	scratch_load_b128 v[37:40], off, off offset:48
	scratch_load_b128 v[41:44], off, off offset:64
	;; [unrolled: 1-line block ×3, first 2 shown]
	v_dual_mov_b32 v163, v30 :: v_dual_mov_b32 v30, v29
	s_waitcnt vmcnt(0)
	v_mov_b32_e32 v74, v48
	v_dual_mov_b32 v66, v40 :: v_dual_mov_b32 v63, v37
	v_dual_mov_b32 v73, v47 :: v_dual_mov_b32 v64, v38
	v_dual_mov_b32 v147, v159 :: v_dual_mov_b32 v68, v42
	v_dual_mov_b32 v65, v39 :: v_dual_mov_b32 v72, v46
	v_dual_mov_b32 v71, v45 :: v_dual_mov_b32 v70, v44
	v_mov_b32_e32 v69, v43
	v_dual_mov_b32 v67, v6 :: v_dual_mov_b32 v148, v160
	v_dual_mov_b32 v134, v74 :: v_dual_mov_b32 v133, v73
	;; [unrolled: 1-line block ×12, first 2 shown]
	v_mov_b32_e32 v128, v5
	v_dual_mov_b32 v152, v29 :: v_dual_mov_b32 v51, v123
	v_dual_mov_b32 v99, v147 :: v_dual_mov_b32 v108, v156
	;; [unrolled: 1-line block ×13, first 2 shown]
	v_mov_b32_e32 v57, v7
	v_dual_mov_b32 v39, v99 :: v_dual_mov_b32 v40, v100
	v_dual_mov_b32 v49, v109 :: v_dual_mov_b32 v50, v110
	s_delay_alu instid0(VALU_DEP_4)
	v_dual_mov_b32 v122, v62 :: v_dual_mov_b32 v121, v61
	v_dual_mov_b32 v43, v103 :: v_dual_mov_b32 v44, v104
	;; [unrolled: 1-line block ×10, first 2 shown]
	v_mov_b32_e32 v46, v32
	v_mov_b32_e32 v118, v8
	v_dual_mov_b32 v98, v50 :: v_dual_mov_b32 v93, v45
	v_dual_mov_b32 v97, v49 :: v_dual_mov_b32 v146, v122
	;; [unrolled: 1-line block ×13, first 2 shown]
	v_mov_b32_e32 v137, v113
	s_clause 0x2
	scratch_store_b128 off, v[63:66], off
	scratch_store_b128 off, v[67:70], off offset:16
	scratch_store_b128 off, v[71:74], off offset:32
	v_dual_mov_b32 v63, v87 :: v_dual_mov_b32 v66, v90
	v_dual_mov_b32 v75, v135 :: v_dual_mov_b32 v78, v138
	;; [unrolled: 1-line block ×15, first 2 shown]
	v_mov_b32_e32 v86, v12
	v_mov_b32_e32 v6, v5
.LBB28_35:
	s_or_b32 exec_lo, exec_lo, s2
	v_mov_b32_e32 v2, v19
	s_mov_b32 s2, exec_lo
	v_cmpx_lt_f32_e32 v1, v19
	s_cbranch_execz .LBB28_37
; %bb.36:
	s_clause 0x2
	scratch_load_b128 v[37:40], off, off
	scratch_load_b128 v[41:44], off, off offset:16
	scratch_load_b128 v[45:48], off, off offset:32
	v_mov_b32_e32 v164, v31
	v_dual_mov_b32 v2, v1 :: v_dual_mov_b32 v31, v30
	v_mov_b32_e32 v18, v19
	s_waitcnt vmcnt(0)
	v_dual_mov_b32 v134, v48 :: v_dual_mov_b32 v133, v47
	v_dual_mov_b32 v130, v44 :: v_dual_mov_b32 v127, v41
	;; [unrolled: 1-line block ×17, first 2 shown]
	v_mov_b32_e32 v61, v133
	v_mov_b32_e32 v57, v6
	;; [unrolled: 1-line block ×3, first 2 shown]
	v_dual_mov_b32 v62, v134 :: v_dual_mov_b32 v39, v99
	v_dual_mov_b32 v147, v159 :: v_dual_mov_b32 v148, v160
	s_delay_alu instid0(VALU_DEP_2)
	v_dual_mov_b32 v149, v161 :: v_dual_mov_b32 v122, v62
	v_dual_mov_b32 v120, v60 :: v_dual_mov_b32 v49, v109
	v_mov_b32_e32 v50, v110
	v_dual_mov_b32 v40, v100 :: v_dual_mov_b32 v119, v59
	v_dual_mov_b32 v118, v58 :: v_dual_mov_b32 v115, v55
	;; [unrolled: 1-line block ×6, first 2 shown]
	v_mov_b32_e32 v121, v61
	v_dual_mov_b32 v117, v57 :: v_dual_mov_b32 v116, v56
	v_dual_mov_b32 v113, v53 :: v_dual_mov_b32 v112, v52
	;; [unrolled: 1-line block ×3, first 2 shown]
	v_mov_b32_e32 v46, v32
	v_mov_b32_e32 v118, v8
	v_dual_mov_b32 v98, v50 :: v_dual_mov_b32 v95, v47
	v_dual_mov_b32 v97, v49 :: v_dual_mov_b32 v146, v122
	;; [unrolled: 1-line block ×4, first 2 shown]
	v_mov_b32_e32 v87, v39
	v_dual_mov_b32 v143, v9 :: v_dual_mov_b32 v96, v48
	v_dual_mov_b32 v93, v45 :: v_dual_mov_b32 v88, v40
	;; [unrolled: 1-line block ×8, first 2 shown]
	v_mov_b32_e32 v137, v113
	v_dual_mov_b32 v75, v135 :: v_dual_mov_b32 v78, v138
	v_dual_mov_b32 v63, v87 :: v_dual_mov_b32 v66, v90
	;; [unrolled: 1-line block ×14, first 2 shown]
	v_mov_b32_e32 v74, v36
	v_dual_mov_b32 v84, v10 :: v_dual_mov_b32 v85, v11
	v_dual_mov_b32 v150, v162 :: v_dual_mov_b32 v151, v163
	;; [unrolled: 1-line block ×5, first 2 shown]
	v_mov_b32_e32 v158, v170
	v_mov_b32_e32 v7, v6
.LBB28_37:
	s_or_b32 exec_lo, exec_lo, s2
	v_mov_b32_e32 v1, v20
	s_mov_b32 s2, exec_lo
	v_cmpx_lt_f32_e32 v2, v20
	s_cbranch_execz .LBB28_39
; %bb.38:
	v_mov_b32_e32 v129, v8
	v_mov_b32_e32 v153, v32
	v_dual_mov_b32 v111, v123 :: v_dual_mov_b32 v114, v126
	v_dual_mov_b32 v39, v147 :: v_dual_mov_b32 v40, v148
	;; [unrolled: 1-line block ×10, first 2 shown]
	v_mov_b32_e32 v120, v132
	v_dual_mov_b32 v116, v128 :: v_dual_mov_b32 v121, v133
	v_mov_b32_e32 v46, v31
	v_dual_mov_b32 v119, v131 :: v_dual_mov_b32 v98, v50
	v_dual_mov_b32 v118, v7 :: v_dual_mov_b32 v97, v49
	;; [unrolled: 1-line block ×13, first 2 shown]
	v_mov_b32_e32 v95, v33
	v_dual_mov_b32 v19, v20 :: v_dual_mov_b32 v20, v2
	v_mov_b32_e32 v143, v9
	v_dual_mov_b32 v63, v87 :: v_dual_mov_b32 v68, v92
	v_dual_mov_b32 v64, v88 :: v_dual_mov_b32 v75, v135
	;; [unrolled: 1-line block ×11, first 2 shown]
	v_mov_b32_e32 v70, v94
	v_dual_mov_b32 v66, v90 :: v_dual_mov_b32 v71, v95
	v_dual_mov_b32 v76, v136 :: v_dual_mov_b32 v77, v137
	;; [unrolled: 1-line block ×15, first 2 shown]
	v_mov_b32_e32 v110, v158
	v_dual_mov_b32 v1, v2 :: v_dual_mov_b32 v8, v7
	v_mov_b32_e32 v32, v31
.LBB28_39:
	s_or_b32 exec_lo, exec_lo, s2
	v_mov_b32_e32 v2, v21
	s_mov_b32 s2, exec_lo
	v_cmpx_lt_f32_e32 v1, v21
	s_cbranch_execz .LBB28_41
; %bb.40:
	v_mov_b32_e32 v58, v9
	v_mov_b32_e32 v106, v33
	v_dual_mov_b32 v146, v62 :: v_dual_mov_b32 v143, v59
	v_mov_b32_e32 v87, v99
	s_delay_alu instid0(VALU_DEP_3)
	v_dual_mov_b32 v141, v57 :: v_dual_mov_b32 v94, v106
	v_dual_mov_b32 v95, v107 :: v_dual_mov_b32 v140, v56
	;; [unrolled: 1-line block ×6, first 2 shown]
	v_mov_b32_e32 v95, v32
	v_dual_mov_b32 v143, v8 :: v_dual_mov_b32 v20, v21
	v_dual_mov_b32 v88, v100 :: v_dual_mov_b32 v89, v101
	;; [unrolled: 1-line block ×7, first 2 shown]
	s_delay_alu instid0(VALU_DEP_2)
	v_dual_mov_b32 v75, v135 :: v_dual_mov_b32 v76, v136
	v_dual_mov_b32 v122, v62 :: v_dual_mov_b32 v117, v57
	;; [unrolled: 1-line block ×25, first 2 shown]
	v_mov_b32_e32 v48, v108
	v_dual_mov_b32 v50, v110 :: v_dual_mov_b32 v9, v8
	v_dual_mov_b32 v2, v1 :: v_dual_mov_b32 v33, v32
.LBB28_41:
	s_or_b32 exec_lo, exec_lo, s2
	v_mov_b32_e32 v3, v22
	s_mov_b32 s2, exec_lo
	s_delay_alu instid0(VALU_DEP_2)
	v_cmpx_lt_f32_e32 v2, v22
	s_cbranch_execz .LBB28_43
; %bb.42:
	v_mov_b32_e32 v47, v34
	v_mov_b32_e32 v74, v50
	v_dual_mov_b32 v21, v22 :: v_dual_mov_b32 v72, v48
	v_dual_mov_b32 v72, v33 :: v_dual_mov_b32 v119, v10
	;; [unrolled: 1-line block ×3, first 2 shown]
	v_mov_b32_e32 v78, v114
	v_dual_mov_b32 v22, v2 :: v_dual_mov_b32 v73, v49
	v_dual_mov_b32 v81, v117 :: v_dual_mov_b32 v84, v120
	;; [unrolled: 1-line block ×7, first 2 shown]
	v_mov_b32_e32 v69, v45
	v_dual_mov_b32 v67, v43 :: v_dual_mov_b32 v66, v42
	v_dual_mov_b32 v65, v41 :: v_dual_mov_b32 v64, v40
	;; [unrolled: 1-line block ×18, first 2 shown]
	v_mov_b32_e32 v34, v33
.LBB28_43:
	s_or_b32 exec_lo, exec_lo, s2
	v_mov_b32_e32 v1, v23
	s_mov_b32 s2, exec_lo
	v_cmpx_lt_f32_e32 v3, v23
	s_cbranch_execz .LBB28_45
; %bb.44:
	v_dual_mov_b32 v144, v11 :: v_dual_mov_b32 v145, v10
	v_dual_mov_b32 v96, v35 :: v_dual_mov_b32 v97, v34
	v_mov_b32_e32 v146, v12
	v_mov_b32_e32 v22, v23
	v_dual_mov_b32 v23, v3 :: v_dual_mov_b32 v98, v36
	v_dual_mov_b32 v75, v135 :: v_dual_mov_b32 v84, v144
	v_dual_mov_b32 v63, v87 :: v_dual_mov_b32 v76, v136
	v_mov_b32_e32 v79, v139
	v_dual_mov_b32 v77, v137 :: v_dual_mov_b32 v78, v138
	v_dual_mov_b32 v81, v141 :: v_dual_mov_b32 v80, v140
	;; [unrolled: 1-line block ×10, first 2 shown]
.LBB28_45:
	s_or_b32 exec_lo, exec_lo, s2
	s_delay_alu instid0(VALU_DEP_1)
	v_cmp_lt_f32_e32 vcc_lo, v1, v24
	v_mov_b32_e32 v42, v78
	v_cmp_lt_f32_e64 s2, v13, v14
	v_dual_mov_b32 v40, v76 :: v_dual_mov_b32 v41, v77
	v_dual_cndmask_b32 v12, v24, v1 :: v_dual_mov_b32 v43, v79
	v_dual_cndmask_b32 v23, v23, v24 :: v_dual_cndmask_b32 v50, v86, v85
	s_delay_alu instid0(VALU_DEP_2) | instskip(SKIP_2) | instid1(VALU_DEP_3)
	v_dual_mov_b32 v39, v75 :: v_dual_mov_b32 v24, v12
	v_dual_cndmask_b32 v49, v85, v86 :: v_dual_mov_b32 v44, v80
	v_dual_cndmask_b32 v61, v73, v74 :: v_dual_cndmask_b32 v62, v74, v73
	v_dual_mov_b32 v38, v24 :: v_dual_mov_b32 v35, v21
	v_dual_mov_b32 v37, v23 :: v_dual_mov_b32 v36, v22
	;; [unrolled: 1-line block ×13, first 2 shown]
	s_and_saveexec_b32 s3, s2
	s_delay_alu instid0(SALU_CYCLE_1)
	s_xor_b32 s2, exec_lo, s3
	s_cbranch_execz .LBB28_47
; %bb.46:
	v_dual_mov_b32 v1, v14 :: v_dual_mov_b32 v2, v13
	v_dual_mov_b32 v3, v15 :: v_dual_mov_b32 v4, v16
	;; [unrolled: 1-line block ×6, first 2 shown]
	s_delay_alu instid0(VALU_DEP_2) | instskip(NEXT) | instid1(VALU_DEP_2)
	v_dual_mov_b32 v38, v12 :: v_dual_mov_b32 v35, v9
	v_dual_mov_b32 v36, v10 :: v_dual_mov_b32 v37, v11
	;; [unrolled: 1-line block ×16, first 2 shown]
.LBB28_47:
	s_or_b32 exec_lo, exec_lo, s2
	v_dual_mov_b32 v13, v29 :: v_dual_mov_b32 v122, v50
	v_dual_mov_b32 v15, v39 :: v_dual_mov_b32 v16, v40
	;; [unrolled: 1-line block ×30, first 2 shown]
	v_mov_b32_e32 v135, v39
	s_clause 0x2
	scratch_store_b128 off, v[39:42], off offset:48
	scratch_store_b128 off, v[43:46], off offset:64
	;; [unrolled: 1-line block ×3, first 2 shown]
	v_dual_mov_b32 v1, v51 :: v_dual_mov_b32 v4, v54
	v_dual_mov_b32 v11, v61 :: v_dual_mov_b32 v74, v62
	;; [unrolled: 1-line block ×34, first 2 shown]
	v_mov_b32_e32 v159, v51
	s_mov_b32 s2, exec_lo
	v_dual_mov_b32 v73, v61 :: v_dual_mov_b32 v72, v60
	v_mov_b32_e32 v2, v52
	s_clause 0x2
	scratch_store_b128 off, v[51:54], off
	scratch_store_b128 off, v[55:58], off offset:16
	scratch_store_b128 off, v[59:62], off offset:32
	v_dual_mov_b32 v182, v50 :: v_dual_mov_b32 v181, v49
	v_dual_mov_b32 v180, v48 :: v_dual_mov_b32 v179, v47
	;; [unrolled: 1-line block ×6, first 2 shown]
	v_cmpx_lt_f32_e32 v14, v29
	s_cbranch_execz .LBB28_49
; %bb.48:
	v_dual_mov_b32 v170, v62 :: v_dual_mov_b32 v169, v61
	v_dual_mov_b32 v162, v54 :: v_dual_mov_b32 v161, v53
	;; [unrolled: 1-line block ×7, first 2 shown]
	s_clause 0x2
	scratch_store_b128 off, v[159:162], off
	scratch_store_b128 off, v[163:166], off offset:16
	scratch_store_b128 off, v[167:170], off offset:32
	v_dual_mov_b32 v182, v50 :: v_dual_mov_b32 v181, v49
	v_dual_mov_b32 v172, v40 :: v_dual_mov_b32 v171, v39
	v_dual_mov_b32 v176, v44 :: v_dual_mov_b32 v175, v43
	v_dual_mov_b32 v180, v48 :: v_dual_mov_b32 v179, v47
	v_dual_mov_b32 v174, v42 :: v_dual_mov_b32 v173, v41
	v_dual_mov_b32 v178, v46 :: v_dual_mov_b32 v177, v45
	v_dual_mov_b32 v172, v41 :: v_dual_mov_b32 v173, v40
	v_dual_mov_b32 v162, v54 :: v_dual_mov_b32 v135, v171
	s_delay_alu instid0(VALU_DEP_3)
	v_dual_mov_b32 v140, v176 :: v_dual_mov_b32 v141, v177
	v_dual_mov_b32 v138, v174 :: v_dual_mov_b32 v139, v175
	;; [unrolled: 1-line block ×3, first 2 shown]
	v_mov_b32_e32 v146, v182
	v_dual_mov_b32 v136, v172 :: v_dual_mov_b32 v137, v173
	v_mov_b32_e32 v138, v42
	v_dual_mov_b32 v142, v178 :: v_dual_mov_b32 v143, v179
	v_mov_b32_e32 v53, v52
	v_mov_b32_e32 v139, v43
	;; [unrolled: 1-line block ×3, first 2 shown]
	v_dual_mov_b32 v147, v159 :: v_dual_mov_b32 v148, v160
	v_mov_b32_e32 v151, v163
	v_dual_mov_b32 v149, v161 :: v_dual_mov_b32 v150, v162
	v_dual_mov_b32 v153, v165 :: v_dual_mov_b32 v152, v164
	;; [unrolled: 1-line block ×16, first 2 shown]
	v_mov_b32_e32 v122, v146
	v_dual_mov_b32 v114, v138 :: v_dual_mov_b32 v117, v141
	v_dual_mov_b32 v116, v140 :: v_dual_mov_b32 v119, v143
	;; [unrolled: 1-line block ×14, first 2 shown]
	v_mov_b32_e32 v82, v118
	v_dual_mov_b32 v76, v112 :: v_dual_mov_b32 v81, v117
	v_dual_mov_b32 v80, v116 :: v_dual_mov_b32 v85, v121
	;; [unrolled: 1-line block ×6, first 2 shown]
	v_mov_b32_e32 v81, v45
	v_dual_mov_b32 v65, v89 :: v_dual_mov_b32 v72, v96
	v_mov_b32_e32 v29, v14
	s_delay_alu instid0(VALU_DEP_3)
	v_dual_mov_b32 v110, v86 :: v_dual_mov_b32 v105, v81
	v_dual_mov_b32 v70, v94 :: v_dual_mov_b32 v73, v97
	;; [unrolled: 1-line block ×11, first 2 shown]
	v_mov_b32_e32 v106, v46
	s_clause 0x2
	scratch_store_b128 off, v[1:4], off offset:48
	scratch_store_b128 off, v[5:8], off offset:64
	;; [unrolled: 1-line block ×3, first 2 shown]
	v_dual_mov_b32 v100, v76 :: v_dual_mov_b32 v1, v63
	v_dual_mov_b32 v10, v72 :: v_dual_mov_b32 v3, v65
	;; [unrolled: 1-line block ×16, first 2 shown]
	v_mov_b32_e32 v26, v50
.LBB28_49:
	s_or_b32 exec_lo, exec_lo, s2
	v_mov_b32_e32 v14, v30
	s_mov_b32 s2, exec_lo
	v_cmpx_lt_f32_e32 v13, v30
	s_cbranch_execz .LBB28_51
; %bb.50:
	s_clause 0x2
	scratch_load_b128 v[1:4], off, off
	scratch_load_b128 v[5:8], off, off offset:16
	scratch_load_b128 v[9:12], off, off offset:32
	v_mov_b32_e32 v161, v54
	v_dual_mov_b32 v29, v30 :: v_dual_mov_b32 v30, v13
	v_mov_b32_e32 v54, v53
	s_waitcnt vmcnt(0)
	v_dual_mov_b32 v170, v12 :: v_dual_mov_b32 v169, v11
	v_mov_b32_e32 v162, v4
	v_dual_mov_b32 v162, v53 :: v_dual_mov_b32 v173, v42
	v_dual_mov_b32 v160, v2 :: v_dual_mov_b32 v135, v171
	;; [unrolled: 1-line block ×4, first 2 shown]
	v_mov_b32_e32 v165, v7
	s_delay_alu instid0(VALU_DEP_3)
	v_dual_mov_b32 v1, v159 :: v_dual_mov_b32 v2, v160
	v_dual_mov_b32 v136, v172 :: v_dual_mov_b32 v3, v161
	v_mov_b32_e32 v138, v174
	v_dual_mov_b32 v164, v6 :: v_dual_mov_b32 v163, v5
	s_clause 0x2
	scratch_store_b128 off, v[1:4], off
	scratch_store_b128 off, v[5:8], off offset:16
	scratch_store_b128 off, v[9:12], off offset:32
	v_dual_mov_b32 v137, v173 :: v_dual_mov_b32 v140, v176
	v_dual_mov_b32 v138, v41 :: v_dual_mov_b32 v147, v159
	;; [unrolled: 1-line block ×12, first 2 shown]
	v_mov_b32_e32 v139, v43
	v_dual_mov_b32 v123, v147 :: v_dual_mov_b32 v126, v150
	v_dual_mov_b32 v124, v148 :: v_dual_mov_b32 v111, v135
	;; [unrolled: 1-line block ×3, first 2 shown]
	s_delay_alu instid0(VALU_DEP_4)
	v_dual_mov_b32 v128, v152 :: v_dual_mov_b32 v115, v139
	v_dual_mov_b32 v116, v140 :: v_dual_mov_b32 v121, v145
	;; [unrolled: 1-line block ×6, first 2 shown]
	v_mov_b32_e32 v128, v56
	v_dual_mov_b32 v116, v44 :: v_dual_mov_b32 v87, v123
	v_dual_mov_b32 v113, v137 :: v_dual_mov_b32 v114, v138
	;; [unrolled: 1-line block ×17, first 2 shown]
	v_mov_b32_e32 v81, v45
	v_dual_mov_b32 v7, v141 :: v_dual_mov_b32 v8, v142
	v_dual_mov_b32 v9, v143 :: v_dual_mov_b32 v10, v144
	;; [unrolled: 1-line block ×5, first 2 shown]
	v_mov_b32_e32 v64, v88
	v_dual_mov_b32 v110, v86 :: v_dual_mov_b32 v109, v85
	v_dual_mov_b32 v65, v89 :: v_dual_mov_b32 v68, v92
	;; [unrolled: 1-line block ×10, first 2 shown]
	v_mov_b32_e32 v102, v78
	v_dual_mov_b32 v42, v41 :: v_dual_mov_b32 v103, v79
	v_mov_b32_e32 v100, v76
	v_mov_b32_e32 v106, v46
	s_clause 0x2
	scratch_store_b128 off, v[1:4], off offset:48
	scratch_store_b128 off, v[5:8], off offset:64
	;; [unrolled: 1-line block ×3, first 2 shown]
	v_mov_b32_e32 v1, v63
	v_mov_b32_e32 v5, v67
	v_dual_mov_b32 v3, v65 :: v_dual_mov_b32 v12, v74
	v_dual_mov_b32 v15, v99 :: v_dual_mov_b32 v4, v66
	;; [unrolled: 1-line block ×14, first 2 shown]
	v_mov_b32_e32 v24, v48
	v_mov_b32_e32 v26, v50
.LBB28_51:
	s_or_b32 exec_lo, exec_lo, s2
	v_mov_b32_e32 v13, v31
	s_mov_b32 s2, exec_lo
	v_cmpx_lt_f32_e32 v14, v31
	s_cbranch_execz .LBB28_53
; %bb.52:
	s_clause 0x2
	scratch_load_b128 v[1:4], off, off
	scratch_load_b128 v[5:8], off, off offset:16
	scratch_load_b128 v[9:12], off, off offset:32
	v_dual_mov_b32 v30, v31 :: v_dual_mov_b32 v31, v14
	v_dual_mov_b32 v13, v14 :: v_dual_mov_b32 v162, v55
	v_mov_b32_e32 v55, v54
	s_waitcnt vmcnt(2)
	v_dual_mov_b32 v161, v3 :: v_dual_mov_b32 v160, v2
	s_waitcnt vmcnt(0)
	v_dual_mov_b32 v159, v1 :: v_dual_mov_b32 v170, v12
	v_dual_mov_b32 v169, v11 :: v_dual_mov_b32 v168, v10
	;; [unrolled: 1-line block ×8, first 2 shown]
	s_delay_alu instid0(VALU_DEP_4)
	v_dual_mov_b32 v151, v163 :: v_dual_mov_b32 v156, v168
	v_dual_mov_b32 v157, v169 :: v_dual_mov_b32 v136, v172
	;; [unrolled: 1-line block ×8, first 2 shown]
	v_mov_b32_e32 v145, v181
	v_mov_b32_e32 v139, v42
	;; [unrolled: 1-line block ×3, first 2 shown]
	v_dual_mov_b32 v146, v182 :: v_dual_mov_b32 v123, v147
	v_dual_mov_b32 v111, v135 :: v_dual_mov_b32 v112, v136
	;; [unrolled: 1-line block ×3, first 2 shown]
	s_delay_alu instid0(VALU_DEP_4)
	v_dual_mov_b32 v124, v148 :: v_dual_mov_b32 v127, v151
	v_dual_mov_b32 v128, v152 :: v_dual_mov_b32 v131, v155
	;; [unrolled: 1-line block ×9, first 2 shown]
	v_mov_b32_e32 v120, v144
	v_dual_mov_b32 v116, v44 :: v_dual_mov_b32 v87, v123
	v_mov_b32_e32 v114, v138
	v_dual_mov_b32 v98, v134 :: v_dual_mov_b32 v75, v111
	v_dual_mov_b32 v88, v124 :: v_dual_mov_b32 v89, v125
	;; [unrolled: 1-line block ×3, first 2 shown]
	v_mov_b32_e32 v86, v122
	v_dual_mov_b32 v90, v126 :: v_dual_mov_b32 v91, v127
	v_dual_mov_b32 v92, v128 :: v_dual_mov_b32 v93, v129
	;; [unrolled: 1-line block ×8, first 2 shown]
	v_mov_b32_e32 v79, v115
	v_mov_b32_e32 v81, v45
	v_dual_mov_b32 v63, v87 :: v_dual_mov_b32 v66, v90
	v_dual_mov_b32 v64, v88 :: v_dual_mov_b32 v73, v97
	;; [unrolled: 1-line block ×9, first 2 shown]
	v_mov_b32_e32 v108, v84
	v_dual_mov_b32 v106, v46 :: v_dual_mov_b32 v1, v63
	v_dual_mov_b32 v105, v81 :: v_dual_mov_b32 v104, v80
	;; [unrolled: 1-line block ×19, first 2 shown]
	v_mov_b32_e32 v26, v50
	v_mov_b32_e32 v43, v42
	s_clause 0x2
	scratch_store_b128 off, v[171:174], off offset:48
	scratch_store_b128 off, v[175:178], off offset:64
	;; [unrolled: 1-line block ×3, first 2 shown]
.LBB28_53:
	s_or_b32 exec_lo, exec_lo, s2
	v_mov_b32_e32 v14, v32
	s_mov_b32 s2, exec_lo
	v_cmpx_lt_f32_e32 v13, v32
	s_cbranch_execz .LBB28_55
; %bb.54:
	s_clause 0x2
	scratch_load_b128 v[1:4], off, off offset:48
	scratch_load_b128 v[5:8], off, off offset:64
	;; [unrolled: 1-line block ×3, first 2 shown]
	v_dual_mov_b32 v163, v56 :: v_dual_mov_b32 v14, v13
	v_dual_mov_b32 v56, v55 :: v_dual_mov_b32 v31, v32
	s_waitcnt vmcnt(2)
	v_dual_mov_b32 v138, v4 :: v_dual_mov_b32 v137, v3
	s_waitcnt vmcnt(0)
	v_dual_mov_b32 v146, v12 :: v_dual_mov_b32 v145, v11
	v_dual_mov_b32 v136, v2 :: v_dual_mov_b32 v135, v1
	;; [unrolled: 1-line block ×17, first 2 shown]
	v_mov_b32_e32 v120, v144
	v_mov_b32_e32 v116, v43
	v_dual_mov_b32 v87, v123 :: v_dual_mov_b32 v88, v124
	v_dual_mov_b32 v89, v125 :: v_dual_mov_b32 v98, v134
	;; [unrolled: 1-line block ×12, first 2 shown]
	v_mov_b32_e32 v79, v115
	v_mov_b32_e32 v81, v45
	v_dual_mov_b32 v63, v87 :: v_dual_mov_b32 v66, v90
	v_dual_mov_b32 v64, v88 :: v_dual_mov_b32 v73, v97
	;; [unrolled: 1-line block ×8, first 2 shown]
	v_mov_b32_e32 v70, v58
	v_dual_mov_b32 v106, v46 :: v_dual_mov_b32 v65, v89
	v_dual_mov_b32 v68, v92 :: v_dual_mov_b32 v105, v81
	;; [unrolled: 1-line block ×4, first 2 shown]
	v_mov_b32_e32 v100, v76
	v_dual_mov_b32 v32, v13 :: v_dual_mov_b32 v1, v63
	v_dual_mov_b32 v12, v74 :: v_dual_mov_b32 v15, v99
	v_mov_b32_e32 v26, v110
	v_dual_mov_b32 v8, v70 :: v_dual_mov_b32 v9, v71
	v_dual_mov_b32 v10, v72 :: v_dual_mov_b32 v11, v73
	;; [unrolled: 1-line block ×20, first 2 shown]
	v_mov_b32_e32 v44, v43
.LBB28_55:
	s_or_b32 exec_lo, exec_lo, s2
	v_mov_b32_e32 v13, v33
	s_mov_b32 s2, exec_lo
	v_cmpx_lt_f32_e32 v14, v33
	s_cbranch_execz .LBB28_57
; %bb.56:
	v_mov_b32_e32 v140, v45
	v_dual_mov_b32 v152, v57 :: v_dual_mov_b32 v75, v135
	v_dual_mov_b32 v87, v147 :: v_dual_mov_b32 v90, v150
	;; [unrolled: 1-line block ×3, first 2 shown]
	s_delay_alu instid0(VALU_DEP_3)
	v_dual_mov_b32 v92, v152 :: v_dual_mov_b32 v93, v153
	v_dual_mov_b32 v76, v136 :: v_dual_mov_b32 v79, v139
	;; [unrolled: 1-line block ×6, first 2 shown]
	v_mov_b32_e32 v93, v56
	v_dual_mov_b32 v84, v144 :: v_dual_mov_b32 v63, v87
	v_dual_mov_b32 v78, v138 :: v_dual_mov_b32 v81, v141
	;; [unrolled: 1-line block ×5, first 2 shown]
	s_delay_alu instid0(VALU_DEP_3) | instskip(SKIP_1) | instid1(VALU_DEP_4)
	v_dual_mov_b32 v110, v86 :: v_dual_mov_b32 v109, v85
	v_dual_mov_b32 v100, v76 :: v_dual_mov_b32 v99, v75
	;; [unrolled: 1-line block ×11, first 2 shown]
	v_mov_b32_e32 v106, v46
	v_dual_mov_b32 v70, v58 :: v_dual_mov_b32 v15, v99
	v_dual_mov_b32 v1, v63 :: v_dual_mov_b32 v24, v108
	;; [unrolled: 1-line block ×3, first 2 shown]
	s_delay_alu instid0(VALU_DEP_3)
	v_dual_mov_b32 v8, v70 :: v_dual_mov_b32 v9, v71
	v_dual_mov_b32 v10, v72 :: v_dual_mov_b32 v11, v73
	;; [unrolled: 1-line block ×26, first 2 shown]
	v_mov_b32_e32 v13, v14
	v_dual_mov_b32 v134, v158 :: v_dual_mov_b32 v45, v44
	v_mov_b32_e32 v57, v56
.LBB28_57:
	s_or_b32 exec_lo, exec_lo, s2
	v_mov_b32_e32 v14, v34
	s_mov_b32 s2, exec_lo
	v_cmpx_lt_f32_e32 v13, v34
	s_cbranch_execz .LBB28_59
; %bb.58:
	v_mov_b32_e32 v129, v58
	v_dual_mov_b32 v63, v123 :: v_dual_mov_b32 v70, v130
	v_dual_mov_b32 v70, v57 :: v_dual_mov_b32 v71, v131
	;; [unrolled: 1-line block ×22, first 2 shown]
	v_mov_b32_e32 v34, v13
	v_dual_mov_b32 v3, v65 :: v_dual_mov_b32 v4, v66
	v_dual_mov_b32 v5, v67 :: v_dual_mov_b32 v6, v68
	;; [unrolled: 1-line block ×20, first 2 shown]
	v_mov_b32_e32 v14, v13
	v_mov_b32_e32 v46, v45
	;; [unrolled: 1-line block ×3, first 2 shown]
.LBB28_59:
	s_or_b32 exec_lo, exec_lo, s2
	v_mov_b32_e32 v13, v35
	s_mov_b32 s2, exec_lo
	v_cmpx_lt_f32_e32 v14, v35
	s_cbranch_execz .LBB28_61
; %bb.60:
	v_mov_b32_e32 v94, v59
	v_dual_mov_b32 v34, v35 :: v_dual_mov_b32 v35, v14
	v_mov_b32_e32 v82, v47
	v_dual_mov_b32 v1, v87 :: v_dual_mov_b32 v2, v88
	v_dual_mov_b32 v10, v96 :: v_dual_mov_b32 v7, v93
	;; [unrolled: 1-line block ×13, first 2 shown]
	v_mov_b32_e32 v5, v91
	v_mov_b32_e32 v9, v58
	v_dual_mov_b32 v12, v62 :: v_dual_mov_b32 v17, v77
	v_dual_mov_b32 v16, v76 :: v_dual_mov_b32 v19, v79
	;; [unrolled: 1-line block ×14, first 2 shown]
	v_mov_b32_e32 v47, v46
	v_mov_b32_e32 v59, v58
	v_mov_b32_e32 v74, v98
.LBB28_61:
	s_or_b32 exec_lo, exec_lo, s2
	v_mov_b32_e32 v39, v36
	s_mov_b32 s2, exec_lo
	v_cmpx_lt_f32_e32 v13, v36
	s_cbranch_execz .LBB28_63
; %bb.62:
	v_dual_mov_b32 v71, v60 :: v_dual_mov_b32 v72, v59
	v_dual_mov_b32 v73, v61 :: v_dual_mov_b32 v108, v47
	;; [unrolled: 1-line block ×17, first 2 shown]
	v_mov_b32_e32 v39, v13
.LBB28_63:
	s_or_b32 exec_lo, exec_lo, s2
	s_delay_alu instid0(VALU_DEP_1)
	v_cmp_lt_f32_e32 vcc_lo, v39, v37
	v_dual_mov_b32 v40, v28 :: v_dual_mov_b32 v43, v31
	v_dual_mov_b32 v42, v30 :: v_dual_mov_b32 v45, v33
	v_dual_cndmask_b32 v13, v25, v24 :: v_dual_cndmask_b32 v24, v24, v25
	v_dual_cndmask_b32 v14, v11, v10 :: v_dual_cndmask_b32 v49, v37, v39
	v_dual_cndmask_b32 v10, v10, v11 :: v_dual_mov_b32 v39, v27
	v_dual_cndmask_b32 v48, v36, v37 :: v_dual_mov_b32 v41, v29
	v_dual_mov_b32 v44, v32 :: v_dual_mov_b32 v47, v35
	v_mov_b32_e32 v46, v34
	v_mov_b32_e32 v50, v38
	s_mov_b32 s2, exec_lo
	v_cmpx_lt_f32_e32 v27, v28
	s_cbranch_execz .LBB28_65
; %bb.64:
	v_dual_mov_b32 v28, v40 :: v_dual_mov_b32 v29, v39
	v_dual_mov_b32 v38, v49 :: v_dual_mov_b32 v39, v50
	;; [unrolled: 1-line block ×7, first 2 shown]
	v_mov_b32_e32 v11, v15
	v_swap_b32 v15, v16
	s_delay_alu instid0(VALU_DEP_4)
	v_mov_b32_e32 v48, v37
	v_swap_b32 v1, v2
	v_dual_mov_b32 v49, v38 :: v_dual_mov_b32 v46, v35
	v_dual_mov_b32 v47, v36 :: v_dual_mov_b32 v44, v33
	v_dual_mov_b32 v45, v34 :: v_dual_mov_b32 v42, v31
	v_dual_mov_b32 v43, v32 :: v_dual_mov_b32 v40, v29
	v_mov_b32_e32 v41, v30
	v_dual_mov_b32 v39, v28 :: v_dual_mov_b32 v28, v27
.LBB28_65:
	s_or_b32 exec_lo, exec_lo, s2
	v_mov_b32_e32 v11, v14
	v_dual_mov_b32 v25, v13 :: v_dual_mov_b32 v62, v12
	v_dual_mov_b32 v74, v26 :: v_dual_mov_b32 v63, v15
	v_mov_b32_e32 v86, v26
	v_dual_mov_b32 v72, v24 :: v_dual_mov_b32 v75, v15
	v_dual_mov_b32 v110, v26 :: v_dual_mov_b32 v53, v3
	;; [unrolled: 1-line block ×61, first 2 shown]
	v_mov_b32_e32 v149, v3
	v_mov_b32_e32 v147, v1
	;; [unrolled: 1-line block ×3, first 2 shown]
	s_mov_b32 s2, exec_lo
	v_dual_mov_b32 v85, v25 :: v_dual_mov_b32 v84, v24
	v_dual_mov_b32 v83, v23 :: v_dual_mov_b32 v82, v22
	s_clause 0x2
	scratch_store_b128 off, v[1:4], off
	scratch_store_b128 off, v[5:8], off offset:16
	scratch_store_b128 off, v[9:12], off offset:32
	v_cmpx_lt_f32_e32 v28, v41
	s_cbranch_execz .LBB28_67
; %bb.66:
	v_dual_mov_b32 v158, v12 :: v_dual_mov_b32 v157, v11
	v_dual_mov_b32 v150, v4 :: v_dual_mov_b32 v149, v3
	;; [unrolled: 1-line block ×7, first 2 shown]
	s_clause 0x2
	scratch_store_b128 off, v[147:150], off
	scratch_store_b128 off, v[151:154], off offset:16
	scratch_store_b128 off, v[155:158], off offset:32
	v_dual_mov_b32 v182, v26 :: v_dual_mov_b32 v181, v25
	v_dual_mov_b32 v172, v16 :: v_dual_mov_b32 v171, v15
	;; [unrolled: 1-line block ×8, first 2 shown]
	s_delay_alu instid0(VALU_DEP_4) | instskip(SKIP_1) | instid1(VALU_DEP_4)
	v_dual_mov_b32 v160, v172 :: v_dual_mov_b32 v161, v173
	v_dual_mov_b32 v162, v174 :: v_dual_mov_b32 v163, v175
	;; [unrolled: 1-line block ×4, first 2 shown]
	v_mov_b32_e32 v170, v182
	v_dual_mov_b32 v166, v178 :: v_dual_mov_b32 v167, v179
	v_mov_b32_e32 v162, v18
	v_dual_mov_b32 v40, v41 :: v_dual_mov_b32 v41, v28
	v_mov_b32_e32 v3, v2
	v_mov_b32_e32 v17, v16
	;; [unrolled: 1-line block ×3, first 2 shown]
	v_dual_mov_b32 v137, v149 :: v_dual_mov_b32 v144, v156
	v_dual_mov_b32 v123, v159 :: v_dual_mov_b32 v136, v148
	;; [unrolled: 1-line block ×12, first 2 shown]
	v_mov_b32_e32 v133, v169
	v_dual_mov_b32 v111, v135 :: v_dual_mov_b32 v112, v136
	v_dual_mov_b32 v99, v123 :: v_dual_mov_b32 v100, v124
	;; [unrolled: 1-line block ×12, first 2 shown]
	v_mov_b32_e32 v104, v20
	v_dual_mov_b32 v116, v6 :: v_dual_mov_b32 v75, v99
	v_mov_b32_e32 v87, v111
	v_dual_mov_b32 v93, v117 :: v_dual_mov_b32 v78, v102
	s_delay_alu instid0(VALU_DEP_3)
	v_dual_mov_b32 v81, v105 :: v_dual_mov_b32 v92, v116
	v_dual_mov_b32 v90, v114 :: v_dual_mov_b32 v91, v115
	;; [unrolled: 1-line block ×11, first 2 shown]
	v_mov_b32_e32 v51, v87
	v_dual_mov_b32 v63, v75 :: v_dual_mov_b32 v66, v78
	v_dual_mov_b32 v55, v91 :: v_dual_mov_b32 v58, v94
	;; [unrolled: 1-line block ×13, first 2 shown]
	v_mov_b32_e32 v60, v10
	v_dual_mov_b32 v61, v14 :: v_dual_mov_b32 v62, v12
	v_dual_mov_b32 v70, v22 :: v_dual_mov_b32 v71, v23
	;; [unrolled: 1-line block ×3, first 2 shown]
	v_mov_b32_e32 v74, v26
.LBB28_67:
	s_or_b32 exec_lo, exec_lo, s2
	v_mov_b32_e32 v1, v42
	v_cmp_lt_f32_e32 vcc_lo, v11, v42
	s_mov_b32 s2, exec_lo
	s_clause 0x2
	scratch_load_b128 v[27:30], off, off
	scratch_load_b128 v[31:34], off, off offset:16
	scratch_load_b128 v[35:38], off, off offset:32
	s_and_b32 s3, s2, vcc_lo
	s_delay_alu instid0(SALU_CYCLE_1)
	s_mov_b32 exec_lo, s3
	s_cbranch_execz .LBB28_69
; %bb.68:
	v_mov_b32_e32 v173, v18
	s_waitcnt vmcnt(2)
	v_mov_b32_e32 v29, v4
	v_dual_mov_b32 v159, v171 :: v_dual_mov_b32 v162, v174
	s_waitcnt vmcnt(0)
	v_dual_mov_b32 v158, v38 :: v_dual_mov_b32 v157, v37
	v_dual_mov_b32 v156, v36 :: v_dual_mov_b32 v147, v27
	;; [unrolled: 1-line block ×6, first 2 shown]
	v_mov_b32_e32 v168, v180
	v_dual_mov_b32 v164, v176 :: v_dual_mov_b32 v165, v177
	v_dual_mov_b32 v170, v182 :: v_dual_mov_b32 v155, v35
	;; [unrolled: 1-line block ×4, first 2 shown]
	v_mov_b32_e32 v162, v17
	v_dual_mov_b32 v169, v181 :: v_dual_mov_b32 v150, v3
	v_dual_mov_b32 v123, v159 :: v_dual_mov_b32 v124, v160
	;; [unrolled: 1-line block ×3, first 2 shown]
	s_delay_alu instid0(VALU_DEP_3)
	v_dual_mov_b32 v137, v149 :: v_dual_mov_b32 v138, v150
	v_dual_mov_b32 v139, v151 :: v_dual_mov_b32 v140, v152
	;; [unrolled: 1-line block ×10, first 2 shown]
	v_mov_b32_e32 v127, v19
	v_mov_b32_e32 v139, v5
	v_dual_mov_b32 v99, v123 :: v_dual_mov_b32 v100, v124
	v_dual_mov_b32 v111, v135 :: v_dual_mov_b32 v114, v138
	v_dual_mov_b32 v112, v136 :: v_dual_mov_b32 v113, v137
	v_dual_mov_b32 v116, v140 :: v_dual_mov_b32 v117, v141
	v_mov_b32_e32 v120, v144
	v_dual_mov_b32 v104, v128 :: v_dual_mov_b32 v105, v129
	v_dual_mov_b32 v110, v134 :: v_dual_mov_b32 v115, v139
	;; [unrolled: 1-line block ×22, first 2 shown]
	v_mov_b32_e32 v93, v7
	v_dual_mov_b32 v63, v75 :: v_dual_mov_b32 v68, v80
	v_dual_mov_b32 v64, v76 :: v_dual_mov_b32 v51, v87
	;; [unrolled: 1-line block ×3, first 2 shown]
	s_delay_alu instid0(VALU_DEP_4)
	v_dual_mov_b32 v58, v94 :: v_dual_mov_b32 v57, v93
	v_dual_mov_b32 v60, v96 :: v_dual_mov_b32 v59, v95
	;; [unrolled: 1-line block ×8, first 2 shown]
	v_mov_b32_e32 v60, v10
	v_dual_mov_b32 v52, v88 :: v_dual_mov_b32 v53, v89
	v_dual_mov_b32 v56, v92 :: v_dual_mov_b32 v59, v9
	;; [unrolled: 1-line block ×3, first 2 shown]
	v_mov_b32_e32 v72, v24
	v_dual_mov_b32 v70, v22 :: v_dual_mov_b32 v71, v23
	v_dual_mov_b32 v73, v13 :: v_dual_mov_b32 v74, v26
	;; [unrolled: 1-line block ×3, first 2 shown]
	v_mov_b32_e32 v4, v3
.LBB28_69:
	s_or_b32 exec_lo, exec_lo, s2
	v_mov_b32_e32 v2, v43
	s_mov_b32 s2, exec_lo
	v_cmpx_lt_f32_e32 v1, v43
	s_cbranch_execz .LBB28_71
; %bb.70:
	v_mov_b32_e32 v174, v19
	s_waitcnt vmcnt(2)
	v_dual_mov_b32 v30, v5 :: v_dual_mov_b32 v123, v171
	s_waitcnt vmcnt(0)
	v_dual_mov_b32 v146, v38 :: v_dual_mov_b32 v143, v35
	v_dual_mov_b32 v145, v37 :: v_dual_mov_b32 v142, v34
	s_delay_alu instid0(VALU_DEP_3)
	v_dual_mov_b32 v139, v31 :: v_dual_mov_b32 v138, v30
	v_dual_mov_b32 v135, v27 :: v_dual_mov_b32 v124, v172
	v_dual_mov_b32 v127, v175 :: v_dual_mov_b32 v140, v32
	v_dual_mov_b32 v137, v29 :: v_dual_mov_b32 v128, v176
	v_dual_mov_b32 v131, v179 :: v_dual_mov_b32 v132, v180
	v_mov_b32_e32 v127, v18
	v_dual_mov_b32 v134, v182 :: v_dual_mov_b32 v139, v4
	v_dual_mov_b32 v144, v36 :: v_dual_mov_b32 v141, v33
	;; [unrolled: 1-line block ×5, first 2 shown]
	s_delay_alu instid0(VALU_DEP_3)
	v_dual_mov_b32 v111, v135 :: v_dual_mov_b32 v112, v136
	v_dual_mov_b32 v99, v123 :: v_dual_mov_b32 v100, v124
	v_dual_mov_b32 v115, v139 :: v_dual_mov_b32 v116, v140
	v_dual_mov_b32 v103, v127 :: v_dual_mov_b32 v104, v128
	v_dual_mov_b32 v113, v137 :: v_dual_mov_b32 v114, v138
	v_dual_mov_b32 v117, v141 :: v_dual_mov_b32 v118, v142
	v_dual_mov_b32 v119, v143 :: v_dual_mov_b32 v120, v144
	v_dual_mov_b32 v121, v145 :: v_dual_mov_b32 v122, v146
	v_dual_mov_b32 v101, v125 :: v_dual_mov_b32 v102, v126
	v_dual_mov_b32 v105, v129 :: v_dual_mov_b32 v106, v130
	v_dual_mov_b32 v107, v131 :: v_dual_mov_b32 v108, v132
	v_dual_mov_b32 v109, v133 :: v_dual_mov_b32 v110, v134
	v_mov_b32_e32 v104, v20
	v_dual_mov_b32 v116, v6 :: v_dual_mov_b32 v75, v99
	v_mov_b32_e32 v87, v111
	v_dual_mov_b32 v93, v117 :: v_dual_mov_b32 v78, v102
	s_delay_alu instid0(VALU_DEP_3)
	v_dual_mov_b32 v81, v105 :: v_dual_mov_b32 v92, v116
	v_dual_mov_b32 v80, v104 :: v_dual_mov_b32 v83, v107
	;; [unrolled: 1-line block ×11, first 2 shown]
	v_mov_b32_e32 v63, v75
	s_delay_alu instid0(VALU_DEP_4)
	v_dual_mov_b32 v51, v87 :: v_dual_mov_b32 v52, v88
	v_dual_mov_b32 v71, v83 :: v_dual_mov_b32 v72, v84
	;; [unrolled: 1-line block ×14, first 2 shown]
	v_mov_b32_e32 v68, v80
	v_dual_mov_b32 v58, v8 :: v_dual_mov_b32 v59, v9
	v_dual_mov_b32 v60, v10 :: v_dual_mov_b32 v71, v23
	;; [unrolled: 1-line block ×16, first 2 shown]
	v_mov_b32_e32 v2, v1
.LBB28_71:
	s_or_b32 exec_lo, exec_lo, s2
	v_mov_b32_e32 v1, v44
	s_mov_b32 s2, exec_lo
	s_delay_alu instid0(VALU_DEP_2)
	v_cmpx_lt_f32_e32 v2, v44
	s_cbranch_execz .LBB28_73
; %bb.72:
	v_mov_b32_e32 v163, v20
	v_mov_b32_e32 v151, v6
	v_dual_mov_b32 v99, v159 :: v_dual_mov_b32 v100, v160
	v_dual_mov_b32 v111, v147 :: v_dual_mov_b32 v112, v148
	;; [unrolled: 1-line block ×10, first 2 shown]
	v_mov_b32_e32 v108, v168
	v_dual_mov_b32 v104, v164 :: v_dual_mov_b32 v107, v167
	v_mov_b32_e32 v116, v5
	v_dual_mov_b32 v109, v169 :: v_dual_mov_b32 v104, v19
	v_dual_mov_b32 v87, v111 :: v_dual_mov_b32 v88, v112
	;; [unrolled: 1-line block ×13, first 2 shown]
	v_mov_b32_e32 v93, v7
	v_dual_mov_b32 v43, v44 :: v_dual_mov_b32 v44, v2
	v_mov_b32_e32 v81, v21
	v_dual_mov_b32 v51, v87 :: v_dual_mov_b32 v56, v92
	v_dual_mov_b32 v52, v88 :: v_dual_mov_b32 v63, v75
	v_dual_mov_b32 v68, v80 :: v_dual_mov_b32 v53, v89
	v_dual_mov_b32 v58, v94 :: v_dual_mov_b32 v55, v91
	v_dual_mov_b32 v60, v96 :: v_dual_mov_b32 v57, v93
	v_dual_mov_b32 v62, v98 :: v_dual_mov_b32 v59, v95
	v_dual_mov_b32 v64, v76 :: v_dual_mov_b32 v61, v97
	v_dual_mov_b32 v66, v78 :: v_dual_mov_b32 v65, v77
	v_dual_mov_b32 v70, v82 :: v_dual_mov_b32 v67, v79
	v_dual_mov_b32 v72, v84 :: v_dual_mov_b32 v69, v81
	v_dual_mov_b32 v74, v86 :: v_dual_mov_b32 v71, v83
	v_dual_mov_b32 v58, v8 :: v_dual_mov_b32 v73, v85
	v_dual_mov_b32 v60, v10 :: v_dual_mov_b32 v123, v159
	v_dual_mov_b32 v124, v160 :: v_dual_mov_b32 v135, v147
	v_mov_b32_e32 v136, v148
	v_dual_mov_b32 v54, v90 :: v_dual_mov_b32 v59, v9
	v_dual_mov_b32 v62, v12 :: v_dual_mov_b32 v61, v14
	v_mov_b32_e32 v72, v24
	v_dual_mov_b32 v70, v22 :: v_dual_mov_b32 v71, v23
	v_dual_mov_b32 v73, v13 :: v_dual_mov_b32 v74, v26
	;; [unrolled: 1-line block ×13, first 2 shown]
	v_mov_b32_e32 v6, v5
.LBB28_73:
	s_or_b32 exec_lo, exec_lo, s2
	v_mov_b32_e32 v2, v45
	s_mov_b32 s2, exec_lo
	v_cmpx_lt_f32_e32 v1, v45
	s_cbranch_execz .LBB28_75
; %bb.74:
	v_mov_b32_e32 v140, v7
	v_dual_mov_b32 v128, v21 :: v_dual_mov_b32 v87, v135
	v_mov_b32_e32 v93, v141
	v_mov_b32_e32 v93, v6
	;; [unrolled: 1-line block ×3, first 2 shown]
	v_dual_mov_b32 v92, v140 :: v_dual_mov_b32 v95, v143
	v_dual_mov_b32 v96, v144 :: v_dual_mov_b32 v97, v145
	;; [unrolled: 1-line block ×42, first 2 shown]
	v_mov_b32_e32 v2, v1
.LBB28_75:
	s_or_b32 exec_lo, exec_lo, s2
	v_mov_b32_e32 v1, v46
	s_mov_b32 s2, exec_lo
	s_delay_alu instid0(VALU_DEP_2)
	v_cmpx_lt_f32_e32 v2, v46
	s_cbranch_execz .LBB28_77
; %bb.76:
	v_mov_b32_e32 v117, v8
	v_mov_b32_e32 v45, v46
	v_mov_b32_e32 v46, v2
	v_mov_b32_e32 v105, v22
	v_dual_mov_b32 v51, v111 :: v_dual_mov_b32 v54, v114
	v_dual_mov_b32 v56, v116 :: v_dual_mov_b32 v63, v99
	v_dual_mov_b32 v66, v102 :: v_dual_mov_b32 v53, v113
	v_dual_mov_b32 v58, v118 :: v_dual_mov_b32 v55, v115
	v_dual_mov_b32 v60, v120 :: v_dual_mov_b32 v57, v117
	v_dual_mov_b32 v62, v122 :: v_dual_mov_b32 v59, v119
	v_dual_mov_b32 v60, v10 :: v_dual_mov_b32 v61, v121
	v_mov_b32_e32 v58, v7
	v_dual_mov_b32 v67, v103 :: v_dual_mov_b32 v70, v106
	v_dual_mov_b32 v69, v105 :: v_dual_mov_b32 v72, v108
	v_dual_mov_b32 v71, v107 :: v_dual_mov_b32 v74, v110
	v_dual_mov_b32 v73, v109 :: v_dual_mov_b32 v72, v24
	v_dual_mov_b32 v75, v99 :: v_dual_mov_b32 v76, v100
	v_dual_mov_b32 v87, v111 :: v_dual_mov_b32 v88, v112
	v_dual_mov_b32 v52, v112 :: v_dual_mov_b32 v59, v9
	v_dual_mov_b32 v62, v12 :: v_dual_mov_b32 v61, v14
	v_dual_mov_b32 v64, v100 :: v_dual_mov_b32 v65, v101
	v_mov_b32_e32 v68, v104
	v_dual_mov_b32 v70, v21 :: v_dual_mov_b32 v71, v23
	v_dual_mov_b32 v73, v13 :: v_dual_mov_b32 v74, v26
	;; [unrolled: 10-line block ×3, first 2 shown]
	v_dual_mov_b32 v95, v119 :: v_dual_mov_b32 v96, v120
	v_dual_mov_b32 v97, v121 :: v_dual_mov_b32 v98, v122
.LBB28_77:
	s_or_b32 exec_lo, exec_lo, s2
	v_mov_b32_e32 v2, v47
	s_mov_b32 s2, exec_lo
	v_cmpx_lt_f32_e32 v1, v47
	s_cbranch_execz .LBB28_79
; %bb.78:
	v_dual_mov_b32 v83, v22 :: v_dual_mov_b32 v84, v24
	v_dual_mov_b32 v94, v9 :: v_dual_mov_b32 v95, v8
	;; [unrolled: 1-line block ×4, first 2 shown]
	v_mov_b32_e32 v86, v26
	v_dual_mov_b32 v46, v47 :: v_dual_mov_b32 v47, v1
	v_dual_mov_b32 v98, v12 :: v_dual_mov_b32 v63, v75
	;; [unrolled: 1-line block ×13, first 2 shown]
	v_mov_b32_e32 v62, v98
	v_mov_b32_e32 v2, v1
.LBB28_79:
	s_or_b32 exec_lo, exec_lo, s2
	s_delay_alu instid0(VALU_DEP_1)
	v_cmp_lt_f32_e32 vcc_lo, v2, v48
	v_dual_mov_b32 v1, v39 :: v_dual_mov_b32 v6, v44
	v_dual_mov_b32 v3, v41 :: v_dual_mov_b32 v8, v46
	s_waitcnt vmcnt(0)
	v_dual_cndmask_b32 v37, v72, v71 :: v_dual_mov_b32 v4, v42
	v_dual_cndmask_b32 v71, v71, v72 :: v_dual_cndmask_b32 v38, v60, v59
	v_dual_cndmask_b32 v59, v59, v60 :: v_dual_cndmask_b32 v10, v48, v2
	v_dual_cndmask_b32 v9, v47, v48 :: v_dual_mov_b32 v2, v40
	v_dual_mov_b32 v5, v43 :: v_dual_mov_b32 v12, v50
	v_mov_b32_e32 v7, v45
	v_mov_b32_e32 v11, v49
	s_mov_b32 s2, exec_lo
	v_cmpx_lt_f32_e32 v39, v40
	s_cbranch_execz .LBB28_81
; %bb.80:
	v_dual_mov_b32 v13, v2 :: v_dual_mov_b32 v14, v1
	v_dual_mov_b32 v15, v3 :: v_dual_mov_b32 v16, v4
	;; [unrolled: 1-line block ×6, first 2 shown]
	v_mov_b32_e32 v25, v63
	v_dual_mov_b32 v26, v51 :: v_dual_mov_b32 v1, v13
	v_swap_b32 v63, v64
	v_swap_b32 v51, v52
	v_dual_mov_b32 v2, v14 :: v_dual_mov_b32 v3, v15
	v_dual_mov_b32 v4, v16 :: v_dual_mov_b32 v5, v17
	;; [unrolled: 1-line block ×5, first 2 shown]
	v_mov_b32_e32 v12, v24
	v_mov_b32_e32 v40, v39
.LBB28_81:
	s_or_b32 exec_lo, exec_lo, s2
	v_mov_b32_e32 v60, v38
	v_dual_mov_b32 v72, v37 :: v_dual_mov_b32 v13, v51
	v_dual_mov_b32 v25, v63 :: v_dual_mov_b32 v98, v74
	;; [unrolled: 1-line block ×60, first 2 shown]
	s_mov_b32 s2, exec_lo
	v_dual_mov_b32 v96, v72 :: v_dual_mov_b32 v93, v69
	v_cmpx_lt_f32_e32 v40, v3
	s_cbranch_execz .LBB28_83
; %bb.82:
	v_dual_mov_b32 v134, v62 :: v_dual_mov_b32 v133, v61
	v_dual_mov_b32 v124, v52 :: v_dual_mov_b32 v123, v51
	v_mov_b32_e32 v124, v53
	v_dual_mov_b32 v128, v56 :: v_dual_mov_b32 v127, v55
	v_dual_mov_b32 v132, v60 :: v_dual_mov_b32 v131, v59
	;; [unrolled: 1-line block ×11, first 2 shown]
	v_mov_b32_e32 v141, v69
	v_dual_mov_b32 v136, v65 :: v_dual_mov_b32 v137, v64
	v_dual_mov_b32 v160, v124 :: v_dual_mov_b32 v159, v123
	;; [unrolled: 1-line block ×40, first 2 shown]
	v_mov_b32_e32 v22, v84
	v_dual_mov_b32 v22, v38 :: v_dual_mov_b32 v25, v87
	v_dual_mov_b32 v16, v78 :: v_dual_mov_b32 v19, v81
	;; [unrolled: 1-line block ×16, first 2 shown]
	v_mov_b32_e32 v35, v73
	v_dual_mov_b32 v34, v37 :: v_dual_mov_b32 v39, v40
	v_dual_mov_b32 v36, v74 :: v_dual_mov_b32 v65, v64
	v_mov_b32_e32 v53, v52
.LBB28_83:
	s_or_b32 exec_lo, exec_lo, s2
	v_mov_b32_e32 v40, v4
	s_mov_b32 s2, exec_lo
	v_cmpx_lt_f32_e32 v39, v4
	s_cbranch_execz .LBB28_85
; %bb.84:
	v_mov_b32_e32 v137, v66
	v_mov_b32_e32 v125, v54
	;; [unrolled: 1-line block ×4, first 2 shown]
	v_dual_mov_b32 v170, v134 :: v_dual_mov_b32 v169, v133
	v_dual_mov_b32 v168, v132 :: v_dual_mov_b32 v159, v123
	;; [unrolled: 1-line block ×9, first 2 shown]
	v_mov_b32_e32 v157, v145
	v_dual_mov_b32 v155, v143 :: v_dual_mov_b32 v152, v140
	v_mov_b32_e32 v162, v53
	v_mov_b32_e32 v149, v137
	v_dual_mov_b32 v150, v65 :: v_dual_mov_b32 v111, v159
	v_dual_mov_b32 v112, v160 :: v_dual_mov_b32 v99, v147
	;; [unrolled: 1-line block ×13, first 2 shown]
	v_mov_b32_e32 v115, v55
	v_dual_mov_b32 v87, v99 :: v_dual_mov_b32 v88, v100
	v_dual_mov_b32 v75, v111 :: v_dual_mov_b32 v78, v114
	;; [unrolled: 1-line block ×3, first 2 shown]
	s_delay_alu instid0(VALU_DEP_4)
	v_dual_mov_b32 v80, v116 :: v_dual_mov_b32 v79, v115
	v_dual_mov_b32 v82, v118 :: v_dual_mov_b32 v81, v117
	;; [unrolled: 1-line block ×6, first 2 shown]
	v_mov_b32_e32 v96, v108
	v_dual_mov_b32 v92, v104 :: v_dual_mov_b32 v93, v105
	v_dual_mov_b32 v98, v110 :: v_dual_mov_b32 v95, v107
	;; [unrolled: 1-line block ×21, first 2 shown]
	v_mov_b32_e32 v34, v37
	v_dual_mov_b32 v35, v73 :: v_dual_mov_b32 v36, v74
	v_mov_b32_e32 v40, v39
	v_mov_b32_e32 v66, v65
	;; [unrolled: 1-line block ×3, first 2 shown]
.LBB28_85:
	s_or_b32 exec_lo, exec_lo, s2
	v_mov_b32_e32 v39, v5
	s_mov_b32 s2, exec_lo
	v_cmpx_lt_f32_e32 v40, v5
	s_cbranch_execz .LBB28_87
; %bb.86:
	v_mov_b32_e32 v126, v55
	v_mov_b32_e32 v111, v123
	;; [unrolled: 1-line block ×3, first 2 shown]
	v_dual_mov_b32 v115, v54 :: v_dual_mov_b32 v116, v128
	v_dual_mov_b32 v138, v67 :: v_dual_mov_b32 v113, v125
	v_mov_b32_e32 v112, v124
	v_dual_mov_b32 v118, v130 :: v_dual_mov_b32 v119, v131
	v_dual_mov_b32 v120, v132 :: v_dual_mov_b32 v121, v133
	;; [unrolled: 1-line block ×24, first 2 shown]
	v_mov_b32_e32 v22, v84
	v_dual_mov_b32 v22, v38 :: v_dual_mov_b32 v25, v87
	v_dual_mov_b32 v16, v78 :: v_dual_mov_b32 v19, v81
	;; [unrolled: 1-line block ×18, first 2 shown]
	v_mov_b32_e32 v35, v73
	v_dual_mov_b32 v34, v37 :: v_dual_mov_b32 v155, v143
	v_dual_mov_b32 v36, v74 :: v_dual_mov_b32 v157, v145
	;; [unrolled: 1-line block ×12, first 2 shown]
	v_mov_b32_e32 v55, v54
.LBB28_87:
	s_or_b32 exec_lo, exec_lo, s2
	v_mov_b32_e32 v40, v6
	s_mov_b32 s2, exec_lo
	v_cmpx_lt_f32_e32 v39, v6
	s_cbranch_execz .LBB28_89
; %bb.88:
	v_mov_b32_e32 v163, v56
	v_dual_mov_b32 v75, v159 :: v_dual_mov_b32 v80, v164
	v_dual_mov_b32 v80, v55 :: v_dual_mov_b32 v81, v165
	;; [unrolled: 1-line block ×7, first 2 shown]
	v_mov_b32_e32 v85, v169
	v_dual_mov_b32 v89, v149 :: v_dual_mov_b32 v92, v152
	v_dual_mov_b32 v91, v151 :: v_dual_mov_b32 v94, v154
	;; [unrolled: 1-line block ×6, first 2 shown]
	v_mov_b32_e32 v88, v148
	v_mov_b32_e32 v6, v39
	s_delay_alu instid0(VALU_DEP_3) | instskip(NEXT) | instid1(VALU_DEP_3)
	v_dual_mov_b32 v13, v75 :: v_dual_mov_b32 v14, v76
	v_dual_mov_b32 v25, v87 :: v_dual_mov_b32 v26, v88
	;; [unrolled: 1-line block ×30, first 2 shown]
	v_mov_b32_e32 v40, v39
	v_mov_b32_e32 v68, v67
	;; [unrolled: 1-line block ×3, first 2 shown]
.LBB28_89:
	s_or_b32 exec_lo, exec_lo, s2
	v_mov_b32_e32 v39, v7
	s_mov_b32 s2, exec_lo
	v_cmpx_lt_f32_e32 v40, v7
	s_cbranch_execz .LBB28_91
; %bb.90:
	v_mov_b32_e32 v116, v57
	v_dual_mov_b32 v6, v7 :: v_dual_mov_b32 v7, v40
	v_dual_mov_b32 v104, v69 :: v_dual_mov_b32 v13, v111
	v_mov_b32_e32 v22, v120
	v_dual_mov_b32 v22, v38 :: v_dual_mov_b32 v25, v99
	v_mov_b32_e32 v34, v108
	v_dual_mov_b32 v34, v37 :: v_dual_mov_b32 v87, v99
	v_dual_mov_b32 v16, v114 :: v_dual_mov_b32 v19, v117
	;; [unrolled: 1-line block ×12, first 2 shown]
	v_mov_b32_e32 v23, v61
	v_dual_mov_b32 v21, v59 :: v_dual_mov_b32 v24, v62
	v_dual_mov_b32 v27, v101 :: v_dual_mov_b32 v26, v100
	;; [unrolled: 1-line block ×3, first 2 shown]
	v_mov_b32_e32 v35, v73
	v_dual_mov_b32 v33, v71 :: v_dual_mov_b32 v36, v74
	v_dual_mov_b32 v89, v101 :: v_dual_mov_b32 v88, v100
	;; [unrolled: 1-line block ×9, first 2 shown]
	v_mov_b32_e32 v39, v40
	v_mov_b32_e32 v69, v68
	v_dual_mov_b32 v57, v56 :: v_dual_mov_b32 v94, v106
	v_dual_mov_b32 v97, v109 :: v_dual_mov_b32 v82, v118
	;; [unrolled: 1-line block ×3, first 2 shown]
.LBB28_91:
	s_or_b32 exec_lo, exec_lo, s2
	v_mov_b32_e32 v40, v8
	s_mov_b32 s2, exec_lo
	v_cmpx_lt_f32_e32 v39, v8
	s_cbranch_execz .LBB28_93
; %bb.92:
	v_dual_mov_b32 v81, v58 :: v_dual_mov_b32 v82, v57
	v_dual_mov_b32 v83, v59 :: v_dual_mov_b32 v84, v38
	;; [unrolled: 1-line block ×19, first 2 shown]
	v_mov_b32_e32 v40, v39
.LBB28_93:
	s_or_b32 exec_lo, exec_lo, s2
	s_delay_alu instid0(VALU_DEP_1)
	v_cmp_lt_f32_e32 vcc_lo, v40, v9
	v_dual_mov_b32 v38, v2 :: v_dual_mov_b32 v41, v5
	v_dual_mov_b32 v42, v6 :: v_dual_mov_b32 v47, v11
	v_dual_cndmask_b32 v145, v33, v32 :: v_dual_cndmask_b32 v32, v32, v33
	v_dual_cndmask_b32 v146, v21, v20 :: v_dual_mov_b32 v39, v3
	v_dual_cndmask_b32 v20, v20, v21 :: v_dual_cndmask_b32 v45, v9, v40
	v_dual_cndmask_b32 v44, v8, v9 :: v_dual_mov_b32 v37, v1
	v_dual_mov_b32 v40, v4 :: v_dual_mov_b32 v43, v7
	v_mov_b32_e32 v46, v10
	v_mov_b32_e32 v48, v12
	s_mov_b32 s2, exec_lo
	v_cmpx_lt_f32_e32 v1, v2
	s_cbranch_execz .LBB28_95
; %bb.94:
	v_dual_mov_b32 v49, v38 :: v_dual_mov_b32 v50, v37
	v_dual_mov_b32 v51, v39 :: v_dual_mov_b32 v52, v40
	v_dual_mov_b32 v53, v41 :: v_dual_mov_b32 v54, v42
	v_dual_mov_b32 v55, v43 :: v_dual_mov_b32 v56, v44
	v_dual_mov_b32 v57, v45 :: v_dual_mov_b32 v58, v46
	v_dual_mov_b32 v59, v47 :: v_dual_mov_b32 v60, v48
	v_mov_b32_e32 v3, v25
	v_mov_b32_e32 v4, v13
	v_dual_mov_b32 v37, v49 :: v_dual_mov_b32 v40, v52
	v_swap_b32 v25, v26
	v_swap_b32 v13, v14
	v_dual_mov_b32 v38, v50 :: v_dual_mov_b32 v39, v51
	v_dual_mov_b32 v41, v53 :: v_dual_mov_b32 v42, v54
	;; [unrolled: 1-line block ×5, first 2 shown]
	v_mov_b32_e32 v2, v1
.LBB28_95:
	s_or_b32 exec_lo, exec_lo, s2
	v_mov_b32_e32 v21, v146
	v_dual_mov_b32 v33, v145 :: v_dual_mov_b32 v60, v24
	v_dual_mov_b32 v72, v36 :: v_dual_mov_b32 v61, v25
	;; [unrolled: 1-line block ×43, first 2 shown]
	v_mov_b32_e32 v97, v13
	v_mov_b32_e32 v1, v39
	s_mov_b32 s2, exec_lo
	v_dual_mov_b32 v95, v35 :: v_dual_mov_b32 v94, v34
	v_dual_mov_b32 v93, v33 :: v_dual_mov_b32 v92, v32
	;; [unrolled: 1-line block ×5, first 2 shown]
	v_cmpx_lt_f32_e32 v2, v39
	s_cbranch_execz .LBB28_97
; %bb.96:
	v_dual_mov_b32 v108, v24 :: v_dual_mov_b32 v107, v23
	v_dual_mov_b32 v98, v14 :: v_dual_mov_b32 v97, v13
	v_mov_b32_e32 v98, v15
	v_dual_mov_b32 v104, v20 :: v_dual_mov_b32 v103, v19
	v_dual_mov_b32 v100, v16 :: v_dual_mov_b32 v99, v15
	;; [unrolled: 1-line block ×26, first 2 shown]
	v_mov_b32_e32 v84, v144
	v_dual_mov_b32 v74, v134 :: v_dual_mov_b32 v77, v137
	v_mov_b32_e32 v75, v135
	v_dual_mov_b32 v38, v39 :: v_dual_mov_b32 v85, v121
	v_dual_mov_b32 v76, v136 :: v_dual_mov_b32 v79, v139
	;; [unrolled: 1-line block ×10, first 2 shown]
	v_mov_b32_e32 v39, v2
	v_dual_mov_b32 v49, v73 :: v_dual_mov_b32 v50, v74
	v_dual_mov_b32 v59, v83 :: v_dual_mov_b32 v60, v84
	;; [unrolled: 1-line block ×18, first 2 shown]
	v_mov_b32_e32 v70, v34
	v_dual_mov_b32 v72, v36 :: v_dual_mov_b32 v1, v2
	v_mov_b32_e32 v27, v26
	v_mov_b32_e32 v15, v14
.LBB28_97:
	s_or_b32 exec_lo, exec_lo, s2
	v_mov_b32_e32 v2, v40
	s_mov_b32 s2, exec_lo
	v_cmpx_lt_f32_e32 v1, v40
	s_cbranch_execz .LBB28_99
; %bb.98:
	v_mov_b32_e32 v99, v16
	v_mov_b32_e32 v144, v108
	;; [unrolled: 1-line block ×3, first 2 shown]
	v_dual_mov_b32 v136, v15 :: v_dual_mov_b32 v111, v28
	v_dual_mov_b32 v142, v106 :: v_dual_mov_b32 v133, v97
	;; [unrolled: 1-line block ×4, first 2 shown]
	v_mov_b32_e32 v135, v99
	v_dual_mov_b32 v125, v113 :: v_dual_mov_b32 v124, v112
	v_mov_b32_e32 v143, v107
	v_dual_mov_b32 v141, v105 :: v_dual_mov_b32 v140, v104
	v_dual_mov_b32 v139, v103 :: v_dual_mov_b32 v138, v102
	;; [unrolled: 1-line block ×18, first 2 shown]
	v_mov_b32_e32 v95, v131
	v_dual_mov_b32 v89, v29 :: v_dual_mov_b32 v88, v124
	v_dual_mov_b32 v49, v73 :: v_dual_mov_b32 v54, v78
	v_mov_b32_e32 v50, v74
	v_dual_mov_b32 v52, v76 :: v_dual_mov_b32 v61, v85
	s_delay_alu instid0(VALU_DEP_4)
	v_dual_mov_b32 v64, v88 :: v_dual_mov_b32 v51, v75
	v_dual_mov_b32 v56, v80 :: v_dual_mov_b32 v53, v77
	;; [unrolled: 1-line block ×12, first 2 shown]
	v_mov_b32_e32 v58, v22
	v_dual_mov_b32 v57, v146 :: v_dual_mov_b32 v60, v24
	v_dual_mov_b32 v59, v23 :: v_dual_mov_b32 v62, v86
	;; [unrolled: 1-line block ×5, first 2 shown]
	v_mov_b32_e32 v2, v1
	v_mov_b32_e32 v28, v27
	;; [unrolled: 1-line block ×3, first 2 shown]
.LBB28_99:
	s_or_b32 exec_lo, exec_lo, s2
	v_mov_b32_e32 v1, v41
	s_mov_b32 s2, exec_lo
	v_cmpx_lt_f32_e32 v2, v41
	s_cbranch_execz .LBB28_101
; %bb.100:
	v_mov_b32_e32 v100, v17
	v_mov_b32_e32 v73, v97
	;; [unrolled: 1-line block ×3, first 2 shown]
	v_dual_mov_b32 v77, v16 :: v_dual_mov_b32 v78, v102
	v_dual_mov_b32 v112, v29 :: v_dual_mov_b32 v75, v99
	;; [unrolled: 1-line block ×3, first 2 shown]
	v_mov_b32_e32 v84, v108
	v_dual_mov_b32 v74, v98 :: v_dual_mov_b32 v85, v109
	v_mov_b32_e32 v86, v110
	v_dual_mov_b32 v76, v100 :: v_dual_mov_b32 v79, v103
	v_dual_mov_b32 v80, v104 :: v_dual_mov_b32 v81, v105
	;; [unrolled: 1-line block ×8, first 2 shown]
	v_mov_b32_e32 v49, v73
	v_dual_mov_b32 v89, v28 :: v_dual_mov_b32 v50, v74
	v_dual_mov_b32 v59, v83 :: v_dual_mov_b32 v60, v84
	;; [unrolled: 1-line block ×32, first 2 shown]
	v_mov_b32_e32 v17, v16
.LBB28_101:
	s_or_b32 exec_lo, exec_lo, s2
	v_mov_b32_e32 v2, v42
	s_mov_b32 s2, exec_lo
	v_cmpx_lt_f32_e32 v1, v42
	s_cbranch_execz .LBB28_103
; %bb.102:
	v_mov_b32_e32 v137, v18
	v_mov_b32_e32 v125, v30
	v_dual_mov_b32 v41, v42 :: v_dual_mov_b32 v42, v1
	v_dual_mov_b32 v49, v133 :: v_dual_mov_b32 v50, v134
	;; [unrolled: 1-line block ×13, first 2 shown]
	v_mov_b32_e32 v66, v29
	v_dual_mov_b32 v85, v121 :: v_dual_mov_b32 v86, v122
	v_dual_mov_b32 v73, v133 :: v_dual_mov_b32 v74, v134
	;; [unrolled: 1-line block ×4, first 2 shown]
	v_mov_b32_e32 v64, v124
	v_dual_mov_b32 v58, v22 :: v_dual_mov_b32 v59, v23
	v_dual_mov_b32 v67, v31 :: v_dual_mov_b32 v68, v32
	;; [unrolled: 1-line block ×8, first 2 shown]
	v_mov_b32_e32 v2, v1
	v_mov_b32_e32 v30, v29
	v_dual_mov_b32 v18, v17 :: v_dual_mov_b32 v91, v127
	v_dual_mov_b32 v92, v128 :: v_dual_mov_b32 v93, v129
	;; [unrolled: 1-line block ×6, first 2 shown]
	v_mov_b32_e32 v84, v144
.LBB28_103:
	s_or_b32 exec_lo, exec_lo, s2
	v_mov_b32_e32 v1, v43
	s_mov_b32 s2, exec_lo
	v_cmpx_lt_f32_e32 v2, v43
	s_cbranch_execz .LBB28_105
; %bb.104:
	v_dual_mov_b32 v94, v34 :: v_dual_mov_b32 v95, v35
	v_dual_mov_b32 v78, v19 :: v_dual_mov_b32 v79, v18
	;; [unrolled: 1-line block ×6, first 2 shown]
	v_mov_b32_e32 v96, v36
	v_dual_mov_b32 v42, v43 :: v_dual_mov_b32 v43, v2
	v_dual_mov_b32 v84, v24 :: v_dual_mov_b32 v61, v85
	;; [unrolled: 1-line block ×14, first 2 shown]
.LBB28_105:
	s_or_b32 exec_lo, exec_lo, s2
	s_delay_alu instid0(VALU_DEP_1)
	v_cmp_lt_f32_e32 vcc_lo, v1, v44
	v_dual_mov_b32 v3, v39 :: v_dual_mov_b32 v10, v46
	v_dual_mov_b32 v5, v41 :: v_dual_mov_b32 v12, v48
	v_dual_cndmask_b32 v121, v68, v67 :: v_dual_mov_b32 v2, v38
	v_dual_cndmask_b32 v67, v67, v68 :: v_dual_cndmask_b32 v122, v56, v55
	v_dual_cndmask_b32 v55, v55, v56 :: v_dual_cndmask_b32 v8, v44, v1
	v_dual_cndmask_b32 v7, v43, v44 :: v_dual_mov_b32 v4, v40
	v_dual_mov_b32 v1, v37 :: v_dual_mov_b32 v6, v42
	v_mov_b32_e32 v9, v45
	v_mov_b32_e32 v11, v47
	s_mov_b32 s2, exec_lo
	v_cmpx_lt_f32_e32 v37, v38
	s_cbranch_execz .LBB28_107
; %bb.106:
	v_dual_mov_b32 v13, v2 :: v_dual_mov_b32 v14, v1
	v_dual_mov_b32 v15, v3 :: v_dual_mov_b32 v16, v4
	;; [unrolled: 1-line block ×6, first 2 shown]
	v_mov_b32_e32 v25, v61
	v_mov_b32_e32 v26, v49
	v_dual_mov_b32 v1, v13 :: v_dual_mov_b32 v4, v16
	v_swap_b32 v61, v62
	v_swap_b32 v49, v50
	v_dual_mov_b32 v2, v14 :: v_dual_mov_b32 v3, v15
	v_dual_mov_b32 v5, v17 :: v_dual_mov_b32 v6, v18
	;; [unrolled: 1-line block ×5, first 2 shown]
	v_mov_b32_e32 v38, v37
.LBB28_107:
	s_or_b32 exec_lo, exec_lo, s2
	v_mov_b32_e32 v56, v122
	v_mov_b32_e32 v68, v121
	;; [unrolled: 1-line block ×3, first 2 shown]
	v_dual_mov_b32 v27, v51 :: v_dual_mov_b32 v84, v72
	v_mov_b32_e32 v81, v69
	v_dual_mov_b32 v83, v71 :: v_dual_mov_b32 v96, v60
	v_dual_mov_b32 v91, v55 :: v_dual_mov_b32 v120, v72
	;; [unrolled: 1-line block ×31, first 2 shown]
	v_mov_b32_e32 v24, v60
	s_mov_b32 s2, exec_lo
	v_dual_mov_b32 v118, v70 :: v_dual_mov_b32 v115, v67
	v_dual_mov_b32 v116, v68 :: v_dual_mov_b32 v113, v65
	;; [unrolled: 1-line block ×3, first 2 shown]
	v_cmpx_lt_f32_e32 v38, v3
	s_cbranch_execz .LBB28_109
; %bb.108:
	v_dual_mov_b32 v13, v49 :: v_dual_mov_b32 v14, v50
	v_dual_mov_b32 v23, v59 :: v_dual_mov_b32 v24, v60
	;; [unrolled: 1-line block ×30, first 2 shown]
	v_mov_b32_e32 v112, v64
	v_dual_mov_b32 v34, v94 :: v_dual_mov_b32 v35, v95
	v_dual_mov_b32 v35, v59 :: v_dual_mov_b32 v34, v58
	;; [unrolled: 1-line block ×15, first 2 shown]
	v_mov_b32_e32 v81, v69
	v_dual_mov_b32 v80, v121 :: v_dual_mov_b32 v83, v71
	v_mov_b32_e32 v82, v70
	v_dual_mov_b32 v84, v72 :: v_dual_mov_b32 v37, v38
	v_mov_b32_e32 v63, v62
	v_mov_b32_e32 v51, v50
.LBB28_109:
	s_or_b32 exec_lo, exec_lo, s2
	v_mov_b32_e32 v38, v4
	s_mov_b32 s2, exec_lo
	v_cmpx_lt_f32_e32 v37, v4
	s_cbranch_execz .LBB28_111
; %bb.110:
	v_mov_b32_e32 v15, v52
	v_mov_b32_e32 v96, v24
	;; [unrolled: 1-line block ×3, first 2 shown]
	v_dual_mov_b32 v88, v51 :: v_dual_mov_b32 v99, v64
	v_dual_mov_b32 v94, v22 :: v_dual_mov_b32 v85, v13
	;; [unrolled: 1-line block ×3, first 2 shown]
	v_mov_b32_e32 v95, v23
	v_dual_mov_b32 v93, v21 :: v_dual_mov_b32 v92, v20
	v_dual_mov_b32 v91, v19 :: v_dual_mov_b32 v90, v18
	;; [unrolled: 1-line block ×7, first 2 shown]
	v_mov_b32_e32 v87, v15
	v_dual_mov_b32 v111, v99 :: v_dual_mov_b32 v110, v98
	v_dual_mov_b32 v112, v63 :: v_dual_mov_b32 v25, v85
	v_dual_mov_b32 v26, v86 :: v_dual_mov_b32 v73, v109
	s_delay_alu instid0(VALU_DEP_3)
	v_dual_mov_b32 v74, v110 :: v_dual_mov_b32 v29, v89
	v_dual_mov_b32 v30, v90 :: v_dual_mov_b32 v31, v91
	;; [unrolled: 1-line block ×8, first 2 shown]
	v_mov_b32_e32 v84, v120
	v_dual_mov_b32 v3, v4 :: v_dual_mov_b32 v4, v37
	v_dual_mov_b32 v27, v87 :: v_dual_mov_b32 v28, v88
	v_dual_mov_b32 v29, v53 :: v_dual_mov_b32 v30, v54
	v_dual_mov_b32 v31, v55 :: v_dual_mov_b32 v32, v122
	v_dual_mov_b32 v33, v57 :: v_dual_mov_b32 v34, v58
	v_dual_mov_b32 v35, v59 :: v_dual_mov_b32 v36, v60
	v_dual_mov_b32 v75, v111 :: v_dual_mov_b32 v76, v112
	v_dual_mov_b32 v77, v65 :: v_dual_mov_b32 v78, v66
	v_dual_mov_b32 v79, v67 :: v_dual_mov_b32 v80, v121
	v_dual_mov_b32 v81, v69 :: v_dual_mov_b32 v82, v70
	v_dual_mov_b32 v83, v71 :: v_dual_mov_b32 v84, v72
	v_mov_b32_e32 v38, v37
	v_mov_b32_e32 v64, v63
	;; [unrolled: 1-line block ×3, first 2 shown]
.LBB28_111:
	s_or_b32 exec_lo, exec_lo, s2
	v_mov_b32_e32 v16, v5
	s_mov_b32 s2, exec_lo
	v_cmpx_lt_f32_e32 v38, v5
	s_cbranch_execz .LBB28_113
; %bb.112:
	v_mov_b32_e32 v100, v65
	v_mov_b32_e32 v16, v53
	v_dual_mov_b32 v4, v5 :: v_dual_mov_b32 v5, v38
	v_dual_mov_b32 v36, v24 :: v_dual_mov_b32 v33, v21
	;; [unrolled: 1-line block ×3, first 2 shown]
	v_mov_b32_e32 v31, v19
	v_dual_mov_b32 v35, v59 :: v_dual_mov_b32 v34, v58
	v_dual_mov_b32 v73, v97 :: v_dual_mov_b32 v32, v20
	;; [unrolled: 1-line block ×8, first 2 shown]
	v_mov_b32_e32 v77, v64
	v_dual_mov_b32 v84, v108 :: v_dual_mov_b32 v79, v67
	v_dual_mov_b32 v120, v108 :: v_dual_mov_b32 v115, v103
	;; [unrolled: 1-line block ×19, first 2 shown]
	v_mov_b32_e32 v88, v16
	v_dual_mov_b32 v86, v14 :: v_dual_mov_b32 v65, v64
	v_dual_mov_b32 v16, v38 :: v_dual_mov_b32 v53, v52
	;; [unrolled: 1-line block ×3, first 2 shown]
.LBB28_113:
	s_or_b32 exec_lo, exec_lo, s2
	v_mov_b32_e32 v13, v6
	s_mov_b32 s2, exec_lo
	v_cmpx_lt_f32_e32 v16, v6
	s_cbranch_execz .LBB28_115
; %bb.114:
	v_dual_mov_b32 v89, v54 :: v_dual_mov_b32 v90, v53
	v_dual_mov_b32 v91, v55 :: v_dual_mov_b32 v92, v122
	;; [unrolled: 1-line block ×21, first 2 shown]
	v_mov_b32_e32 v13, v16
.LBB28_115:
	s_or_b32 exec_lo, exec_lo, s2
	s_delay_alu instid0(VALU_DEP_1)
	v_cmp_lt_f32_e32 vcc_lo, v13, v7
	v_dual_mov_b32 v14, v2 :: v_dual_mov_b32 v17, v5
	v_dual_mov_b32 v16, v4 :: v_dual_mov_b32 v21, v9
	v_dual_cndmask_b32 v37, v79, v78 :: v_dual_cndmask_b32 v78, v78, v79
	v_cndmask_b32_e32 v38, v31, v30, vcc_lo
	v_dual_cndmask_b32 v30, v30, v31 :: v_dual_cndmask_b32 v19, v7, v13
	v_dual_cndmask_b32 v18, v6, v7 :: v_dual_mov_b32 v15, v3
	v_dual_mov_b32 v13, v1 :: v_dual_mov_b32 v20, v8
	v_dual_mov_b32 v23, v11 :: v_dual_mov_b32 v22, v10
	v_mov_b32_e32 v24, v12
	s_mov_b32 s2, exec_lo
	v_cmpx_lt_f32_e32 v1, v2
	s_cbranch_execz .LBB28_117
; %bb.116:
	v_dual_mov_b32 v2, v14 :: v_dual_mov_b32 v3, v13
	v_dual_mov_b32 v12, v23 :: v_dual_mov_b32 v13, v24
	;; [unrolled: 1-line block ×6, first 2 shown]
	v_mov_b32_e32 v24, v13
	v_mov_b32_e32 v31, v73
	v_dual_mov_b32 v39, v25 :: v_dual_mov_b32 v18, v7
	v_swap_b32 v73, v74
	v_swap_b32 v25, v26
	v_dual_mov_b32 v23, v12 :: v_dual_mov_b32 v20, v9
	v_dual_mov_b32 v22, v11 :: v_dual_mov_b32 v21, v10
	;; [unrolled: 1-line block ×4, first 2 shown]
	v_mov_b32_e32 v15, v4
	v_dual_mov_b32 v13, v2 :: v_dual_mov_b32 v2, v1
.LBB28_117:
	s_or_b32 exec_lo, exec_lo, s2
	v_mov_b32_e32 v31, v38
	v_dual_mov_b32 v79, v37 :: v_dual_mov_b32 v50, v36
	v_dual_mov_b32 v51, v73 :: v_dual_mov_b32 v52, v74
	;; [unrolled: 1-line block ×24, first 2 shown]
	v_mov_b32_e32 v85, v25
	v_mov_b32_e32 v1, v15
	s_mov_b32 s2, exec_lo
	v_cmpx_lt_f32_e32 v2, v15
	s_cbranch_execz .LBB28_119
; %bb.118:
	v_dual_mov_b32 v96, v36 :: v_dual_mov_b32 v95, v35
	v_dual_mov_b32 v86, v26 :: v_dual_mov_b32 v85, v25
	v_dual_mov_b32 v90, v30 :: v_dual_mov_b32 v89, v29
	v_dual_mov_b32 v88, v28 :: v_dual_mov_b32 v87, v27
	v_dual_mov_b32 v94, v34 :: v_dual_mov_b32 v93, v33
	v_dual_mov_b32 v92, v32 :: v_dual_mov_b32 v91, v31
	v_dual_mov_b32 v86, v27 :: v_dual_mov_b32 v87, v26
	v_dual_mov_b32 v39, v85 :: v_dual_mov_b32 v108, v84
	v_mov_b32_e32 v105, v81
	v_dual_mov_b32 v43, v89 :: v_dual_mov_b32 v44, v90
	v_dual_mov_b32 v100, v76 :: v_dual_mov_b32 v97, v73
	;; [unrolled: 1-line block ×6, first 2 shown]
	v_mov_b32_e32 v98, v74
	v_dual_mov_b32 v98, v75 :: v_dual_mov_b32 v99, v74
	v_dual_mov_b32 v49, v95 :: v_dual_mov_b32 v50, v96
	;; [unrolled: 1-line block ×12, first 2 shown]
	v_mov_b32_e32 v40, v86
	v_dual_mov_b32 v42, v28 :: v_dual_mov_b32 v43, v29
	v_dual_mov_b32 v45, v38 :: v_dual_mov_b32 v46, v32
	;; [unrolled: 1-line block ×9, first 2 shown]
	v_mov_b32_e32 v75, v74
	v_mov_b32_e32 v27, v26
.LBB28_119:
	s_or_b32 exec_lo, exec_lo, s2
	v_mov_b32_e32 v2, v16
	s_mov_b32 s2, exec_lo
	v_cmpx_lt_f32_e32 v1, v16
	s_cbranch_execz .LBB28_121
; %bb.120:
	v_mov_b32_e32 v87, v28
	v_mov_b32_e32 v99, v76
	v_dual_mov_b32 v15, v16 :: v_dual_mov_b32 v16, v1
	v_dual_mov_b32 v39, v85 :: v_dual_mov_b32 v42, v88
	v_dual_mov_b32 v45, v91 :: v_dual_mov_b32 v48, v94
	v_dual_mov_b32 v48, v34 :: v_dual_mov_b32 v51, v97
	v_dual_mov_b32 v54, v100 :: v_dual_mov_b32 v41, v87
	v_dual_mov_b32 v44, v90 :: v_dual_mov_b32 v43, v89
	v_dual_mov_b32 v46, v92 :: v_dual_mov_b32 v47, v93
	v_dual_mov_b32 v50, v96 :: v_dual_mov_b32 v49, v95
	v_dual_mov_b32 v44, v30 :: v_dual_mov_b32 v53, v99
	v_dual_mov_b32 v56, v102 :: v_dual_mov_b32 v55, v101
	v_dual_mov_b32 v58, v104 :: v_dual_mov_b32 v57, v103
	v_dual_mov_b32 v60, v106 :: v_dual_mov_b32 v59, v105
	v_dual_mov_b32 v62, v108 :: v_dual_mov_b32 v61, v107
	v_mov_b32_e32 v56, v78
	v_mov_b32_e32 v40, v86
	v_dual_mov_b32 v42, v27 :: v_dual_mov_b32 v43, v29
	v_dual_mov_b32 v45, v38 :: v_dual_mov_b32 v46, v32
	;; [unrolled: 1-line block ×8, first 2 shown]
	v_mov_b32_e32 v2, v1
	v_mov_b32_e32 v76, v75
	;; [unrolled: 1-line block ×3, first 2 shown]
.LBB28_121:
	s_or_b32 exec_lo, exec_lo, s2
	v_mov_b32_e32 v1, v17
	s_mov_b32 s2, exec_lo
	v_cmpx_lt_f32_e32 v2, v17
	s_cbranch_execz .LBB28_123
; %bb.122:
	v_dual_mov_b32 v106, v82 :: v_dual_mov_b32 v107, v83
	v_dual_mov_b32 v88, v29 :: v_dual_mov_b32 v89, v28
	v_dual_mov_b32 v90, v30 :: v_dual_mov_b32 v93, v33
	v_dual_mov_b32 v91, v38 :: v_dual_mov_b32 v92, v32
	v_dual_mov_b32 v94, v34 :: v_dual_mov_b32 v95, v35
	v_dual_mov_b32 v100, v77 :: v_dual_mov_b32 v101, v76
	v_dual_mov_b32 v102, v78 :: v_dual_mov_b32 v103, v37
	v_dual_mov_b32 v104, v80 :: v_dual_mov_b32 v105, v81
	v_mov_b32_e32 v108, v84
	v_dual_mov_b32 v16, v17 :: v_dual_mov_b32 v17, v2
	v_dual_mov_b32 v96, v36 :: v_dual_mov_b32 v51, v97
	;; [unrolled: 1-line block ×14, first 2 shown]
.LBB28_123:
	s_or_b32 exec_lo, exec_lo, s2
	s_delay_alu instid0(VALU_DEP_1)
	v_cmp_lt_f32_e32 vcc_lo, v1, v18
	v_dual_mov_b32 v27, v13 :: v_dual_mov_b32 v34, v20
	v_dual_mov_b32 v29, v15 :: v_dual_mov_b32 v36, v22
	v_dual_cndmask_b32 v63, v56, v55 :: v_dual_cndmask_b32 v32, v18, v1
	v_dual_cndmask_b32 v55, v55, v56 :: v_dual_cndmask_b32 v64, v44, v43
	v_dual_cndmask_b32 v43, v43, v44 :: v_dual_mov_b32 v28, v14
	v_dual_cndmask_b32 v31, v17, v18 :: v_dual_mov_b32 v30, v16
	v_dual_mov_b32 v33, v19 :: v_dual_mov_b32 v38, v24
	v_mov_b32_e32 v35, v21
	v_mov_b32_e32 v37, v23
	s_mov_b32 s2, exec_lo
	v_cmpx_lt_f32_e32 v13, v14
	s_cbranch_execz .LBB28_125
; %bb.124:
	s_delay_alu instid0(VALU_DEP_2)
	v_dual_mov_b32 v11, v37 :: v_dual_mov_b32 v12, v38
	v_dual_mov_b32 v1, v28 :: v_dual_mov_b32 v2, v27
	;; [unrolled: 1-line block ×7, first 2 shown]
	s_delay_alu instid0(VALU_DEP_2)
	v_dual_mov_b32 v16, v39 :: v_dual_mov_b32 v35, v9
	v_swap_b32 v51, v52
	v_swap_b32 v39, v40
	v_dual_mov_b32 v37, v11 :: v_dual_mov_b32 v36, v10
	v_dual_mov_b32 v34, v8 :: v_dual_mov_b32 v33, v7
	;; [unrolled: 1-line block ×5, first 2 shown]
	v_mov_b32_e32 v14, v13
.LBB28_125:
	s_or_b32 exec_lo, exec_lo, s2
	v_mov_b32_e32 v44, v64
	v_mov_b32_e32 v56, v63
	v_mov_b32_e32 v1, v39
	v_mov_b32_e32 v3, v41
	v_dual_mov_b32 v15, v51 :: v_dual_mov_b32 v2, v40
	v_dual_mov_b32 v16, v52 :: v_dual_mov_b32 v17, v53
	;; [unrolled: 1-line block ×11, first 2 shown]
	v_mov_b32_e32 v12, v50
	s_mov_b32 s2, exec_lo
	v_cmpx_lt_f32_e32 v14, v29
	s_cbranch_execz .LBB28_127
; %bb.126:
	v_dual_mov_b32 v1, v39 :: v_dual_mov_b32 v2, v40
	v_dual_mov_b32 v11, v49 :: v_dual_mov_b32 v12, v50
	;; [unrolled: 1-line block ×25, first 2 shown]
	v_mov_b32_e32 v41, v40
.LBB28_127:
	s_or_b32 exec_lo, exec_lo, s2
	v_mov_b32_e32 v39, v30
	s_mov_b32 s2, exec_lo
	v_cmpx_lt_f32_e32 v13, v30
	s_cbranch_execz .LBB28_129
; %bb.128:
	v_dual_mov_b32 v29, v30 :: v_dual_mov_b32 v30, v13
	v_dual_mov_b32 v3, v42 :: v_dual_mov_b32 v4, v41
	;; [unrolled: 1-line block ×11, first 2 shown]
	v_mov_b32_e32 v39, v13
.LBB28_129:
	s_or_b32 exec_lo, exec_lo, s2
	s_delay_alu instid0(VALU_DEP_1)
	v_cmp_lt_f32_e32 vcc_lo, v39, v31
	v_dual_mov_b32 v40, v28 :: v_dual_mov_b32 v45, v33
	v_dual_mov_b32 v44, v32 :: v_dual_mov_b32 v47, v35
	v_dual_cndmask_b32 v13, v19, v18 :: v_dual_cndmask_b32 v18, v18, v19
	v_dual_cndmask_b32 v14, v5, v4 :: v_dual_cndmask_b32 v43, v31, v39
	v_dual_cndmask_b32 v4, v4, v5 :: v_dual_mov_b32 v39, v27
	v_dual_cndmask_b32 v42, v30, v31 :: v_dual_mov_b32 v41, v29
	v_dual_mov_b32 v46, v34 :: v_dual_mov_b32 v49, v37
	v_mov_b32_e32 v48, v36
	v_mov_b32_e32 v50, v38
	s_mov_b32 s2, exec_lo
	v_cmpx_lt_f32_e32 v27, v28
	s_cbranch_execz .LBB28_131
; %bb.130:
	v_dual_mov_b32 v28, v40 :: v_dual_mov_b32 v29, v39
	v_dual_mov_b32 v38, v49 :: v_dual_mov_b32 v39, v50
	;; [unrolled: 1-line block ×7, first 2 shown]
	v_mov_b32_e32 v5, v15
	v_swap_b32 v15, v16
	s_delay_alu instid0(VALU_DEP_4)
	v_mov_b32_e32 v48, v37
	v_swap_b32 v1, v2
	v_dual_mov_b32 v49, v38 :: v_dual_mov_b32 v46, v35
	v_dual_mov_b32 v47, v36 :: v_dual_mov_b32 v44, v33
	;; [unrolled: 1-line block ×4, first 2 shown]
	v_mov_b32_e32 v41, v30
	v_dual_mov_b32 v39, v28 :: v_dual_mov_b32 v28, v27
.LBB28_131:
	s_or_b32 exec_lo, exec_lo, s2
	v_mov_b32_e32 v5, v14
	v_mov_b32_e32 v19, v13
	;; [unrolled: 1-line block ×3, first 2 shown]
	s_mov_b32 s2, exec_lo
	v_cmpx_lt_f32_e32 v28, v41
	s_cbranch_execz .LBB28_133
; %bb.132:
	v_dual_mov_b32 v74, v26 :: v_dual_mov_b32 v73, v25
	v_dual_mov_b32 v62, v12 :: v_dual_mov_b32 v61, v11
	;; [unrolled: 1-line block ×22, first 2 shown]
	v_mov_b32_e32 v74, v26
	v_dual_mov_b32 v40, v41 :: v_dual_mov_b32 v41, v28
	v_dual_mov_b32 v62, v12 :: v_dual_mov_b32 v15, v63
	;; [unrolled: 1-line block ×14, first 2 shown]
.LBB28_133:
	s_or_b32 exec_lo, exec_lo, s2
	s_delay_alu instid0(VALU_DEP_1)
	v_cmp_lt_f32_e32 vcc_lo, v27, v42
	v_dual_mov_b32 v28, v23 :: v_dual_mov_b32 v29, v24
	v_dual_mov_b32 v30, v25 :: v_dual_mov_b32 v31, v26
	v_dual_cndmask_b32 v13, v18, v17 :: v_dual_cndmask_b32 v14, v4, v3
	v_dual_cndmask_b32 v51, v17, v18 :: v_dual_cndmask_b32 v56, v3, v4
	v_dual_cndmask_b32 v3, v42, v27 :: v_dual_cndmask_b32 v60, v41, v42
	v_cmp_lt_f32_e32 vcc_lo, v39, v40
	v_dual_mov_b32 v4, v19 :: v_dual_mov_b32 v17, v20
	v_dual_mov_b32 v18, v21 :: v_dual_mov_b32 v27, v22
	;; [unrolled: 1-line block ×10, first 2 shown]
	v_mov_b32_e32 v59, v50
	s_and_saveexec_b32 s2, vcc_lo
	s_cbranch_execz .LBB28_135
; %bb.134:
	v_dual_mov_b32 v42, v40 :: v_dual_mov_b32 v27, v22
	v_dual_mov_b32 v4, v15 :: v_dual_mov_b32 v17, v20
	;; [unrolled: 1-line block ×3, first 2 shown]
	v_swap_b32 v15, v16
	v_swap_b32 v1, v2
	v_dual_mov_b32 v40, v39 :: v_dual_mov_b32 v29, v24
	v_dual_mov_b32 v4, v19 :: v_dual_mov_b32 v31, v26
	;; [unrolled: 1-line block ×11, first 2 shown]
	v_mov_b32_e32 v54, v46
	v_mov_b32_e32 v58, v49
.LBB28_135:
	s_or_b32 exec_lo, exec_lo, s2
	s_clause 0x1
	s_load_b32 s8, s[0:1], 0x28
	s_load_b128 s[4:7], s[0:1], 0x10
	s_waitcnt lgkmcnt(0)
	s_cmp_lt_i32 s8, 1
	s_cbranch_scc1 .LBB28_141
; %bb.136:
	v_cmp_lt_f32_e32 vcc_lo, v40, v60
	v_dual_mov_b32 v7, 0 :: v_dual_mov_b32 v6, 0
	s_mov_b32 s9, 0x76543210
	s_mov_b32 s10, s8
	v_dual_cndmask_b32 v5, v56, v2 :: v_dual_cndmask_b32 v12, v61, v60
	v_dual_cndmask_b32 v10, v2, v56 :: v_dual_cndmask_b32 v19, v16, v51
	v_cndmask_b32_e32 v2, v60, v40, vcc_lo
	v_cndmask_b32_e32 v8, v51, v16, vcc_lo
	s_delay_alu instid0(VALU_DEP_4) | instskip(NEXT) | instid1(VALU_DEP_1)
	v_cmp_lt_f32_e64 s2, v39, v12
	v_cndmask_b32_e64 v9, v10, v1, s2
	v_cndmask_b32_e64 v10, v1, v10, s2
	;; [unrolled: 1-line block ×6, first 2 shown]
	v_mov_b32_e32 v19, v0
	v_mov_b32_e32 v1, 0
.LBB28_137:                             ; =>This Inner Loop Header: Depth=1
	v_cmp_eq_u32_e32 vcc_lo, 1, v7
	v_cmp_eq_u32_e64 s2, 2, v7
	v_cmp_gt_u32_e64 s3, 12, v7
	v_dual_cndmask_b32 v20, v12, v11 :: v_dual_cndmask_b32 v21, v10, v9
	s_delay_alu instid0(VALU_DEP_1) | instskip(NEXT) | instid1(VALU_DEP_2)
	v_cndmask_b32_e64 v20, v20, v2, s2
	v_cndmask_b32_e64 v21, v21, v5, s2
	v_cndmask_b32_e32 v22, v15, v16, vcc_lo
	v_cmp_eq_u32_e32 vcc_lo, 3, v7
	s_delay_alu instid0(VALU_DEP_3) | instskip(NEXT) | instid1(VALU_DEP_3)
	v_cndmask_b32_e32 v21, v21, v14, vcc_lo
	v_cndmask_b32_e64 v22, v22, v8, s2
	v_cmp_eq_u32_e64 s2, 4, v7
	s_delay_alu instid0(VALU_DEP_2) | instskip(NEXT) | instid1(VALU_DEP_2)
	v_cndmask_b32_e32 v22, v22, v13, vcc_lo
	v_cndmask_b32_e64 v21, v21, v32, s2
	v_cndmask_b32_e32 v20, v20, v3, vcc_lo
	v_cmp_eq_u32_e32 vcc_lo, 5, v7
	s_delay_alu instid0(VALU_DEP_4) | instskip(NEXT) | instid1(VALU_DEP_4)
	v_cndmask_b32_e64 v22, v22, v4, s2
	v_cndmask_b32_e32 v21, v21, v33, vcc_lo
	s_delay_alu instid0(VALU_DEP_4) | instskip(SKIP_1) | instid1(VALU_DEP_4)
	v_cndmask_b32_e64 v20, v20, v42, s2
	v_cmp_eq_u32_e64 s2, 6, v7
	v_cndmask_b32_e32 v22, v22, v17, vcc_lo
	s_delay_alu instid0(VALU_DEP_3) | instskip(SKIP_1) | instid1(VALU_DEP_4)
	v_cndmask_b32_e32 v20, v20, v52, vcc_lo
	v_cmp_eq_u32_e32 vcc_lo, 7, v7
	v_cndmask_b32_e64 v21, v21, v34, s2
	s_delay_alu instid0(VALU_DEP_4) | instskip(NEXT) | instid1(VALU_DEP_4)
	v_cndmask_b32_e64 v22, v22, v18, s2
	v_cndmask_b32_e64 v20, v20, v53, s2
	v_cmp_eq_u32_e64 s2, 8, v7
	s_delay_alu instid0(VALU_DEP_4) | instskip(NEXT) | instid1(VALU_DEP_4)
	v_cndmask_b32_e32 v21, v21, v35, vcc_lo
	v_cndmask_b32_e32 v22, v22, v27, vcc_lo
	s_delay_alu instid0(VALU_DEP_4) | instskip(SKIP_1) | instid1(VALU_DEP_4)
	v_cndmask_b32_e32 v20, v20, v54, vcc_lo
	v_cmp_eq_u32_e32 vcc_lo, 9, v7
	v_cndmask_b32_e64 v21, v21, v36, s2
	s_delay_alu instid0(VALU_DEP_4) | instskip(NEXT) | instid1(VALU_DEP_4)
	v_cndmask_b32_e64 v22, v22, v28, s2
	v_cndmask_b32_e64 v20, v20, v55, s2
	v_cmp_eq_u32_e64 s2, 10, v7
	s_delay_alu instid0(VALU_DEP_4) | instskip(NEXT) | instid1(VALU_DEP_4)
	v_cndmask_b32_e32 v21, v21, v37, vcc_lo
	v_cndmask_b32_e32 v22, v22, v29, vcc_lo
	s_delay_alu instid0(VALU_DEP_4) | instskip(SKIP_1) | instid1(VALU_DEP_4)
	v_cndmask_b32_e32 v20, v20, v57, vcc_lo
	v_cmp_eq_u32_e32 vcc_lo, 11, v7
	v_cndmask_b32_e64 v21, v21, v38, s2
	s_delay_alu instid0(VALU_DEP_3) | instskip(NEXT) | instid1(VALU_DEP_1)
	v_cndmask_b32_e64 v20, v20, v58, s2
	v_dual_cndmask_b32 v21, v21, v41 :: v_dual_cndmask_b32 v20, v20, v59
	s_delay_alu instid0(VALU_DEP_1)
	v_cndmask_b32_e64 v20, 0xff800000, v20, s3
	;;#ASMSTART
	v_max_f32 v23, v20, v20 quad_perm:[1,0,3,2] row_mask:0xf bank_mask:0xf bound_ctrl:1
	;;#ASMEND
	;;#ASMSTART
	v_max_f32 v24, v23, v23 quad_perm:[2,3,0,1] row_mask:0xf bank_mask:0xf bound_ctrl:1
	;;#ASMEND
	;;#ASMSTART
	v_max_f32 v23, v24, v24 row_half_mirror row_mask:0xf bank_mask:0xf bound_ctrl:1
	;;#ASMEND
	;;#ASMSTART
	v_max_f32 v24, v23, v23 row_mirror row_mask:0xf bank_mask:0xf bound_ctrl:1
	;;#ASMEND
	v_permlanex16_b32 v23, v24, s9, 0xfedcba98 op_sel:[1,1]
	s_delay_alu instid0(VALU_DEP_1) | instskip(NEXT) | instid1(VALU_DEP_1)
	v_dual_max_f32 v24, v24, v24 :: v_dual_max_f32 v23, v23, v23
	v_max_f32_e32 v23, v24, v23
	v_cndmask_b32_e64 v22, v22, v30, s2
	s_delay_alu instid0(VALU_DEP_2) | instskip(SKIP_1) | instid1(VALU_DEP_2)
	v_cmp_eq_f32_e64 s2, v20, v23
	v_cndmask_b32_e64 v20, 0, v21, s3
	s_ctz_i32_b32 s11, s2
	s_cmp_lg_u32 s2, 0
	s_cselect_b32 s2, s11, 0
	s_add_i32 s10, s10, -1
	v_readlane_b32 s11, v20, s2
	v_cndmask_b32_e32 v20, v22, v31, vcc_lo
	s_delay_alu instid0(VALU_DEP_2)
	v_cmp_eq_u32_e32 vcc_lo, s11, v21
	s_and_b32 s2, s11, 31
	s_and_b32 vcc_lo, s3, vcc_lo
	s_cmp_eq_u32 s10, 0
	v_cndmask_b32_e32 v20, 0, v20, vcc_lo
	v_add_co_ci_u32_e32 v7, vcc_lo, 0, v7, vcc_lo
	s_delay_alu instid0(VALU_DEP_2) | instskip(SKIP_2) | instid1(VALU_DEP_2)
	v_readlane_b32 s3, v20, s2
	v_cmp_eq_u32_e64 s2, 0, v19
	v_add_nc_u32_e32 v19, -1, v19
	v_cndmask_b32_e64 v6, v6, s3, s2
	v_cndmask_b32_e64 v1, v1, s11, s2
	s_cbranch_scc0 .LBB28_137
; %bb.138:
	s_mov_b32 s2, exec_lo
	v_cmpx_gt_i32_e64 s8, v0
	s_cbranch_execz .LBB28_140
.LBB28_139:
	s_clause 0x1
	s_load_b64 s[2:3], s[0:1], 0x20
	s_load_b32 s8, s[0:1], 0x30
	s_ashr_i32 s0, s15, 31
	s_waitcnt lgkmcnt(0)
	s_mul_i32 s1, s15, s3
	s_mul_hi_u32 s3, s15, s2
	s_mul_i32 s0, s0, s2
	s_add_i32 s1, s3, s1
	v_mul_f32_e32 v0, s8, v6
	s_add_i32 s1, s1, s0
	s_mul_i32 s0, s15, s2
	s_delay_alu instid0(SALU_CYCLE_1) | instskip(NEXT) | instid1(SALU_CYCLE_1)
	s_lshl_b64 s[0:1], s[0:1], 2
	s_add_u32 s2, s4, s0
	s_addc_u32 s3, s5, s1
	s_add_u32 s0, s6, s0
	s_addc_u32 s1, s7, s1
	s_clause 0x1
	global_store_b32 v183, v0, s[2:3]
	global_store_b32 v183, v1, s[0:1]
.LBB28_140:
	s_endpgm
.LBB28_141:
	v_dual_mov_b32 v1, 0 :: v_dual_mov_b32 v6, 0
	s_mov_b32 s2, exec_lo
	v_cmpx_gt_i32_e64 s8, v0
	s_cbranch_execnz .LBB28_139
	s_branch .LBB28_140
	.section	.rodata,"a",@progbits
	.p2align	6, 0x0
	.amdhsa_kernel _ZN5aiter24topk_softplus_kernel_optIffLi384ELb0ELi0EEEvPKT_PKT0_PfPimiif
		.amdhsa_group_segment_fixed_size 0
		.amdhsa_private_segment_fixed_size 196
		.amdhsa_kernarg_size 52
		.amdhsa_user_sgpr_count 15
		.amdhsa_user_sgpr_dispatch_ptr 0
		.amdhsa_user_sgpr_queue_ptr 0
		.amdhsa_user_sgpr_kernarg_segment_ptr 1
		.amdhsa_user_sgpr_dispatch_id 0
		.amdhsa_user_sgpr_private_segment_size 0
		.amdhsa_wavefront_size32 1
		.amdhsa_uses_dynamic_stack 0
		.amdhsa_enable_private_segment 1
		.amdhsa_system_sgpr_workgroup_id_x 1
		.amdhsa_system_sgpr_workgroup_id_y 0
		.amdhsa_system_sgpr_workgroup_id_z 0
		.amdhsa_system_sgpr_workgroup_info 0
		.amdhsa_system_vgpr_workitem_id 0
		.amdhsa_next_free_vgpr 184
		.amdhsa_next_free_sgpr 16
		.amdhsa_reserve_vcc 1
		.amdhsa_float_round_mode_32 0
		.amdhsa_float_round_mode_16_64 0
		.amdhsa_float_denorm_mode_32 3
		.amdhsa_float_denorm_mode_16_64 3
		.amdhsa_dx10_clamp 1
		.amdhsa_ieee_mode 1
		.amdhsa_fp16_overflow 0
		.amdhsa_workgroup_processor_mode 1
		.amdhsa_memory_ordered 1
		.amdhsa_forward_progress 0
		.amdhsa_shared_vgpr_count 0
		.amdhsa_exception_fp_ieee_invalid_op 0
		.amdhsa_exception_fp_denorm_src 0
		.amdhsa_exception_fp_ieee_div_zero 0
		.amdhsa_exception_fp_ieee_overflow 0
		.amdhsa_exception_fp_ieee_underflow 0
		.amdhsa_exception_fp_ieee_inexact 0
		.amdhsa_exception_int_div_zero 0
	.end_amdhsa_kernel
	.section	.text._ZN5aiter24topk_softplus_kernel_optIffLi384ELb0ELi0EEEvPKT_PKT0_PfPimiif,"axG",@progbits,_ZN5aiter24topk_softplus_kernel_optIffLi384ELb0ELi0EEEvPKT_PKT0_PfPimiif,comdat
.Lfunc_end28:
	.size	_ZN5aiter24topk_softplus_kernel_optIffLi384ELb0ELi0EEEvPKT_PKT0_PfPimiif, .Lfunc_end28-_ZN5aiter24topk_softplus_kernel_optIffLi384ELb0ELi0EEEvPKT_PKT0_PfPimiif
                                        ; -- End function
	.section	.AMDGPU.csdata,"",@progbits
; Kernel info:
; codeLenInByte = 30284
; NumSgprs: 18
; NumVgprs: 184
; ScratchSize: 196
; MemoryBound: 0
; FloatMode: 240
; IeeeMode: 1
; LDSByteSize: 0 bytes/workgroup (compile time only)
; SGPRBlocks: 2
; VGPRBlocks: 22
; NumSGPRsForWavesPerEU: 18
; NumVGPRsForWavesPerEU: 184
; Occupancy: 8
; WaveLimiterHint : 0
; COMPUTE_PGM_RSRC2:SCRATCH_EN: 1
; COMPUTE_PGM_RSRC2:USER_SGPR: 15
; COMPUTE_PGM_RSRC2:TRAP_HANDLER: 0
; COMPUTE_PGM_RSRC2:TGID_X_EN: 1
; COMPUTE_PGM_RSRC2:TGID_Y_EN: 0
; COMPUTE_PGM_RSRC2:TGID_Z_EN: 0
; COMPUTE_PGM_RSRC2:TIDIG_COMP_CNT: 0
	.section	.text._ZN5aiter20topk_softplus_kernelIffDv4_fLb1ELi0EEEvPKT_PKT0_PfPimiiif,"axG",@progbits,_ZN5aiter20topk_softplus_kernelIffDv4_fLb1ELi0EEEvPKT_PKT0_PfPimiiif,comdat
	.protected	_ZN5aiter20topk_softplus_kernelIffDv4_fLb1ELi0EEEvPKT_PKT0_PfPimiiif ; -- Begin function _ZN5aiter20topk_softplus_kernelIffDv4_fLb1ELi0EEEvPKT_PKT0_PfPimiiif
	.globl	_ZN5aiter20topk_softplus_kernelIffDv4_fLb1ELi0EEEvPKT_PKT0_PfPimiiif
	.p2align	8
	.type	_ZN5aiter20topk_softplus_kernelIffDv4_fLb1ELi0EEEvPKT_PKT0_PfPimiiif,@function
_ZN5aiter20topk_softplus_kernelIffDv4_fLb1ELi0EEEvPKT_PKT0_PfPimiiif: ; @_ZN5aiter20topk_softplus_kernelIffDv4_fLb1ELi0EEEvPKT_PKT0_PfPimiiif
; %bb.0:
	s_clause 0x1
	s_load_b64 s[12:13], s[0:1], 0x28
	s_load_b256 s[4:11], s[0:1], 0x0
	v_lshlrev_b32_e32 v11, 2, v0
	s_waitcnt lgkmcnt(0)
	s_ashr_i32 s2, s12, 31
	s_mul_i32 s16, s15, s12
	s_lshr_b32 s2, s2, 30
	s_ashr_i32 s17, s16, 31
	s_add_i32 s2, s12, s2
	s_delay_alu instid0(SALU_CYCLE_1) | instskip(NEXT) | instid1(SALU_CYCLE_1)
	s_ashr_i32 s14, s2, 2
	v_cmp_gt_i32_e64 s2, s14, v0
	s_delay_alu instid0(VALU_DEP_1)
	s_and_saveexec_b32 s18, s2
	s_cbranch_execz .LBB29_11
; %bb.1:
	s_load_b32 s3, s[0:1], 0x44
	s_cmp_lg_u64 s[6:7], 0
	v_dual_mov_b32 v6, 0 :: v_dual_lshlrev_b32 v1, 4, v0
	s_cselect_b32 s19, -1, 0
	v_lshlrev_b32_e32 v5, 2, v0
	s_delay_alu instid0(VALU_DEP_2)
	v_dual_mov_b32 v13, v0 :: v_dual_add_nc_u32 v12, 0, v1
	s_waitcnt lgkmcnt(0)
	s_and_b32 s20, s3, 0xffff
	s_add_u32 s21, s6, 4
	s_addc_u32 s22, s7, 0
	s_add_u32 s23, s6, 8
	s_addc_u32 s24, s7, 0
	s_add_u32 s25, s6, 12
	s_addc_u32 s26, s7, 0
	s_lshl_b64 s[28:29], s[16:17], 2
	s_delay_alu instid0(SALU_CYCLE_1) | instskip(SKIP_2) | instid1(VALU_DEP_1)
	s_add_u32 s3, s4, s28
	s_addc_u32 s27, s5, s29
	v_add_co_u32 v7, s3, s3, v1
	v_add_co_ci_u32_e64 v8, null, s27, 0, s3
	s_mov_b32 s27, 0
	s_lshl_b32 s28, s20, 4
	s_lshl_b32 s29, s20, 2
	s_branch .LBB29_3
.LBB29_2:                               ;   in Loop: Header=BB29_3 Depth=1
	v_add_nc_u32_e32 v13, s20, v13
	v_add_co_u32 v7, s3, v7, s28
	ds_store_b128 v12, v[1:4]
	v_add_co_ci_u32_e64 v8, s3, 0, v8, s3
	v_cmp_le_i32_e32 vcc_lo, s14, v13
	v_add_nc_u32_e32 v5, s29, v5
	v_add_nc_u32_e32 v12, s28, v12
	s_or_b32 s27, vcc_lo, s27
	s_delay_alu instid0(SALU_CYCLE_1)
	s_and_not1_b32 exec_lo, exec_lo, s27
	s_cbranch_execz .LBB29_11
.LBB29_3:                               ; =>This Inner Loop Header: Depth=1
	global_load_b128 v[1:4], v[7:8], off
	s_waitcnt vmcnt(0)
	v_mul_f32_e32 v9, 0x3fb8aa3b, v1
	s_delay_alu instid0(VALU_DEP_1) | instskip(SKIP_2) | instid1(VALU_DEP_2)
	v_cmp_gt_f32_e32 vcc_lo, 0xc2fc0000, v9
	v_cndmask_b32_e64 v10, 0, 0x42800000, vcc_lo
	v_cndmask_b32_e64 v9, 1.0, 0x1f800000, vcc_lo
	v_fmac_f32_e32 v10, 0x3fb8aa3b, v1
	s_delay_alu instid0(VALU_DEP_1) | instskip(SKIP_2) | instid1(VALU_DEP_1)
	v_exp_f32_e32 v10, v10
	s_waitcnt_depctr 0xfff
	v_fma_f32 v9, v10, v9, 1.0
	v_cmp_gt_f32_e32 vcc_lo, 0x800000, v9
	v_cndmask_b32_e64 v10, 1.0, 0x4f800000, vcc_lo
	s_delay_alu instid0(VALU_DEP_1) | instskip(SKIP_2) | instid1(VALU_DEP_3)
	v_mul_f32_e32 v9, v9, v10
	v_cndmask_b32_e64 v10, 0, 0x42000000, vcc_lo
	v_cmp_lt_f32_e32 vcc_lo, 0x41a00000, v1
	v_log_f32_e32 v9, v9
	s_waitcnt_depctr 0xfff
	v_sub_f32_e32 v9, v9, v10
	s_delay_alu instid0(VALU_DEP_1) | instskip(NEXT) | instid1(VALU_DEP_1)
	v_mul_f32_e32 v9, 0x3f317218, v9
	v_cndmask_b32_e32 v1, v9, v1, vcc_lo
	s_delay_alu instid0(VALU_DEP_1) | instskip(SKIP_1) | instid1(VALU_DEP_2)
	v_mul_f32_e32 v9, 0x4f800000, v1
	v_cmp_gt_f32_e32 vcc_lo, 0xf800000, v1
	v_cndmask_b32_e32 v1, v1, v9, vcc_lo
	s_delay_alu instid0(VALU_DEP_1) | instskip(SKIP_3) | instid1(VALU_DEP_2)
	v_sqrt_f32_e32 v9, v1
	s_waitcnt_depctr 0xfff
	v_add_nc_u32_e32 v10, -1, v9
	v_add_nc_u32_e32 v14, 1, v9
	v_fma_f32 v15, -v10, v9, v1
	s_delay_alu instid0(VALU_DEP_2) | instskip(NEXT) | instid1(VALU_DEP_2)
	v_fma_f32 v16, -v14, v9, v1
	v_cmp_ge_f32_e64 s3, 0, v15
	s_delay_alu instid0(VALU_DEP_1) | instskip(NEXT) | instid1(VALU_DEP_3)
	v_cndmask_b32_e64 v9, v9, v10, s3
	v_cmp_lt_f32_e64 s3, 0, v16
	s_delay_alu instid0(VALU_DEP_1) | instskip(NEXT) | instid1(VALU_DEP_1)
	v_cndmask_b32_e64 v9, v9, v14, s3
	v_mul_f32_e32 v10, 0x37800000, v9
	s_delay_alu instid0(VALU_DEP_1) | instskip(SKIP_2) | instid1(VALU_DEP_3)
	v_cndmask_b32_e32 v14, v9, v10, vcc_lo
	v_cmp_class_f32_e64 vcc_lo, v1, 0x260
	v_lshlrev_b64 v[9:10], 2, v[5:6]
	v_cndmask_b32_e32 v1, v14, v1, vcc_lo
	s_and_not1_b32 vcc_lo, exec_lo, s19
	s_cbranch_vccnz .LBB29_5
; %bb.4:                                ;   in Loop: Header=BB29_3 Depth=1
	s_delay_alu instid0(VALU_DEP_2) | instskip(NEXT) | instid1(VALU_DEP_3)
	v_add_co_u32 v14, vcc_lo, s6, v9
	v_add_co_ci_u32_e32 v15, vcc_lo, s7, v10, vcc_lo
	global_load_b32 v14, v[14:15], off
	s_waitcnt vmcnt(0)
	v_add_f32_e32 v1, v1, v14
.LBB29_5:                               ;   in Loop: Header=BB29_3 Depth=1
	v_mul_f32_e32 v14, 0x3fb8aa3b, v2
	s_delay_alu instid0(VALU_DEP_1) | instskip(SKIP_2) | instid1(VALU_DEP_2)
	v_cmp_gt_f32_e32 vcc_lo, 0xc2fc0000, v14
	v_cndmask_b32_e64 v15, 0, 0x42800000, vcc_lo
	v_cndmask_b32_e64 v14, 1.0, 0x1f800000, vcc_lo
	v_fmac_f32_e32 v15, 0x3fb8aa3b, v2
	s_delay_alu instid0(VALU_DEP_1) | instskip(SKIP_2) | instid1(VALU_DEP_1)
	v_exp_f32_e32 v15, v15
	s_waitcnt_depctr 0xfff
	v_fma_f32 v14, v15, v14, 1.0
	v_cmp_gt_f32_e32 vcc_lo, 0x800000, v14
	v_cndmask_b32_e64 v15, 1.0, 0x4f800000, vcc_lo
	s_delay_alu instid0(VALU_DEP_1) | instskip(SKIP_2) | instid1(VALU_DEP_3)
	v_mul_f32_e32 v14, v14, v15
	v_cndmask_b32_e64 v15, 0, 0x42000000, vcc_lo
	v_cmp_lt_f32_e32 vcc_lo, 0x41a00000, v2
	v_log_f32_e32 v14, v14
	s_waitcnt_depctr 0xfff
	v_sub_f32_e32 v14, v14, v15
	s_delay_alu instid0(VALU_DEP_1) | instskip(NEXT) | instid1(VALU_DEP_1)
	v_mul_f32_e32 v14, 0x3f317218, v14
	v_cndmask_b32_e32 v2, v14, v2, vcc_lo
	s_delay_alu instid0(VALU_DEP_1) | instskip(SKIP_1) | instid1(VALU_DEP_2)
	v_mul_f32_e32 v14, 0x4f800000, v2
	v_cmp_gt_f32_e32 vcc_lo, 0xf800000, v2
	v_cndmask_b32_e32 v2, v2, v14, vcc_lo
	s_delay_alu instid0(VALU_DEP_1) | instskip(SKIP_3) | instid1(VALU_DEP_2)
	v_sqrt_f32_e32 v14, v2
	s_waitcnt_depctr 0xfff
	v_add_nc_u32_e32 v15, -1, v14
	v_add_nc_u32_e32 v16, 1, v14
	v_fma_f32 v17, -v15, v14, v2
	s_delay_alu instid0(VALU_DEP_2) | instskip(NEXT) | instid1(VALU_DEP_2)
	v_fma_f32 v18, -v16, v14, v2
	v_cmp_ge_f32_e64 s3, 0, v17
	s_delay_alu instid0(VALU_DEP_1) | instskip(NEXT) | instid1(VALU_DEP_3)
	v_cndmask_b32_e64 v14, v14, v15, s3
	v_cmp_lt_f32_e64 s3, 0, v18
	s_delay_alu instid0(VALU_DEP_1) | instskip(NEXT) | instid1(VALU_DEP_1)
	v_cndmask_b32_e64 v14, v14, v16, s3
	v_mul_f32_e32 v15, 0x37800000, v14
	s_delay_alu instid0(VALU_DEP_1) | instskip(SKIP_1) | instid1(VALU_DEP_2)
	v_cndmask_b32_e32 v14, v14, v15, vcc_lo
	v_cmp_class_f32_e64 vcc_lo, v2, 0x260
	v_cndmask_b32_e32 v2, v14, v2, vcc_lo
	s_and_not1_b32 vcc_lo, exec_lo, s19
	s_cbranch_vccnz .LBB29_7
; %bb.6:                                ;   in Loop: Header=BB29_3 Depth=1
	v_add_co_u32 v14, vcc_lo, s21, v9
	v_add_co_ci_u32_e32 v15, vcc_lo, s22, v10, vcc_lo
	global_load_b32 v14, v[14:15], off
	s_waitcnt vmcnt(0)
	v_add_f32_e32 v2, v2, v14
.LBB29_7:                               ;   in Loop: Header=BB29_3 Depth=1
	v_mul_f32_e32 v14, 0x3fb8aa3b, v3
	s_delay_alu instid0(VALU_DEP_1) | instskip(SKIP_2) | instid1(VALU_DEP_2)
	v_cmp_gt_f32_e32 vcc_lo, 0xc2fc0000, v14
	v_cndmask_b32_e64 v15, 0, 0x42800000, vcc_lo
	v_cndmask_b32_e64 v14, 1.0, 0x1f800000, vcc_lo
	v_fmac_f32_e32 v15, 0x3fb8aa3b, v3
	s_delay_alu instid0(VALU_DEP_1) | instskip(SKIP_2) | instid1(VALU_DEP_1)
	v_exp_f32_e32 v15, v15
	s_waitcnt_depctr 0xfff
	v_fma_f32 v14, v15, v14, 1.0
	v_cmp_gt_f32_e32 vcc_lo, 0x800000, v14
	v_cndmask_b32_e64 v15, 1.0, 0x4f800000, vcc_lo
	s_delay_alu instid0(VALU_DEP_1) | instskip(SKIP_2) | instid1(VALU_DEP_3)
	v_mul_f32_e32 v14, v14, v15
	v_cndmask_b32_e64 v15, 0, 0x42000000, vcc_lo
	v_cmp_lt_f32_e32 vcc_lo, 0x41a00000, v3
	v_log_f32_e32 v14, v14
	s_waitcnt_depctr 0xfff
	v_sub_f32_e32 v14, v14, v15
	s_delay_alu instid0(VALU_DEP_1) | instskip(NEXT) | instid1(VALU_DEP_1)
	v_mul_f32_e32 v14, 0x3f317218, v14
	v_cndmask_b32_e32 v3, v14, v3, vcc_lo
	s_delay_alu instid0(VALU_DEP_1) | instskip(SKIP_1) | instid1(VALU_DEP_2)
	v_mul_f32_e32 v14, 0x4f800000, v3
	v_cmp_gt_f32_e32 vcc_lo, 0xf800000, v3
	v_cndmask_b32_e32 v3, v3, v14, vcc_lo
	s_delay_alu instid0(VALU_DEP_1) | instskip(SKIP_3) | instid1(VALU_DEP_2)
	v_sqrt_f32_e32 v14, v3
	s_waitcnt_depctr 0xfff
	v_add_nc_u32_e32 v15, -1, v14
	v_add_nc_u32_e32 v16, 1, v14
	v_fma_f32 v17, -v15, v14, v3
	s_delay_alu instid0(VALU_DEP_2) | instskip(NEXT) | instid1(VALU_DEP_2)
	v_fma_f32 v18, -v16, v14, v3
	v_cmp_ge_f32_e64 s3, 0, v17
	s_delay_alu instid0(VALU_DEP_1) | instskip(NEXT) | instid1(VALU_DEP_3)
	v_cndmask_b32_e64 v14, v14, v15, s3
	v_cmp_lt_f32_e64 s3, 0, v18
	s_delay_alu instid0(VALU_DEP_1) | instskip(NEXT) | instid1(VALU_DEP_1)
	v_cndmask_b32_e64 v14, v14, v16, s3
	v_mul_f32_e32 v15, 0x37800000, v14
	s_delay_alu instid0(VALU_DEP_1) | instskip(SKIP_1) | instid1(VALU_DEP_2)
	v_cndmask_b32_e32 v14, v14, v15, vcc_lo
	v_cmp_class_f32_e64 vcc_lo, v3, 0x260
	v_cndmask_b32_e32 v3, v14, v3, vcc_lo
	s_and_not1_b32 vcc_lo, exec_lo, s19
	s_cbranch_vccnz .LBB29_9
; %bb.8:                                ;   in Loop: Header=BB29_3 Depth=1
	v_add_co_u32 v14, vcc_lo, s23, v9
	v_add_co_ci_u32_e32 v15, vcc_lo, s24, v10, vcc_lo
	global_load_b32 v14, v[14:15], off
	s_waitcnt vmcnt(0)
	v_add_f32_e32 v3, v3, v14
.LBB29_9:                               ;   in Loop: Header=BB29_3 Depth=1
	v_mul_f32_e32 v14, 0x3fb8aa3b, v4
	s_delay_alu instid0(VALU_DEP_1) | instskip(SKIP_2) | instid1(VALU_DEP_2)
	v_cmp_gt_f32_e32 vcc_lo, 0xc2fc0000, v14
	v_cndmask_b32_e64 v15, 0, 0x42800000, vcc_lo
	v_cndmask_b32_e64 v14, 1.0, 0x1f800000, vcc_lo
	v_fmac_f32_e32 v15, 0x3fb8aa3b, v4
	s_delay_alu instid0(VALU_DEP_1) | instskip(SKIP_2) | instid1(VALU_DEP_1)
	v_exp_f32_e32 v15, v15
	s_waitcnt_depctr 0xfff
	v_fma_f32 v14, v15, v14, 1.0
	v_cmp_gt_f32_e32 vcc_lo, 0x800000, v14
	v_cndmask_b32_e64 v15, 1.0, 0x4f800000, vcc_lo
	s_delay_alu instid0(VALU_DEP_1) | instskip(SKIP_2) | instid1(VALU_DEP_3)
	v_mul_f32_e32 v14, v14, v15
	v_cndmask_b32_e64 v15, 0, 0x42000000, vcc_lo
	v_cmp_lt_f32_e32 vcc_lo, 0x41a00000, v4
	v_log_f32_e32 v14, v14
	s_waitcnt_depctr 0xfff
	v_sub_f32_e32 v14, v14, v15
	s_delay_alu instid0(VALU_DEP_1) | instskip(NEXT) | instid1(VALU_DEP_1)
	v_mul_f32_e32 v14, 0x3f317218, v14
	v_cndmask_b32_e32 v4, v14, v4, vcc_lo
	s_delay_alu instid0(VALU_DEP_1) | instskip(SKIP_1) | instid1(VALU_DEP_2)
	v_mul_f32_e32 v14, 0x4f800000, v4
	v_cmp_gt_f32_e32 vcc_lo, 0xf800000, v4
	v_cndmask_b32_e32 v4, v4, v14, vcc_lo
	s_delay_alu instid0(VALU_DEP_1) | instskip(SKIP_3) | instid1(VALU_DEP_2)
	v_sqrt_f32_e32 v14, v4
	s_waitcnt_depctr 0xfff
	v_add_nc_u32_e32 v15, -1, v14
	v_add_nc_u32_e32 v16, 1, v14
	v_fma_f32 v17, -v15, v14, v4
	s_delay_alu instid0(VALU_DEP_2) | instskip(NEXT) | instid1(VALU_DEP_2)
	v_fma_f32 v18, -v16, v14, v4
	v_cmp_ge_f32_e64 s3, 0, v17
	s_delay_alu instid0(VALU_DEP_1) | instskip(NEXT) | instid1(VALU_DEP_3)
	v_cndmask_b32_e64 v14, v14, v15, s3
	v_cmp_lt_f32_e64 s3, 0, v18
	s_delay_alu instid0(VALU_DEP_1) | instskip(NEXT) | instid1(VALU_DEP_1)
	v_cndmask_b32_e64 v14, v14, v16, s3
	v_mul_f32_e32 v15, 0x37800000, v14
	s_delay_alu instid0(VALU_DEP_1) | instskip(SKIP_1) | instid1(VALU_DEP_2)
	v_cndmask_b32_e32 v14, v14, v15, vcc_lo
	v_cmp_class_f32_e64 vcc_lo, v4, 0x260
	v_cndmask_b32_e32 v4, v14, v4, vcc_lo
	s_and_not1_b32 vcc_lo, exec_lo, s19
	s_cbranch_vccnz .LBB29_2
; %bb.10:                               ;   in Loop: Header=BB29_3 Depth=1
	v_add_co_u32 v9, vcc_lo, s25, v9
	v_add_co_ci_u32_e32 v10, vcc_lo, s26, v10, vcc_lo
	global_load_b32 v9, v[9:10], off
	s_waitcnt vmcnt(0)
	v_add_f32_e32 v4, v4, v9
	s_branch .LBB29_2
.LBB29_11:
	s_or_b32 exec_lo, exec_lo, s18
	v_lshl_add_u32 v1, s14, 2, v0
	s_mov_b32 s18, exec_lo
	s_delay_alu instid0(VALU_DEP_1)
	v_cmpx_gt_i32_e64 s12, v1
	s_cbranch_execz .LBB29_16
; %bb.12:
	s_load_b32 s3, s[0:1], 0x44
	s_lshl_b64 s[16:17], s[16:17], 2
	v_lshlrev_b32_e32 v2, 2, v0
	s_add_u32 s4, s4, s16
	s_addc_u32 s5, s5, s17
	s_cmp_lg_u64 s[6:7], 0
	s_mov_b32 s19, 0
	s_cselect_b32 s16, -1, 0
	s_lshl_b32 s17, s14, 4
	s_delay_alu instid0(SALU_CYCLE_1) | instskip(SKIP_2) | instid1(SALU_CYCLE_1)
	v_add3_u32 v4, 0, s17, v2
	s_waitcnt lgkmcnt(0)
	s_and_b32 s17, s3, 0xffff
	s_lshl_b32 s20, s17, 2
	s_branch .LBB29_14
.LBB29_13:                              ;   in Loop: Header=BB29_14 Depth=1
	v_add_nc_u32_e32 v1, s17, v1
	v_add_nc_u32_e32 v4, s20, v4
	s_delay_alu instid0(VALU_DEP_2) | instskip(SKIP_1) | instid1(SALU_CYCLE_1)
	v_cmp_le_i32_e32 vcc_lo, s12, v1
	s_or_b32 s19, vcc_lo, s19
	s_and_not1_b32 exec_lo, exec_lo, s19
	s_cbranch_execz .LBB29_16
.LBB29_14:                              ; =>This Inner Loop Header: Depth=1
	v_ashrrev_i32_e32 v2, 31, v1
	s_delay_alu instid0(VALU_DEP_1) | instskip(NEXT) | instid1(VALU_DEP_1)
	v_lshlrev_b64 v[2:3], 2, v[1:2]
	v_add_co_u32 v5, vcc_lo, s4, v2
	s_delay_alu instid0(VALU_DEP_2) | instskip(SKIP_3) | instid1(VALU_DEP_1)
	v_add_co_ci_u32_e32 v6, vcc_lo, s5, v3, vcc_lo
	global_load_b32 v5, v[5:6], off
	s_waitcnt vmcnt(0)
	v_mul_f32_e32 v6, 0x3fb8aa3b, v5
	v_cmp_gt_f32_e32 vcc_lo, 0xc2fc0000, v6
	v_cndmask_b32_e64 v6, 0, 0x42800000, vcc_lo
	v_cndmask_b32_e64 v7, 1.0, 0x1f800000, vcc_lo
	s_delay_alu instid0(VALU_DEP_2) | instskip(NEXT) | instid1(VALU_DEP_1)
	v_fmac_f32_e32 v6, 0x3fb8aa3b, v5
	v_exp_f32_e32 v6, v6
	s_waitcnt_depctr 0xfff
	v_fma_f32 v6, v6, v7, 1.0
	s_delay_alu instid0(VALU_DEP_1) | instskip(SKIP_1) | instid1(VALU_DEP_1)
	v_cmp_gt_f32_e32 vcc_lo, 0x800000, v6
	v_cndmask_b32_e64 v7, 1.0, 0x4f800000, vcc_lo
	v_mul_f32_e32 v6, v6, v7
	v_cndmask_b32_e64 v7, 0, 0x42000000, vcc_lo
	v_cmp_lt_f32_e32 vcc_lo, 0x41a00000, v5
	s_delay_alu instid0(VALU_DEP_3) | instskip(SKIP_2) | instid1(VALU_DEP_1)
	v_log_f32_e32 v6, v6
	s_waitcnt_depctr 0xfff
	v_sub_f32_e32 v6, v6, v7
	v_mul_f32_e32 v6, 0x3f317218, v6
	s_delay_alu instid0(VALU_DEP_1) | instskip(NEXT) | instid1(VALU_DEP_1)
	v_cndmask_b32_e32 v5, v6, v5, vcc_lo
	v_mul_f32_e32 v6, 0x4f800000, v5
	v_cmp_gt_f32_e32 vcc_lo, 0xf800000, v5
	s_delay_alu instid0(VALU_DEP_2) | instskip(NEXT) | instid1(VALU_DEP_1)
	v_cndmask_b32_e32 v5, v5, v6, vcc_lo
	v_sqrt_f32_e32 v6, v5
	s_waitcnt_depctr 0xfff
	v_add_nc_u32_e32 v7, -1, v6
	v_add_nc_u32_e32 v8, 1, v6
	s_delay_alu instid0(VALU_DEP_2) | instskip(NEXT) | instid1(VALU_DEP_2)
	v_fma_f32 v9, -v7, v6, v5
	v_fma_f32 v10, -v8, v6, v5
	s_delay_alu instid0(VALU_DEP_2) | instskip(NEXT) | instid1(VALU_DEP_1)
	v_cmp_ge_f32_e64 s3, 0, v9
	v_cndmask_b32_e64 v6, v6, v7, s3
	s_delay_alu instid0(VALU_DEP_3) | instskip(NEXT) | instid1(VALU_DEP_1)
	v_cmp_lt_f32_e64 s3, 0, v10
	v_cndmask_b32_e64 v6, v6, v8, s3
	s_delay_alu instid0(VALU_DEP_1) | instskip(NEXT) | instid1(VALU_DEP_1)
	v_mul_f32_e32 v7, 0x37800000, v6
	v_cndmask_b32_e32 v6, v6, v7, vcc_lo
	v_cmp_class_f32_e64 vcc_lo, v5, 0x260
	s_delay_alu instid0(VALU_DEP_2)
	v_cndmask_b32_e32 v5, v6, v5, vcc_lo
	s_and_not1_b32 vcc_lo, exec_lo, s16
	ds_store_b32 v4, v5
	s_cbranch_vccnz .LBB29_13
; %bb.15:                               ;   in Loop: Header=BB29_14 Depth=1
	v_add_co_u32 v2, vcc_lo, s6, v2
	v_add_co_ci_u32_e32 v3, vcc_lo, s7, v3, vcc_lo
	global_load_b32 v2, v[2:3], off
	s_waitcnt vmcnt(0)
	v_add_f32_e32 v2, v5, v2
	ds_store_b32 v4, v2
	s_branch .LBB29_13
.LBB29_16:
	s_or_b32 exec_lo, exec_lo, s18
	v_mov_b32_e32 v2, 0
	s_cmp_lt_i32 s13, 1
	s_waitcnt lgkmcnt(0)
	s_barrier
	buffer_gl0_inv
	s_cbranch_scc1 .LBB29_25
; %bb.17:
	s_add_u32 s4, s0, 56
	s_addc_u32 s5, s1, 0
	v_lshl_add_u32 v4, v0, 4, 0
	v_dual_mov_b32 v2, 0 :: v_dual_mov_b32 v5, 0xff800000
	v_mov_b32_e32 v1, 0
	v_mov_b32_e32 v3, 0
	s_cmp_lg_u64 s[6:7], 0
	s_mov_b32 s18, 0
	s_cselect_b32 s12, -1, 0
	s_mov_b32 s19, 0x76543210
	s_branch .LBB29_19
.LBB29_18:                              ;   in Loop: Header=BB29_19 Depth=1
	v_cmp_eq_u32_e32 vcc_lo, s18, v0
	s_delay_alu instid0(VALU_DEP_2)
	s_lshl_b32 s3, s16, 2
	s_add_i32 s18, s18, 1
	s_add_i32 s3, s3, 0
	v_add_f32_e32 v3, v3, v8
	v_cndmask_b32_e64 v1, v1, s16, vcc_lo
	v_mov_b32_e32 v6, s3
	v_cndmask_b32_e32 v2, v2, v8, vcc_lo
	s_cmp_eq_u32 s18, s13
	ds_store_b32 v6, v5
	s_cbranch_scc1 .LBB29_26
.LBB29_19:                              ; =>This Loop Header: Depth=1
                                        ;     Child Loop BB29_21 Depth 2
	v_dual_mov_b32 v6, s18 :: v_dual_mov_b32 v7, 0xff800000
	s_and_saveexec_b32 s16, s2
	s_cbranch_execz .LBB29_23
; %bb.20:                               ;   in Loop: Header=BB29_19 Depth=1
	s_load_b32 s3, s[4:5], 0xc
	v_dual_mov_b32 v6, s18 :: v_dual_mov_b32 v7, 0xff800000
	v_dual_mov_b32 v8, v4 :: v_dual_mov_b32 v9, v11
	v_mov_b32_e32 v10, v0
	s_mov_b32 s21, 0
	s_waitcnt lgkmcnt(0)
	s_and_b32 s17, s3, 0xffff
	s_delay_alu instid0(SALU_CYCLE_1)
	s_lshl_b32 s20, s17, 2
	s_lshl_b32 s22, s17, 4
	.p2align	6
.LBB29_21:                              ;   Parent Loop BB29_19 Depth=1
                                        ; =>  This Inner Loop Header: Depth=2
	ds_load_b128 v[12:15], v8
	v_add_nc_u32_e32 v8, s22, v8
	s_waitcnt lgkmcnt(0)
	v_cmp_gt_f32_e32 vcc_lo, v12, v7
	v_dual_cndmask_b32 v7, v7, v12 :: v_dual_add_nc_u32 v12, 1, v9
	v_cndmask_b32_e32 v6, v6, v9, vcc_lo
	s_delay_alu instid0(VALU_DEP_2) | instskip(NEXT) | instid1(VALU_DEP_2)
	v_cmp_gt_f32_e32 vcc_lo, v13, v7
	v_dual_cndmask_b32 v7, v7, v13 :: v_dual_cndmask_b32 v6, v6, v12
	v_add_nc_u32_e32 v12, 3, v9
	v_add_nc_u32_e32 v13, 2, v9
	;; [unrolled: 1-line block ×3, first 2 shown]
	s_delay_alu instid0(VALU_DEP_4) | instskip(NEXT) | instid1(VALU_DEP_3)
	v_cmp_gt_f32_e32 vcc_lo, v14, v7
	v_dual_cndmask_b32 v7, v7, v14 :: v_dual_cndmask_b32 v6, v6, v13
	s_delay_alu instid0(VALU_DEP_1) | instskip(SKIP_1) | instid1(VALU_DEP_1)
	v_cmp_gt_f32_e32 vcc_lo, v15, v7
	v_dual_cndmask_b32 v7, v7, v15 :: v_dual_add_nc_u32 v10, s17, v10
	v_cmp_le_i32_e64 s3, s14, v10
	s_delay_alu instid0(VALU_DEP_4) | instskip(NEXT) | instid1(VALU_DEP_2)
	v_cndmask_b32_e32 v6, v6, v12, vcc_lo
	s_or_b32 s21, s3, s21
	s_delay_alu instid0(SALU_CYCLE_1)
	s_and_not1_b32 exec_lo, exec_lo, s21
	s_cbranch_execnz .LBB29_21
; %bb.22:                               ;   in Loop: Header=BB29_19 Depth=1
	s_or_b32 exec_lo, exec_lo, s21
.LBB29_23:                              ;   in Loop: Header=BB29_19 Depth=1
	s_delay_alu instid0(SALU_CYCLE_1)
	s_or_b32 exec_lo, exec_lo, s16
	;;#ASMSTART
	v_max_f32 v8, v7, v7 quad_perm:[1,0,3,2] row_mask:0xf bank_mask:0xf bound_ctrl:1
	;;#ASMEND
	;;#ASMSTART
	v_max_f32 v9, v8, v8 quad_perm:[2,3,0,1] row_mask:0xf bank_mask:0xf bound_ctrl:1
	;;#ASMEND
	;;#ASMSTART
	v_max_f32 v8, v9, v9 row_half_mirror row_mask:0xf bank_mask:0xf bound_ctrl:1
	;;#ASMEND
	;;#ASMSTART
	v_max_f32 v9, v8, v8 row_mirror row_mask:0xf bank_mask:0xf bound_ctrl:1
	;;#ASMEND
	v_permlanex16_b32 v8, v9, s19, 0xfedcba98 op_sel:[1,1]
	s_delay_alu instid0(VALU_DEP_1) | instskip(NEXT) | instid1(VALU_DEP_1)
	v_dual_max_f32 v9, v9, v9 :: v_dual_max_f32 v8, v8, v8
	v_max_f32_e32 v8, v9, v8
	s_delay_alu instid0(VALU_DEP_1)
	v_cmp_eq_f32_e32 vcc_lo, v7, v8
	s_ctz_i32_b32 s3, vcc_lo
	s_cmp_lg_u32 vcc_lo, 0
	s_cselect_b32 s3, s3, 0
	s_and_b32 vcc_lo, exec_lo, s12
	v_readlane_b32 s16, v6, s3
	s_cbranch_vccz .LBB29_18
; %bb.24:                               ;   in Loop: Header=BB29_19 Depth=1
	s_delay_alu instid0(VALU_DEP_1) | instskip(NEXT) | instid1(SALU_CYCLE_1)
	s_ashr_i32 s17, s16, 31
	s_lshl_b64 s[20:21], s[16:17], 2
	s_delay_alu instid0(SALU_CYCLE_1)
	s_add_u32 s20, s6, s20
	s_addc_u32 s21, s7, s21
	s_load_b32 s3, s[20:21], 0x0
	s_waitcnt lgkmcnt(0)
	v_subrev_f32_e32 v8, s3, v8
	s_branch .LBB29_18
.LBB29_25:
	v_mov_b32_e32 v1, 0
	v_mov_b32_e32 v3, 0
.LBB29_26:
	s_mov_b32 s2, exec_lo
	v_cmpx_gt_i32_e64 s13, v0
	s_cbranch_execz .LBB29_29
; %bb.27:
	s_clause 0x1
	s_load_b32 s2, s[0:1], 0x34
	s_load_b32 s3, s[0:1], 0x44
	v_max_f32_e32 v3, v3, v3
	s_load_b64 s[0:1], s[0:1], 0x20
	s_ashr_i32 s4, s15, 31
	s_delay_alu instid0(VALU_DEP_1) | instskip(SKIP_1) | instid1(VALU_DEP_1)
	v_max_f32_e32 v3, 0x1e3ce508, v3
	s_waitcnt lgkmcnt(0)
	v_div_scale_f32 v4, null, v3, v3, s2
	v_div_scale_f32 v7, vcc_lo, s2, v3, s2
	s_mul_i32 s1, s15, s1
	s_delay_alu instid0(VALU_DEP_2) | instskip(SKIP_4) | instid1(VALU_DEP_1)
	v_rcp_f32_e32 v5, v4
	s_mul_i32 s4, s4, s0
	s_and_b32 s3, s3, 0xffff
	s_waitcnt_depctr 0xfff
	v_fma_f32 v6, -v4, v5, 1.0
	v_fmac_f32_e32 v5, v6, v5
	s_delay_alu instid0(VALU_DEP_1) | instskip(NEXT) | instid1(VALU_DEP_1)
	v_mul_f32_e32 v6, v7, v5
	v_fma_f32 v8, -v4, v6, v7
	s_delay_alu instid0(VALU_DEP_1) | instskip(NEXT) | instid1(VALU_DEP_1)
	v_fmac_f32_e32 v6, v8, v5
	v_fma_f32 v4, -v4, v6, v7
	s_delay_alu instid0(VALU_DEP_1) | instskip(NEXT) | instid1(VALU_DEP_1)
	v_div_fmas_f32 v4, v4, v5, v6
	v_div_fixup_f32 v3, v4, v3, s2
	s_mul_hi_u32 s2, s15, s0
	s_delay_alu instid0(SALU_CYCLE_1) | instskip(SKIP_1) | instid1(VALU_DEP_1)
	s_add_i32 s1, s2, s1
	s_mul_i32 s2, s15, s0
	v_mul_f32_e32 v2, v2, v3
	s_add_i32 s1, s1, s4
	s_mov_b32 s4, 0
	.p2align	6
.LBB29_28:                              ; =>This Inner Loop Header: Depth=1
	v_ashrrev_i32_e32 v4, 31, v0
	v_add_co_u32 v3, vcc_lo, s2, v0
	v_add_nc_u32_e32 v0, s3, v0
	s_delay_alu instid0(VALU_DEP_3) | instskip(NEXT) | instid1(VALU_DEP_2)
	v_add_co_ci_u32_e32 v4, vcc_lo, s1, v4, vcc_lo
	v_cmp_le_i32_e32 vcc_lo, s13, v0
	s_delay_alu instid0(VALU_DEP_2) | instskip(SKIP_1) | instid1(VALU_DEP_1)
	v_lshlrev_b64 v[3:4], 2, v[3:4]
	s_or_b32 s4, vcc_lo, s4
	v_add_co_u32 v5, s0, s8, v3
	s_delay_alu instid0(VALU_DEP_1) | instskip(SKIP_1) | instid1(VALU_DEP_1)
	v_add_co_ci_u32_e64 v6, s0, s9, v4, s0
	v_add_co_u32 v3, s0, s10, v3
	v_add_co_ci_u32_e64 v4, s0, s11, v4, s0
	global_store_b32 v[5:6], v2, off
	global_store_b32 v[3:4], v1, off
	s_and_not1_b32 exec_lo, exec_lo, s4
	s_cbranch_execnz .LBB29_28
.LBB29_29:
	s_nop 0
	s_sendmsg sendmsg(MSG_DEALLOC_VGPRS)
	s_endpgm
	.section	.rodata,"a",@progbits
	.p2align	6, 0x0
	.amdhsa_kernel _ZN5aiter20topk_softplus_kernelIffDv4_fLb1ELi0EEEvPKT_PKT0_PfPimiiif
		.amdhsa_group_segment_fixed_size 0
		.amdhsa_private_segment_fixed_size 0
		.amdhsa_kernarg_size 312
		.amdhsa_user_sgpr_count 15
		.amdhsa_user_sgpr_dispatch_ptr 0
		.amdhsa_user_sgpr_queue_ptr 0
		.amdhsa_user_sgpr_kernarg_segment_ptr 1
		.amdhsa_user_sgpr_dispatch_id 0
		.amdhsa_user_sgpr_private_segment_size 0
		.amdhsa_wavefront_size32 1
		.amdhsa_uses_dynamic_stack 0
		.amdhsa_enable_private_segment 0
		.amdhsa_system_sgpr_workgroup_id_x 1
		.amdhsa_system_sgpr_workgroup_id_y 0
		.amdhsa_system_sgpr_workgroup_id_z 0
		.amdhsa_system_sgpr_workgroup_info 0
		.amdhsa_system_vgpr_workitem_id 0
		.amdhsa_next_free_vgpr 19
		.amdhsa_next_free_sgpr 30
		.amdhsa_reserve_vcc 1
		.amdhsa_float_round_mode_32 0
		.amdhsa_float_round_mode_16_64 0
		.amdhsa_float_denorm_mode_32 3
		.amdhsa_float_denorm_mode_16_64 3
		.amdhsa_dx10_clamp 1
		.amdhsa_ieee_mode 1
		.amdhsa_fp16_overflow 0
		.amdhsa_workgroup_processor_mode 1
		.amdhsa_memory_ordered 1
		.amdhsa_forward_progress 0
		.amdhsa_shared_vgpr_count 0
		.amdhsa_exception_fp_ieee_invalid_op 0
		.amdhsa_exception_fp_denorm_src 0
		.amdhsa_exception_fp_ieee_div_zero 0
		.amdhsa_exception_fp_ieee_overflow 0
		.amdhsa_exception_fp_ieee_underflow 0
		.amdhsa_exception_fp_ieee_inexact 0
		.amdhsa_exception_int_div_zero 0
	.end_amdhsa_kernel
	.section	.text._ZN5aiter20topk_softplus_kernelIffDv4_fLb1ELi0EEEvPKT_PKT0_PfPimiiif,"axG",@progbits,_ZN5aiter20topk_softplus_kernelIffDv4_fLb1ELi0EEEvPKT_PKT0_PfPimiiif,comdat
.Lfunc_end29:
	.size	_ZN5aiter20topk_softplus_kernelIffDv4_fLb1ELi0EEEvPKT_PKT0_PfPimiiif, .Lfunc_end29-_ZN5aiter20topk_softplus_kernelIffDv4_fLb1ELi0EEEvPKT_PKT0_PfPimiiif
                                        ; -- End function
	.section	.AMDGPU.csdata,"",@progbits
; Kernel info:
; codeLenInByte = 2960
; NumSgprs: 32
; NumVgprs: 19
; ScratchSize: 0
; MemoryBound: 0
; FloatMode: 240
; IeeeMode: 1
; LDSByteSize: 0 bytes/workgroup (compile time only)
; SGPRBlocks: 3
; VGPRBlocks: 2
; NumSGPRsForWavesPerEU: 32
; NumVGPRsForWavesPerEU: 19
; Occupancy: 16
; WaveLimiterHint : 0
; COMPUTE_PGM_RSRC2:SCRATCH_EN: 0
; COMPUTE_PGM_RSRC2:USER_SGPR: 15
; COMPUTE_PGM_RSRC2:TRAP_HANDLER: 0
; COMPUTE_PGM_RSRC2:TGID_X_EN: 1
; COMPUTE_PGM_RSRC2:TGID_Y_EN: 0
; COMPUTE_PGM_RSRC2:TGID_Z_EN: 0
; COMPUTE_PGM_RSRC2:TIDIG_COMP_CNT: 0
	.section	.text._ZN5aiter20topk_softplus_kernelIffDv4_fLb0ELi0EEEvPKT_PKT0_PfPimiiif,"axG",@progbits,_ZN5aiter20topk_softplus_kernelIffDv4_fLb0ELi0EEEvPKT_PKT0_PfPimiiif,comdat
	.protected	_ZN5aiter20topk_softplus_kernelIffDv4_fLb0ELi0EEEvPKT_PKT0_PfPimiiif ; -- Begin function _ZN5aiter20topk_softplus_kernelIffDv4_fLb0ELi0EEEvPKT_PKT0_PfPimiiif
	.globl	_ZN5aiter20topk_softplus_kernelIffDv4_fLb0ELi0EEEvPKT_PKT0_PfPimiiif
	.p2align	8
	.type	_ZN5aiter20topk_softplus_kernelIffDv4_fLb0ELi0EEEvPKT_PKT0_PfPimiiif,@function
_ZN5aiter20topk_softplus_kernelIffDv4_fLb0ELi0EEEvPKT_PKT0_PfPimiiif: ; @_ZN5aiter20topk_softplus_kernelIffDv4_fLb0ELi0EEEvPKT_PKT0_PfPimiiif
; %bb.0:
	s_clause 0x1
	s_load_b64 s[12:13], s[0:1], 0x28
	s_load_b256 s[4:11], s[0:1], 0x0
	v_lshlrev_b32_e32 v11, 2, v0
	s_waitcnt lgkmcnt(0)
	s_ashr_i32 s2, s12, 31
	s_mul_i32 s16, s15, s12
	s_lshr_b32 s2, s2, 30
	s_ashr_i32 s17, s16, 31
	s_add_i32 s2, s12, s2
	s_delay_alu instid0(SALU_CYCLE_1) | instskip(NEXT) | instid1(SALU_CYCLE_1)
	s_ashr_i32 s14, s2, 2
	v_cmp_gt_i32_e64 s2, s14, v0
	s_delay_alu instid0(VALU_DEP_1)
	s_and_saveexec_b32 s18, s2
	s_cbranch_execz .LBB30_11
; %bb.1:
	s_load_b32 s3, s[0:1], 0x44
	s_cmp_lg_u64 s[6:7], 0
	v_dual_mov_b32 v6, 0 :: v_dual_lshlrev_b32 v1, 4, v0
	s_cselect_b32 s19, -1, 0
	v_lshlrev_b32_e32 v5, 2, v0
	s_delay_alu instid0(VALU_DEP_2)
	v_dual_mov_b32 v13, v0 :: v_dual_add_nc_u32 v12, 0, v1
	s_waitcnt lgkmcnt(0)
	s_and_b32 s20, s3, 0xffff
	s_add_u32 s21, s6, 4
	s_addc_u32 s22, s7, 0
	s_add_u32 s23, s6, 8
	s_addc_u32 s24, s7, 0
	;; [unrolled: 2-line block ×3, first 2 shown]
	s_lshl_b64 s[28:29], s[16:17], 2
	s_delay_alu instid0(SALU_CYCLE_1) | instskip(SKIP_2) | instid1(VALU_DEP_1)
	s_add_u32 s3, s4, s28
	s_addc_u32 s27, s5, s29
	v_add_co_u32 v7, s3, s3, v1
	v_add_co_ci_u32_e64 v8, null, s27, 0, s3
	s_mov_b32 s27, 0
	s_lshl_b32 s28, s20, 4
	s_lshl_b32 s29, s20, 2
	s_branch .LBB30_3
.LBB30_2:                               ;   in Loop: Header=BB30_3 Depth=1
	v_add_nc_u32_e32 v13, s20, v13
	v_add_co_u32 v7, s3, v7, s28
	ds_store_b128 v12, v[1:4]
	v_add_co_ci_u32_e64 v8, s3, 0, v8, s3
	v_cmp_le_i32_e32 vcc_lo, s14, v13
	v_add_nc_u32_e32 v5, s29, v5
	v_add_nc_u32_e32 v12, s28, v12
	s_or_b32 s27, vcc_lo, s27
	s_delay_alu instid0(SALU_CYCLE_1)
	s_and_not1_b32 exec_lo, exec_lo, s27
	s_cbranch_execz .LBB30_11
.LBB30_3:                               ; =>This Inner Loop Header: Depth=1
	global_load_b128 v[1:4], v[7:8], off
	s_waitcnt vmcnt(0)
	v_mul_f32_e32 v9, 0x3fb8aa3b, v1
	s_delay_alu instid0(VALU_DEP_1) | instskip(SKIP_2) | instid1(VALU_DEP_2)
	v_cmp_gt_f32_e32 vcc_lo, 0xc2fc0000, v9
	v_cndmask_b32_e64 v10, 0, 0x42800000, vcc_lo
	v_cndmask_b32_e64 v9, 1.0, 0x1f800000, vcc_lo
	v_fmac_f32_e32 v10, 0x3fb8aa3b, v1
	s_delay_alu instid0(VALU_DEP_1) | instskip(SKIP_2) | instid1(VALU_DEP_1)
	v_exp_f32_e32 v10, v10
	s_waitcnt_depctr 0xfff
	v_fma_f32 v9, v10, v9, 1.0
	v_cmp_gt_f32_e32 vcc_lo, 0x800000, v9
	v_cndmask_b32_e64 v10, 1.0, 0x4f800000, vcc_lo
	s_delay_alu instid0(VALU_DEP_1) | instskip(SKIP_2) | instid1(VALU_DEP_3)
	v_mul_f32_e32 v9, v9, v10
	v_cndmask_b32_e64 v10, 0, 0x42000000, vcc_lo
	v_cmp_lt_f32_e32 vcc_lo, 0x41a00000, v1
	v_log_f32_e32 v9, v9
	s_waitcnt_depctr 0xfff
	v_sub_f32_e32 v9, v9, v10
	s_delay_alu instid0(VALU_DEP_1) | instskip(NEXT) | instid1(VALU_DEP_1)
	v_mul_f32_e32 v9, 0x3f317218, v9
	v_cndmask_b32_e32 v1, v9, v1, vcc_lo
	s_delay_alu instid0(VALU_DEP_1) | instskip(SKIP_1) | instid1(VALU_DEP_2)
	v_mul_f32_e32 v9, 0x4f800000, v1
	v_cmp_gt_f32_e32 vcc_lo, 0xf800000, v1
	v_cndmask_b32_e32 v1, v1, v9, vcc_lo
	s_delay_alu instid0(VALU_DEP_1) | instskip(SKIP_3) | instid1(VALU_DEP_2)
	v_sqrt_f32_e32 v9, v1
	s_waitcnt_depctr 0xfff
	v_add_nc_u32_e32 v10, -1, v9
	v_add_nc_u32_e32 v14, 1, v9
	v_fma_f32 v15, -v10, v9, v1
	s_delay_alu instid0(VALU_DEP_2) | instskip(NEXT) | instid1(VALU_DEP_2)
	v_fma_f32 v16, -v14, v9, v1
	v_cmp_ge_f32_e64 s3, 0, v15
	s_delay_alu instid0(VALU_DEP_1) | instskip(NEXT) | instid1(VALU_DEP_3)
	v_cndmask_b32_e64 v9, v9, v10, s3
	v_cmp_lt_f32_e64 s3, 0, v16
	s_delay_alu instid0(VALU_DEP_1) | instskip(NEXT) | instid1(VALU_DEP_1)
	v_cndmask_b32_e64 v9, v9, v14, s3
	v_mul_f32_e32 v10, 0x37800000, v9
	s_delay_alu instid0(VALU_DEP_1) | instskip(SKIP_2) | instid1(VALU_DEP_3)
	v_cndmask_b32_e32 v14, v9, v10, vcc_lo
	v_cmp_class_f32_e64 vcc_lo, v1, 0x260
	v_lshlrev_b64 v[9:10], 2, v[5:6]
	v_cndmask_b32_e32 v1, v14, v1, vcc_lo
	s_and_not1_b32 vcc_lo, exec_lo, s19
	s_cbranch_vccnz .LBB30_5
; %bb.4:                                ;   in Loop: Header=BB30_3 Depth=1
	s_delay_alu instid0(VALU_DEP_2) | instskip(NEXT) | instid1(VALU_DEP_3)
	v_add_co_u32 v14, vcc_lo, s6, v9
	v_add_co_ci_u32_e32 v15, vcc_lo, s7, v10, vcc_lo
	global_load_b32 v14, v[14:15], off
	s_waitcnt vmcnt(0)
	v_add_f32_e32 v1, v1, v14
.LBB30_5:                               ;   in Loop: Header=BB30_3 Depth=1
	v_mul_f32_e32 v14, 0x3fb8aa3b, v2
	s_delay_alu instid0(VALU_DEP_1) | instskip(SKIP_2) | instid1(VALU_DEP_2)
	v_cmp_gt_f32_e32 vcc_lo, 0xc2fc0000, v14
	v_cndmask_b32_e64 v15, 0, 0x42800000, vcc_lo
	v_cndmask_b32_e64 v14, 1.0, 0x1f800000, vcc_lo
	v_fmac_f32_e32 v15, 0x3fb8aa3b, v2
	s_delay_alu instid0(VALU_DEP_1) | instskip(SKIP_2) | instid1(VALU_DEP_1)
	v_exp_f32_e32 v15, v15
	s_waitcnt_depctr 0xfff
	v_fma_f32 v14, v15, v14, 1.0
	v_cmp_gt_f32_e32 vcc_lo, 0x800000, v14
	v_cndmask_b32_e64 v15, 1.0, 0x4f800000, vcc_lo
	s_delay_alu instid0(VALU_DEP_1) | instskip(SKIP_2) | instid1(VALU_DEP_3)
	v_mul_f32_e32 v14, v14, v15
	v_cndmask_b32_e64 v15, 0, 0x42000000, vcc_lo
	v_cmp_lt_f32_e32 vcc_lo, 0x41a00000, v2
	v_log_f32_e32 v14, v14
	s_waitcnt_depctr 0xfff
	v_sub_f32_e32 v14, v14, v15
	s_delay_alu instid0(VALU_DEP_1) | instskip(NEXT) | instid1(VALU_DEP_1)
	v_mul_f32_e32 v14, 0x3f317218, v14
	v_cndmask_b32_e32 v2, v14, v2, vcc_lo
	s_delay_alu instid0(VALU_DEP_1) | instskip(SKIP_1) | instid1(VALU_DEP_2)
	v_mul_f32_e32 v14, 0x4f800000, v2
	v_cmp_gt_f32_e32 vcc_lo, 0xf800000, v2
	v_cndmask_b32_e32 v2, v2, v14, vcc_lo
	s_delay_alu instid0(VALU_DEP_1) | instskip(SKIP_3) | instid1(VALU_DEP_2)
	v_sqrt_f32_e32 v14, v2
	s_waitcnt_depctr 0xfff
	v_add_nc_u32_e32 v15, -1, v14
	v_add_nc_u32_e32 v16, 1, v14
	v_fma_f32 v17, -v15, v14, v2
	s_delay_alu instid0(VALU_DEP_2) | instskip(NEXT) | instid1(VALU_DEP_2)
	v_fma_f32 v18, -v16, v14, v2
	v_cmp_ge_f32_e64 s3, 0, v17
	s_delay_alu instid0(VALU_DEP_1) | instskip(NEXT) | instid1(VALU_DEP_3)
	v_cndmask_b32_e64 v14, v14, v15, s3
	v_cmp_lt_f32_e64 s3, 0, v18
	s_delay_alu instid0(VALU_DEP_1) | instskip(NEXT) | instid1(VALU_DEP_1)
	v_cndmask_b32_e64 v14, v14, v16, s3
	v_mul_f32_e32 v15, 0x37800000, v14
	s_delay_alu instid0(VALU_DEP_1) | instskip(SKIP_1) | instid1(VALU_DEP_2)
	v_cndmask_b32_e32 v14, v14, v15, vcc_lo
	v_cmp_class_f32_e64 vcc_lo, v2, 0x260
	v_cndmask_b32_e32 v2, v14, v2, vcc_lo
	s_and_not1_b32 vcc_lo, exec_lo, s19
	s_cbranch_vccnz .LBB30_7
; %bb.6:                                ;   in Loop: Header=BB30_3 Depth=1
	v_add_co_u32 v14, vcc_lo, s21, v9
	v_add_co_ci_u32_e32 v15, vcc_lo, s22, v10, vcc_lo
	global_load_b32 v14, v[14:15], off
	s_waitcnt vmcnt(0)
	v_add_f32_e32 v2, v2, v14
.LBB30_7:                               ;   in Loop: Header=BB30_3 Depth=1
	v_mul_f32_e32 v14, 0x3fb8aa3b, v3
	s_delay_alu instid0(VALU_DEP_1) | instskip(SKIP_2) | instid1(VALU_DEP_2)
	v_cmp_gt_f32_e32 vcc_lo, 0xc2fc0000, v14
	v_cndmask_b32_e64 v15, 0, 0x42800000, vcc_lo
	v_cndmask_b32_e64 v14, 1.0, 0x1f800000, vcc_lo
	v_fmac_f32_e32 v15, 0x3fb8aa3b, v3
	s_delay_alu instid0(VALU_DEP_1) | instskip(SKIP_2) | instid1(VALU_DEP_1)
	v_exp_f32_e32 v15, v15
	s_waitcnt_depctr 0xfff
	v_fma_f32 v14, v15, v14, 1.0
	v_cmp_gt_f32_e32 vcc_lo, 0x800000, v14
	v_cndmask_b32_e64 v15, 1.0, 0x4f800000, vcc_lo
	s_delay_alu instid0(VALU_DEP_1) | instskip(SKIP_2) | instid1(VALU_DEP_3)
	v_mul_f32_e32 v14, v14, v15
	v_cndmask_b32_e64 v15, 0, 0x42000000, vcc_lo
	v_cmp_lt_f32_e32 vcc_lo, 0x41a00000, v3
	v_log_f32_e32 v14, v14
	s_waitcnt_depctr 0xfff
	v_sub_f32_e32 v14, v14, v15
	s_delay_alu instid0(VALU_DEP_1) | instskip(NEXT) | instid1(VALU_DEP_1)
	v_mul_f32_e32 v14, 0x3f317218, v14
	v_cndmask_b32_e32 v3, v14, v3, vcc_lo
	s_delay_alu instid0(VALU_DEP_1) | instskip(SKIP_1) | instid1(VALU_DEP_2)
	v_mul_f32_e32 v14, 0x4f800000, v3
	v_cmp_gt_f32_e32 vcc_lo, 0xf800000, v3
	v_cndmask_b32_e32 v3, v3, v14, vcc_lo
	s_delay_alu instid0(VALU_DEP_1) | instskip(SKIP_3) | instid1(VALU_DEP_2)
	v_sqrt_f32_e32 v14, v3
	s_waitcnt_depctr 0xfff
	v_add_nc_u32_e32 v15, -1, v14
	v_add_nc_u32_e32 v16, 1, v14
	v_fma_f32 v17, -v15, v14, v3
	s_delay_alu instid0(VALU_DEP_2) | instskip(NEXT) | instid1(VALU_DEP_2)
	v_fma_f32 v18, -v16, v14, v3
	v_cmp_ge_f32_e64 s3, 0, v17
	s_delay_alu instid0(VALU_DEP_1) | instskip(NEXT) | instid1(VALU_DEP_3)
	v_cndmask_b32_e64 v14, v14, v15, s3
	v_cmp_lt_f32_e64 s3, 0, v18
	s_delay_alu instid0(VALU_DEP_1) | instskip(NEXT) | instid1(VALU_DEP_1)
	v_cndmask_b32_e64 v14, v14, v16, s3
	v_mul_f32_e32 v15, 0x37800000, v14
	s_delay_alu instid0(VALU_DEP_1) | instskip(SKIP_1) | instid1(VALU_DEP_2)
	v_cndmask_b32_e32 v14, v14, v15, vcc_lo
	v_cmp_class_f32_e64 vcc_lo, v3, 0x260
	v_cndmask_b32_e32 v3, v14, v3, vcc_lo
	s_and_not1_b32 vcc_lo, exec_lo, s19
	s_cbranch_vccnz .LBB30_9
; %bb.8:                                ;   in Loop: Header=BB30_3 Depth=1
	v_add_co_u32 v14, vcc_lo, s23, v9
	v_add_co_ci_u32_e32 v15, vcc_lo, s24, v10, vcc_lo
	global_load_b32 v14, v[14:15], off
	s_waitcnt vmcnt(0)
	v_add_f32_e32 v3, v3, v14
.LBB30_9:                               ;   in Loop: Header=BB30_3 Depth=1
	v_mul_f32_e32 v14, 0x3fb8aa3b, v4
	s_delay_alu instid0(VALU_DEP_1) | instskip(SKIP_2) | instid1(VALU_DEP_2)
	v_cmp_gt_f32_e32 vcc_lo, 0xc2fc0000, v14
	v_cndmask_b32_e64 v15, 0, 0x42800000, vcc_lo
	v_cndmask_b32_e64 v14, 1.0, 0x1f800000, vcc_lo
	v_fmac_f32_e32 v15, 0x3fb8aa3b, v4
	s_delay_alu instid0(VALU_DEP_1) | instskip(SKIP_2) | instid1(VALU_DEP_1)
	v_exp_f32_e32 v15, v15
	s_waitcnt_depctr 0xfff
	v_fma_f32 v14, v15, v14, 1.0
	v_cmp_gt_f32_e32 vcc_lo, 0x800000, v14
	v_cndmask_b32_e64 v15, 1.0, 0x4f800000, vcc_lo
	s_delay_alu instid0(VALU_DEP_1) | instskip(SKIP_2) | instid1(VALU_DEP_3)
	v_mul_f32_e32 v14, v14, v15
	v_cndmask_b32_e64 v15, 0, 0x42000000, vcc_lo
	v_cmp_lt_f32_e32 vcc_lo, 0x41a00000, v4
	v_log_f32_e32 v14, v14
	s_waitcnt_depctr 0xfff
	v_sub_f32_e32 v14, v14, v15
	s_delay_alu instid0(VALU_DEP_1) | instskip(NEXT) | instid1(VALU_DEP_1)
	v_mul_f32_e32 v14, 0x3f317218, v14
	v_cndmask_b32_e32 v4, v14, v4, vcc_lo
	s_delay_alu instid0(VALU_DEP_1) | instskip(SKIP_1) | instid1(VALU_DEP_2)
	v_mul_f32_e32 v14, 0x4f800000, v4
	v_cmp_gt_f32_e32 vcc_lo, 0xf800000, v4
	v_cndmask_b32_e32 v4, v4, v14, vcc_lo
	s_delay_alu instid0(VALU_DEP_1) | instskip(SKIP_3) | instid1(VALU_DEP_2)
	v_sqrt_f32_e32 v14, v4
	s_waitcnt_depctr 0xfff
	v_add_nc_u32_e32 v15, -1, v14
	v_add_nc_u32_e32 v16, 1, v14
	v_fma_f32 v17, -v15, v14, v4
	s_delay_alu instid0(VALU_DEP_2) | instskip(NEXT) | instid1(VALU_DEP_2)
	v_fma_f32 v18, -v16, v14, v4
	v_cmp_ge_f32_e64 s3, 0, v17
	s_delay_alu instid0(VALU_DEP_1) | instskip(NEXT) | instid1(VALU_DEP_3)
	v_cndmask_b32_e64 v14, v14, v15, s3
	v_cmp_lt_f32_e64 s3, 0, v18
	s_delay_alu instid0(VALU_DEP_1) | instskip(NEXT) | instid1(VALU_DEP_1)
	v_cndmask_b32_e64 v14, v14, v16, s3
	v_mul_f32_e32 v15, 0x37800000, v14
	s_delay_alu instid0(VALU_DEP_1) | instskip(SKIP_1) | instid1(VALU_DEP_2)
	v_cndmask_b32_e32 v14, v14, v15, vcc_lo
	v_cmp_class_f32_e64 vcc_lo, v4, 0x260
	v_cndmask_b32_e32 v4, v14, v4, vcc_lo
	s_and_not1_b32 vcc_lo, exec_lo, s19
	s_cbranch_vccnz .LBB30_2
; %bb.10:                               ;   in Loop: Header=BB30_3 Depth=1
	v_add_co_u32 v9, vcc_lo, s25, v9
	v_add_co_ci_u32_e32 v10, vcc_lo, s26, v10, vcc_lo
	global_load_b32 v9, v[9:10], off
	s_waitcnt vmcnt(0)
	v_add_f32_e32 v4, v4, v9
	s_branch .LBB30_2
.LBB30_11:
	s_or_b32 exec_lo, exec_lo, s18
	v_lshl_add_u32 v1, s14, 2, v0
	s_mov_b32 s18, exec_lo
	s_delay_alu instid0(VALU_DEP_1)
	v_cmpx_gt_i32_e64 s12, v1
	s_cbranch_execz .LBB30_16
; %bb.12:
	s_load_b32 s3, s[0:1], 0x44
	s_lshl_b64 s[16:17], s[16:17], 2
	v_lshlrev_b32_e32 v2, 2, v0
	s_add_u32 s4, s4, s16
	s_addc_u32 s5, s5, s17
	s_cmp_lg_u64 s[6:7], 0
	s_mov_b32 s19, 0
	s_cselect_b32 s16, -1, 0
	s_lshl_b32 s17, s14, 4
	s_delay_alu instid0(SALU_CYCLE_1) | instskip(SKIP_2) | instid1(SALU_CYCLE_1)
	v_add3_u32 v4, 0, s17, v2
	s_waitcnt lgkmcnt(0)
	s_and_b32 s17, s3, 0xffff
	s_lshl_b32 s20, s17, 2
	s_branch .LBB30_14
.LBB30_13:                              ;   in Loop: Header=BB30_14 Depth=1
	v_add_nc_u32_e32 v1, s17, v1
	v_add_nc_u32_e32 v4, s20, v4
	s_delay_alu instid0(VALU_DEP_2) | instskip(SKIP_1) | instid1(SALU_CYCLE_1)
	v_cmp_le_i32_e32 vcc_lo, s12, v1
	s_or_b32 s19, vcc_lo, s19
	s_and_not1_b32 exec_lo, exec_lo, s19
	s_cbranch_execz .LBB30_16
.LBB30_14:                              ; =>This Inner Loop Header: Depth=1
	v_ashrrev_i32_e32 v2, 31, v1
	s_delay_alu instid0(VALU_DEP_1) | instskip(NEXT) | instid1(VALU_DEP_1)
	v_lshlrev_b64 v[2:3], 2, v[1:2]
	v_add_co_u32 v5, vcc_lo, s4, v2
	s_delay_alu instid0(VALU_DEP_2) | instskip(SKIP_3) | instid1(VALU_DEP_1)
	v_add_co_ci_u32_e32 v6, vcc_lo, s5, v3, vcc_lo
	global_load_b32 v5, v[5:6], off
	s_waitcnt vmcnt(0)
	v_mul_f32_e32 v6, 0x3fb8aa3b, v5
	v_cmp_gt_f32_e32 vcc_lo, 0xc2fc0000, v6
	v_cndmask_b32_e64 v6, 0, 0x42800000, vcc_lo
	v_cndmask_b32_e64 v7, 1.0, 0x1f800000, vcc_lo
	s_delay_alu instid0(VALU_DEP_2) | instskip(NEXT) | instid1(VALU_DEP_1)
	v_fmac_f32_e32 v6, 0x3fb8aa3b, v5
	v_exp_f32_e32 v6, v6
	s_waitcnt_depctr 0xfff
	v_fma_f32 v6, v6, v7, 1.0
	s_delay_alu instid0(VALU_DEP_1) | instskip(SKIP_1) | instid1(VALU_DEP_1)
	v_cmp_gt_f32_e32 vcc_lo, 0x800000, v6
	v_cndmask_b32_e64 v7, 1.0, 0x4f800000, vcc_lo
	v_mul_f32_e32 v6, v6, v7
	v_cndmask_b32_e64 v7, 0, 0x42000000, vcc_lo
	v_cmp_lt_f32_e32 vcc_lo, 0x41a00000, v5
	s_delay_alu instid0(VALU_DEP_3) | instskip(SKIP_2) | instid1(VALU_DEP_1)
	v_log_f32_e32 v6, v6
	s_waitcnt_depctr 0xfff
	v_sub_f32_e32 v6, v6, v7
	v_mul_f32_e32 v6, 0x3f317218, v6
	s_delay_alu instid0(VALU_DEP_1) | instskip(NEXT) | instid1(VALU_DEP_1)
	v_cndmask_b32_e32 v5, v6, v5, vcc_lo
	v_mul_f32_e32 v6, 0x4f800000, v5
	v_cmp_gt_f32_e32 vcc_lo, 0xf800000, v5
	s_delay_alu instid0(VALU_DEP_2) | instskip(NEXT) | instid1(VALU_DEP_1)
	v_cndmask_b32_e32 v5, v5, v6, vcc_lo
	v_sqrt_f32_e32 v6, v5
	s_waitcnt_depctr 0xfff
	v_add_nc_u32_e32 v7, -1, v6
	v_add_nc_u32_e32 v8, 1, v6
	s_delay_alu instid0(VALU_DEP_2) | instskip(NEXT) | instid1(VALU_DEP_2)
	v_fma_f32 v9, -v7, v6, v5
	v_fma_f32 v10, -v8, v6, v5
	s_delay_alu instid0(VALU_DEP_2) | instskip(NEXT) | instid1(VALU_DEP_1)
	v_cmp_ge_f32_e64 s3, 0, v9
	v_cndmask_b32_e64 v6, v6, v7, s3
	s_delay_alu instid0(VALU_DEP_3) | instskip(NEXT) | instid1(VALU_DEP_1)
	v_cmp_lt_f32_e64 s3, 0, v10
	v_cndmask_b32_e64 v6, v6, v8, s3
	s_delay_alu instid0(VALU_DEP_1) | instskip(NEXT) | instid1(VALU_DEP_1)
	v_mul_f32_e32 v7, 0x37800000, v6
	v_cndmask_b32_e32 v6, v6, v7, vcc_lo
	v_cmp_class_f32_e64 vcc_lo, v5, 0x260
	s_delay_alu instid0(VALU_DEP_2)
	v_cndmask_b32_e32 v5, v6, v5, vcc_lo
	s_and_not1_b32 vcc_lo, exec_lo, s16
	ds_store_b32 v4, v5
	s_cbranch_vccnz .LBB30_13
; %bb.15:                               ;   in Loop: Header=BB30_14 Depth=1
	v_add_co_u32 v2, vcc_lo, s6, v2
	v_add_co_ci_u32_e32 v3, vcc_lo, s7, v3, vcc_lo
	global_load_b32 v2, v[2:3], off
	s_waitcnt vmcnt(0)
	v_add_f32_e32 v2, v5, v2
	ds_store_b32 v4, v2
	s_branch .LBB30_13
.LBB30_16:
	s_or_b32 exec_lo, exec_lo, s18
	s_cmp_lt_i32 s13, 1
	s_waitcnt lgkmcnt(0)
	s_barrier
	buffer_gl0_inv
	s_cbranch_scc1 .LBB30_25
; %bb.17:
	s_add_u32 s4, s0, 56
	s_addc_u32 s5, s1, 0
	v_lshl_add_u32 v3, v0, 4, 0
	v_dual_mov_b32 v2, 0 :: v_dual_mov_b32 v1, 0
	v_mov_b32_e32 v4, 0xff800000
	s_cmp_lg_u64 s[6:7], 0
	s_mov_b32 s18, 0
	s_cselect_b32 s12, -1, 0
	s_mov_b32 s19, 0x76543210
	s_branch .LBB30_19
.LBB30_18:                              ;   in Loop: Header=BB30_19 Depth=1
	v_cmp_eq_u32_e32 vcc_lo, s18, v0
	s_delay_alu instid0(VALU_DEP_2)
	s_lshl_b32 s3, s16, 2
	s_add_i32 s18, s18, 1
	s_add_i32 s3, s3, 0
	s_cmp_eq_u32 s18, s13
	v_cndmask_b32_e64 v1, v1, s16, vcc_lo
	v_dual_mov_b32 v5, s3 :: v_dual_cndmask_b32 v2, v2, v7
	ds_store_b32 v5, v4
	s_cbranch_scc1 .LBB30_26
.LBB30_19:                              ; =>This Loop Header: Depth=1
                                        ;     Child Loop BB30_21 Depth 2
	v_dual_mov_b32 v5, s18 :: v_dual_mov_b32 v6, 0xff800000
	s_and_saveexec_b32 s16, s2
	s_cbranch_execz .LBB30_23
; %bb.20:                               ;   in Loop: Header=BB30_19 Depth=1
	s_load_b32 s3, s[4:5], 0xc
	v_dual_mov_b32 v5, s18 :: v_dual_mov_b32 v6, 0xff800000
	v_mov_b32_e32 v7, v3
	v_dual_mov_b32 v8, v11 :: v_dual_mov_b32 v9, v0
	s_mov_b32 s21, 0
	s_waitcnt lgkmcnt(0)
	s_and_b32 s17, s3, 0xffff
	s_delay_alu instid0(SALU_CYCLE_1)
	s_lshl_b32 s20, s17, 2
	s_lshl_b32 s22, s17, 4
	.p2align	6
.LBB30_21:                              ;   Parent Loop BB30_19 Depth=1
                                        ; =>  This Inner Loop Header: Depth=2
	ds_load_b128 v[12:15], v7
	v_add_nc_u32_e32 v10, 1, v8
	v_add_nc_u32_e32 v7, s22, v7
	;; [unrolled: 1-line block ×3, first 2 shown]
	s_delay_alu instid0(VALU_DEP_1) | instskip(NEXT) | instid1(VALU_DEP_1)
	v_cmp_le_i32_e64 s3, s14, v9
	s_or_b32 s21, s3, s21
	s_waitcnt lgkmcnt(0)
	v_cmp_gt_f32_e32 vcc_lo, v12, v6
	v_cndmask_b32_e32 v5, v5, v8, vcc_lo
	v_cndmask_b32_e32 v6, v6, v12, vcc_lo
	s_delay_alu instid0(VALU_DEP_1) | instskip(NEXT) | instid1(VALU_DEP_3)
	v_cmp_gt_f32_e32 vcc_lo, v13, v6
	v_dual_cndmask_b32 v5, v5, v10 :: v_dual_cndmask_b32 v6, v6, v13
	v_add_nc_u32_e32 v10, 3, v8
	v_add_nc_u32_e32 v12, 2, v8
	;; [unrolled: 1-line block ×3, first 2 shown]
	s_delay_alu instid0(VALU_DEP_4) | instskip(NEXT) | instid1(VALU_DEP_3)
	v_cmp_gt_f32_e32 vcc_lo, v14, v6
	v_dual_cndmask_b32 v6, v6, v14 :: v_dual_cndmask_b32 v5, v5, v12
	s_delay_alu instid0(VALU_DEP_1) | instskip(NEXT) | instid1(VALU_DEP_2)
	v_cmp_gt_f32_e32 vcc_lo, v15, v6
	v_dual_cndmask_b32 v6, v6, v15 :: v_dual_cndmask_b32 v5, v5, v10
	s_and_not1_b32 exec_lo, exec_lo, s21
	s_cbranch_execnz .LBB30_21
; %bb.22:                               ;   in Loop: Header=BB30_19 Depth=1
	s_or_b32 exec_lo, exec_lo, s21
.LBB30_23:                              ;   in Loop: Header=BB30_19 Depth=1
	s_delay_alu instid0(SALU_CYCLE_1)
	s_or_b32 exec_lo, exec_lo, s16
	;;#ASMSTART
	v_max_f32 v7, v6, v6 quad_perm:[1,0,3,2] row_mask:0xf bank_mask:0xf bound_ctrl:1
	;;#ASMEND
	;;#ASMSTART
	v_max_f32 v8, v7, v7 quad_perm:[2,3,0,1] row_mask:0xf bank_mask:0xf bound_ctrl:1
	;;#ASMEND
	;;#ASMSTART
	v_max_f32 v7, v8, v8 row_half_mirror row_mask:0xf bank_mask:0xf bound_ctrl:1
	;;#ASMEND
	;;#ASMSTART
	v_max_f32 v8, v7, v7 row_mirror row_mask:0xf bank_mask:0xf bound_ctrl:1
	;;#ASMEND
	v_permlanex16_b32 v7, v8, s19, 0xfedcba98 op_sel:[1,1]
	s_delay_alu instid0(VALU_DEP_1) | instskip(NEXT) | instid1(VALU_DEP_1)
	v_dual_max_f32 v8, v8, v8 :: v_dual_max_f32 v7, v7, v7
	v_max_f32_e32 v7, v8, v7
	s_delay_alu instid0(VALU_DEP_1)
	v_cmp_eq_f32_e32 vcc_lo, v6, v7
	s_ctz_i32_b32 s3, vcc_lo
	s_cmp_lg_u32 vcc_lo, 0
	s_cselect_b32 s3, s3, 0
	s_and_b32 vcc_lo, exec_lo, s12
	v_readlane_b32 s16, v5, s3
	s_cbranch_vccz .LBB30_18
; %bb.24:                               ;   in Loop: Header=BB30_19 Depth=1
	s_delay_alu instid0(VALU_DEP_1) | instskip(NEXT) | instid1(SALU_CYCLE_1)
	s_ashr_i32 s17, s16, 31
	s_lshl_b64 s[20:21], s[16:17], 2
	s_delay_alu instid0(SALU_CYCLE_1)
	s_add_u32 s20, s6, s20
	s_addc_u32 s21, s7, s21
	s_load_b32 s3, s[20:21], 0x0
	s_waitcnt lgkmcnt(0)
	v_subrev_f32_e32 v7, s3, v7
	s_branch .LBB30_18
.LBB30_25:
	v_dual_mov_b32 v2, 0 :: v_dual_mov_b32 v1, 0
.LBB30_26:
	s_mov_b32 s2, exec_lo
	v_cmpx_gt_i32_e64 s13, v0
	s_cbranch_execz .LBB30_29
; %bb.27:
	s_clause 0x2
	s_load_b32 s4, s[0:1], 0x34
	s_load_b64 s[2:3], s[0:1], 0x20
	s_load_b32 s0, s[0:1], 0x44
	s_ashr_i32 s1, s15, 31
	s_waitcnt lgkmcnt(0)
	v_mul_f32_e32 v2, s4, v2
	s_mul_i32 s3, s15, s3
	s_mul_hi_u32 s4, s15, s2
	s_mul_i32 s5, s1, s2
	s_add_i32 s3, s4, s3
	s_mul_i32 s1, s15, s2
	s_and_b32 s2, s0, 0xffff
	s_add_i32 s3, s3, s5
	s_mov_b32 s4, 0
	.p2align	6
.LBB30_28:                              ; =>This Inner Loop Header: Depth=1
	v_ashrrev_i32_e32 v4, 31, v0
	v_add_co_u32 v3, vcc_lo, s1, v0
	v_add_nc_u32_e32 v0, s2, v0
	s_delay_alu instid0(VALU_DEP_3) | instskip(NEXT) | instid1(VALU_DEP_2)
	v_add_co_ci_u32_e32 v4, vcc_lo, s3, v4, vcc_lo
	v_cmp_le_i32_e32 vcc_lo, s13, v0
	s_delay_alu instid0(VALU_DEP_2) | instskip(SKIP_1) | instid1(VALU_DEP_1)
	v_lshlrev_b64 v[3:4], 2, v[3:4]
	s_or_b32 s4, vcc_lo, s4
	v_add_co_u32 v5, s0, s8, v3
	s_delay_alu instid0(VALU_DEP_1) | instskip(SKIP_1) | instid1(VALU_DEP_1)
	v_add_co_ci_u32_e64 v6, s0, s9, v4, s0
	v_add_co_u32 v3, s0, s10, v3
	v_add_co_ci_u32_e64 v4, s0, s11, v4, s0
	global_store_b32 v[5:6], v2, off
	global_store_b32 v[3:4], v1, off
	s_and_not1_b32 exec_lo, exec_lo, s4
	s_cbranch_execnz .LBB30_28
.LBB30_29:
	s_nop 0
	s_sendmsg sendmsg(MSG_DEALLOC_VGPRS)
	s_endpgm
	.section	.rodata,"a",@progbits
	.p2align	6, 0x0
	.amdhsa_kernel _ZN5aiter20topk_softplus_kernelIffDv4_fLb0ELi0EEEvPKT_PKT0_PfPimiiif
		.amdhsa_group_segment_fixed_size 0
		.amdhsa_private_segment_fixed_size 0
		.amdhsa_kernarg_size 312
		.amdhsa_user_sgpr_count 15
		.amdhsa_user_sgpr_dispatch_ptr 0
		.amdhsa_user_sgpr_queue_ptr 0
		.amdhsa_user_sgpr_kernarg_segment_ptr 1
		.amdhsa_user_sgpr_dispatch_id 0
		.amdhsa_user_sgpr_private_segment_size 0
		.amdhsa_wavefront_size32 1
		.amdhsa_uses_dynamic_stack 0
		.amdhsa_enable_private_segment 0
		.amdhsa_system_sgpr_workgroup_id_x 1
		.amdhsa_system_sgpr_workgroup_id_y 0
		.amdhsa_system_sgpr_workgroup_id_z 0
		.amdhsa_system_sgpr_workgroup_info 0
		.amdhsa_system_vgpr_workitem_id 0
		.amdhsa_next_free_vgpr 19
		.amdhsa_next_free_sgpr 30
		.amdhsa_reserve_vcc 1
		.amdhsa_float_round_mode_32 0
		.amdhsa_float_round_mode_16_64 0
		.amdhsa_float_denorm_mode_32 3
		.amdhsa_float_denorm_mode_16_64 3
		.amdhsa_dx10_clamp 1
		.amdhsa_ieee_mode 1
		.amdhsa_fp16_overflow 0
		.amdhsa_workgroup_processor_mode 1
		.amdhsa_memory_ordered 1
		.amdhsa_forward_progress 0
		.amdhsa_shared_vgpr_count 0
		.amdhsa_exception_fp_ieee_invalid_op 0
		.amdhsa_exception_fp_denorm_src 0
		.amdhsa_exception_fp_ieee_div_zero 0
		.amdhsa_exception_fp_ieee_overflow 0
		.amdhsa_exception_fp_ieee_underflow 0
		.amdhsa_exception_fp_ieee_inexact 0
		.amdhsa_exception_int_div_zero 0
	.end_amdhsa_kernel
	.section	.text._ZN5aiter20topk_softplus_kernelIffDv4_fLb0ELi0EEEvPKT_PKT0_PfPimiiif,"axG",@progbits,_ZN5aiter20topk_softplus_kernelIffDv4_fLb0ELi0EEEvPKT_PKT0_PfPimiiif,comdat
.Lfunc_end30:
	.size	_ZN5aiter20topk_softplus_kernelIffDv4_fLb0ELi0EEEvPKT_PKT0_PfPimiiif, .Lfunc_end30-_ZN5aiter20topk_softplus_kernelIffDv4_fLb0ELi0EEEvPKT_PKT0_PfPimiiif
                                        ; -- End function
	.section	.AMDGPU.csdata,"",@progbits
; Kernel info:
; codeLenInByte = 2832
; NumSgprs: 32
; NumVgprs: 19
; ScratchSize: 0
; MemoryBound: 0
; FloatMode: 240
; IeeeMode: 1
; LDSByteSize: 0 bytes/workgroup (compile time only)
; SGPRBlocks: 3
; VGPRBlocks: 2
; NumSGPRsForWavesPerEU: 32
; NumVGPRsForWavesPerEU: 19
; Occupancy: 16
; WaveLimiterHint : 0
; COMPUTE_PGM_RSRC2:SCRATCH_EN: 0
; COMPUTE_PGM_RSRC2:USER_SGPR: 15
; COMPUTE_PGM_RSRC2:TRAP_HANDLER: 0
; COMPUTE_PGM_RSRC2:TGID_X_EN: 1
; COMPUTE_PGM_RSRC2:TGID_Y_EN: 0
; COMPUTE_PGM_RSRC2:TGID_Z_EN: 0
; COMPUTE_PGM_RSRC2:TIDIG_COMP_CNT: 0
	.section	.text._ZN5aiter20topk_softplus_kernelIffDv2_fLb1ELi0EEEvPKT_PKT0_PfPimiiif,"axG",@progbits,_ZN5aiter20topk_softplus_kernelIffDv2_fLb1ELi0EEEvPKT_PKT0_PfPimiiif,comdat
	.protected	_ZN5aiter20topk_softplus_kernelIffDv2_fLb1ELi0EEEvPKT_PKT0_PfPimiiif ; -- Begin function _ZN5aiter20topk_softplus_kernelIffDv2_fLb1ELi0EEEvPKT_PKT0_PfPimiiif
	.globl	_ZN5aiter20topk_softplus_kernelIffDv2_fLb1ELi0EEEvPKT_PKT0_PfPimiiif
	.p2align	8
	.type	_ZN5aiter20topk_softplus_kernelIffDv2_fLb1ELi0EEEvPKT_PKT0_PfPimiiif,@function
_ZN5aiter20topk_softplus_kernelIffDv2_fLb1ELi0EEEvPKT_PKT0_PfPimiiif: ; @_ZN5aiter20topk_softplus_kernelIffDv2_fLb1ELi0EEEvPKT_PKT0_PfPimiiif
; %bb.0:
	s_clause 0x1
	s_load_b64 s[12:13], s[0:1], 0x28
	s_load_b256 s[4:11], s[0:1], 0x0
	s_waitcnt lgkmcnt(0)
	s_lshr_b32 s3, s12, 31
	s_mul_i32 s2, s15, s12
	s_add_i32 s14, s12, s3
	s_ashr_i32 s3, s2, 31
	s_ashr_i32 s14, s14, 1
	s_lshl_b64 s[16:17], s[2:3], 2
	v_cmp_gt_i32_e64 s2, s14, v0
	s_add_u32 s4, s4, s16
	s_addc_u32 s5, s5, s17
	s_delay_alu instid0(VALU_DEP_1)
	s_and_saveexec_b32 s16, s2
	s_cbranch_execz .LBB31_7
; %bb.1:
	s_load_b32 s3, s[0:1], 0x44
	v_dual_mov_b32 v4, 0 :: v_dual_lshlrev_b32 v3, 3, v0
	s_cmp_lg_u64 s[6:7], 0
	s_mov_b32 s19, 0
	s_delay_alu instid0(VALU_DEP_1) | instskip(SKIP_3) | instid1(SALU_CYCLE_1)
	v_dual_mov_b32 v6, v0 :: v_dual_add_nc_u32 v5, 0, v3
	s_cselect_b32 s17, -1, 0
	s_waitcnt lgkmcnt(0)
	s_and_b32 s18, s3, 0xffff
	s_lshl_b32 s20, s18, 3
	s_branch .LBB31_3
.LBB31_2:                               ;   in Loop: Header=BB31_3 Depth=1
	v_add_nc_u32_e32 v6, s18, v6
	v_add_co_u32 v3, s3, v3, s20
	ds_store_b64 v5, v[1:2]
	v_add_co_ci_u32_e64 v4, s3, 0, v4, s3
	v_cmp_le_i32_e32 vcc_lo, s14, v6
	v_add_nc_u32_e32 v5, s20, v5
	s_or_b32 s19, vcc_lo, s19
	s_delay_alu instid0(SALU_CYCLE_1)
	s_and_not1_b32 exec_lo, exec_lo, s19
	s_cbranch_execz .LBB31_7
.LBB31_3:                               ; =>This Inner Loop Header: Depth=1
	v_add_co_u32 v1, vcc_lo, s4, v3
	v_add_co_ci_u32_e32 v2, vcc_lo, s5, v4, vcc_lo
	global_load_b64 v[1:2], v[1:2], off
	s_waitcnt vmcnt(0)
	v_mul_f32_e32 v7, 0x3fb8aa3b, v1
	s_delay_alu instid0(VALU_DEP_1) | instskip(SKIP_2) | instid1(VALU_DEP_2)
	v_cmp_gt_f32_e32 vcc_lo, 0xc2fc0000, v7
	v_cndmask_b32_e64 v7, 0, 0x42800000, vcc_lo
	v_cndmask_b32_e64 v8, 1.0, 0x1f800000, vcc_lo
	v_fmac_f32_e32 v7, 0x3fb8aa3b, v1
	s_delay_alu instid0(VALU_DEP_1) | instskip(SKIP_2) | instid1(VALU_DEP_1)
	v_exp_f32_e32 v7, v7
	s_waitcnt_depctr 0xfff
	v_fma_f32 v7, v7, v8, 1.0
	v_cmp_gt_f32_e32 vcc_lo, 0x800000, v7
	v_cndmask_b32_e64 v8, 1.0, 0x4f800000, vcc_lo
	s_delay_alu instid0(VALU_DEP_1) | instskip(SKIP_2) | instid1(VALU_DEP_3)
	v_mul_f32_e32 v7, v7, v8
	v_cndmask_b32_e64 v8, 0, 0x42000000, vcc_lo
	v_cmp_lt_f32_e32 vcc_lo, 0x41a00000, v1
	v_log_f32_e32 v7, v7
	s_waitcnt_depctr 0xfff
	v_sub_f32_e32 v7, v7, v8
	s_delay_alu instid0(VALU_DEP_1) | instskip(NEXT) | instid1(VALU_DEP_1)
	v_mul_f32_e32 v7, 0x3f317218, v7
	v_cndmask_b32_e32 v1, v7, v1, vcc_lo
	s_delay_alu instid0(VALU_DEP_1) | instskip(SKIP_1) | instid1(VALU_DEP_2)
	v_mul_f32_e32 v7, 0x4f800000, v1
	v_cmp_gt_f32_e32 vcc_lo, 0xf800000, v1
	v_cndmask_b32_e32 v1, v1, v7, vcc_lo
	s_delay_alu instid0(VALU_DEP_1) | instskip(SKIP_3) | instid1(VALU_DEP_2)
	v_sqrt_f32_e32 v7, v1
	s_waitcnt_depctr 0xfff
	v_add_nc_u32_e32 v8, -1, v7
	v_add_nc_u32_e32 v9, 1, v7
	v_fma_f32 v10, -v8, v7, v1
	s_delay_alu instid0(VALU_DEP_2) | instskip(NEXT) | instid1(VALU_DEP_2)
	v_fma_f32 v11, -v9, v7, v1
	v_cmp_ge_f32_e64 s3, 0, v10
	s_delay_alu instid0(VALU_DEP_1) | instskip(NEXT) | instid1(VALU_DEP_3)
	v_cndmask_b32_e64 v7, v7, v8, s3
	v_cmp_lt_f32_e64 s3, 0, v11
	s_delay_alu instid0(VALU_DEP_1) | instskip(NEXT) | instid1(VALU_DEP_1)
	v_cndmask_b32_e64 v7, v7, v9, s3
	v_mul_f32_e32 v8, 0x37800000, v7
	s_delay_alu instid0(VALU_DEP_1) | instskip(SKIP_1) | instid1(VALU_DEP_2)
	v_cndmask_b32_e32 v7, v7, v8, vcc_lo
	v_cmp_class_f32_e64 vcc_lo, v1, 0x260
	v_cndmask_b32_e32 v1, v7, v1, vcc_lo
	s_and_not1_b32 vcc_lo, exec_lo, s17
	s_cbranch_vccnz .LBB31_5
; %bb.4:                                ;   in Loop: Header=BB31_3 Depth=1
	v_add_co_u32 v7, vcc_lo, s6, v3
	v_add_co_ci_u32_e32 v8, vcc_lo, s7, v4, vcc_lo
	global_load_b32 v7, v[7:8], off
	s_waitcnt vmcnt(0)
	v_add_f32_e32 v1, v1, v7
.LBB31_5:                               ;   in Loop: Header=BB31_3 Depth=1
	v_mul_f32_e32 v7, 0x3fb8aa3b, v2
	s_delay_alu instid0(VALU_DEP_1) | instskip(SKIP_2) | instid1(VALU_DEP_2)
	v_cmp_gt_f32_e32 vcc_lo, 0xc2fc0000, v7
	v_cndmask_b32_e64 v8, 0, 0x42800000, vcc_lo
	v_cndmask_b32_e64 v7, 1.0, 0x1f800000, vcc_lo
	v_fmac_f32_e32 v8, 0x3fb8aa3b, v2
	s_delay_alu instid0(VALU_DEP_1) | instskip(SKIP_2) | instid1(VALU_DEP_1)
	v_exp_f32_e32 v8, v8
	s_waitcnt_depctr 0xfff
	v_fma_f32 v7, v8, v7, 1.0
	v_cmp_gt_f32_e32 vcc_lo, 0x800000, v7
	v_cndmask_b32_e64 v8, 1.0, 0x4f800000, vcc_lo
	s_delay_alu instid0(VALU_DEP_1) | instskip(SKIP_2) | instid1(VALU_DEP_3)
	v_mul_f32_e32 v7, v7, v8
	v_cndmask_b32_e64 v8, 0, 0x42000000, vcc_lo
	v_cmp_lt_f32_e32 vcc_lo, 0x41a00000, v2
	v_log_f32_e32 v7, v7
	s_waitcnt_depctr 0xfff
	v_sub_f32_e32 v7, v7, v8
	s_delay_alu instid0(VALU_DEP_1) | instskip(NEXT) | instid1(VALU_DEP_1)
	v_mul_f32_e32 v7, 0x3f317218, v7
	v_cndmask_b32_e32 v2, v7, v2, vcc_lo
	s_delay_alu instid0(VALU_DEP_1) | instskip(SKIP_1) | instid1(VALU_DEP_2)
	v_mul_f32_e32 v7, 0x4f800000, v2
	v_cmp_gt_f32_e32 vcc_lo, 0xf800000, v2
	v_cndmask_b32_e32 v2, v2, v7, vcc_lo
	s_delay_alu instid0(VALU_DEP_1) | instskip(SKIP_3) | instid1(VALU_DEP_2)
	v_sqrt_f32_e32 v7, v2
	s_waitcnt_depctr 0xfff
	v_add_nc_u32_e32 v8, -1, v7
	v_add_nc_u32_e32 v9, 1, v7
	v_fma_f32 v10, -v8, v7, v2
	s_delay_alu instid0(VALU_DEP_2) | instskip(NEXT) | instid1(VALU_DEP_2)
	v_fma_f32 v11, -v9, v7, v2
	v_cmp_ge_f32_e64 s3, 0, v10
	s_delay_alu instid0(VALU_DEP_1) | instskip(NEXT) | instid1(VALU_DEP_3)
	v_cndmask_b32_e64 v7, v7, v8, s3
	v_cmp_lt_f32_e64 s3, 0, v11
	s_delay_alu instid0(VALU_DEP_1) | instskip(NEXT) | instid1(VALU_DEP_1)
	v_cndmask_b32_e64 v7, v7, v9, s3
	v_mul_f32_e32 v8, 0x37800000, v7
	s_delay_alu instid0(VALU_DEP_1) | instskip(SKIP_1) | instid1(VALU_DEP_2)
	v_cndmask_b32_e32 v7, v7, v8, vcc_lo
	v_cmp_class_f32_e64 vcc_lo, v2, 0x260
	v_cndmask_b32_e32 v2, v7, v2, vcc_lo
	s_and_not1_b32 vcc_lo, exec_lo, s17
	s_cbranch_vccnz .LBB31_2
; %bb.6:                                ;   in Loop: Header=BB31_3 Depth=1
	v_add_co_u32 v7, vcc_lo, s6, v3
	v_add_co_ci_u32_e32 v8, vcc_lo, s7, v4, vcc_lo
	global_load_b32 v7, v[7:8], off offset:4
	s_waitcnt vmcnt(0)
	v_add_f32_e32 v2, v2, v7
	s_branch .LBB31_2
.LBB31_7:
	s_or_b32 exec_lo, exec_lo, s16
	v_lshl_add_u32 v1, s14, 1, v0
	s_mov_b32 s16, exec_lo
	s_delay_alu instid0(VALU_DEP_1)
	v_cmpx_gt_i32_e64 s12, v1
	s_cbranch_execz .LBB31_12
; %bb.8:
	s_load_b32 s3, s[0:1], 0x44
	v_lshlrev_b32_e32 v2, 2, v0
	s_cmp_lg_u64 s[6:7], 0
	s_mov_b32 s19, 0
	s_cselect_b32 s17, -1, 0
	s_lshl_b32 s18, s14, 3
	s_delay_alu instid0(SALU_CYCLE_1) | instskip(SKIP_2) | instid1(SALU_CYCLE_1)
	v_add3_u32 v4, 0, s18, v2
	s_waitcnt lgkmcnt(0)
	s_and_b32 s18, s3, 0xffff
	s_lshl_b32 s20, s18, 2
	s_branch .LBB31_10
.LBB31_9:                               ;   in Loop: Header=BB31_10 Depth=1
	v_add_nc_u32_e32 v1, s18, v1
	v_add_nc_u32_e32 v4, s20, v4
	s_delay_alu instid0(VALU_DEP_2) | instskip(SKIP_1) | instid1(SALU_CYCLE_1)
	v_cmp_le_i32_e32 vcc_lo, s12, v1
	s_or_b32 s19, vcc_lo, s19
	s_and_not1_b32 exec_lo, exec_lo, s19
	s_cbranch_execz .LBB31_12
.LBB31_10:                              ; =>This Inner Loop Header: Depth=1
	v_ashrrev_i32_e32 v2, 31, v1
	s_delay_alu instid0(VALU_DEP_1) | instskip(NEXT) | instid1(VALU_DEP_1)
	v_lshlrev_b64 v[2:3], 2, v[1:2]
	v_add_co_u32 v5, vcc_lo, s4, v2
	s_delay_alu instid0(VALU_DEP_2) | instskip(SKIP_3) | instid1(VALU_DEP_1)
	v_add_co_ci_u32_e32 v6, vcc_lo, s5, v3, vcc_lo
	global_load_b32 v5, v[5:6], off
	s_waitcnt vmcnt(0)
	v_mul_f32_e32 v6, 0x3fb8aa3b, v5
	v_cmp_gt_f32_e32 vcc_lo, 0xc2fc0000, v6
	v_cndmask_b32_e64 v6, 0, 0x42800000, vcc_lo
	v_cndmask_b32_e64 v7, 1.0, 0x1f800000, vcc_lo
	s_delay_alu instid0(VALU_DEP_2) | instskip(NEXT) | instid1(VALU_DEP_1)
	v_fmac_f32_e32 v6, 0x3fb8aa3b, v5
	v_exp_f32_e32 v6, v6
	s_waitcnt_depctr 0xfff
	v_fma_f32 v6, v6, v7, 1.0
	s_delay_alu instid0(VALU_DEP_1) | instskip(SKIP_1) | instid1(VALU_DEP_1)
	v_cmp_gt_f32_e32 vcc_lo, 0x800000, v6
	v_cndmask_b32_e64 v7, 1.0, 0x4f800000, vcc_lo
	v_mul_f32_e32 v6, v6, v7
	v_cndmask_b32_e64 v7, 0, 0x42000000, vcc_lo
	v_cmp_lt_f32_e32 vcc_lo, 0x41a00000, v5
	s_delay_alu instid0(VALU_DEP_3) | instskip(SKIP_2) | instid1(VALU_DEP_1)
	v_log_f32_e32 v6, v6
	s_waitcnt_depctr 0xfff
	v_sub_f32_e32 v6, v6, v7
	v_mul_f32_e32 v6, 0x3f317218, v6
	s_delay_alu instid0(VALU_DEP_1) | instskip(NEXT) | instid1(VALU_DEP_1)
	v_cndmask_b32_e32 v5, v6, v5, vcc_lo
	v_mul_f32_e32 v6, 0x4f800000, v5
	v_cmp_gt_f32_e32 vcc_lo, 0xf800000, v5
	s_delay_alu instid0(VALU_DEP_2) | instskip(NEXT) | instid1(VALU_DEP_1)
	v_cndmask_b32_e32 v5, v5, v6, vcc_lo
	v_sqrt_f32_e32 v6, v5
	s_waitcnt_depctr 0xfff
	v_add_nc_u32_e32 v7, -1, v6
	v_add_nc_u32_e32 v8, 1, v6
	s_delay_alu instid0(VALU_DEP_2) | instskip(NEXT) | instid1(VALU_DEP_2)
	v_fma_f32 v9, -v7, v6, v5
	v_fma_f32 v10, -v8, v6, v5
	s_delay_alu instid0(VALU_DEP_2) | instskip(NEXT) | instid1(VALU_DEP_1)
	v_cmp_ge_f32_e64 s3, 0, v9
	v_cndmask_b32_e64 v6, v6, v7, s3
	s_delay_alu instid0(VALU_DEP_3) | instskip(NEXT) | instid1(VALU_DEP_1)
	v_cmp_lt_f32_e64 s3, 0, v10
	v_cndmask_b32_e64 v6, v6, v8, s3
	s_delay_alu instid0(VALU_DEP_1) | instskip(NEXT) | instid1(VALU_DEP_1)
	v_mul_f32_e32 v7, 0x37800000, v6
	v_cndmask_b32_e32 v6, v6, v7, vcc_lo
	v_cmp_class_f32_e64 vcc_lo, v5, 0x260
	s_delay_alu instid0(VALU_DEP_2)
	v_cndmask_b32_e32 v5, v6, v5, vcc_lo
	s_and_not1_b32 vcc_lo, exec_lo, s17
	ds_store_b32 v4, v5
	s_cbranch_vccnz .LBB31_9
; %bb.11:                               ;   in Loop: Header=BB31_10 Depth=1
	v_add_co_u32 v2, vcc_lo, s6, v2
	v_add_co_ci_u32_e32 v3, vcc_lo, s7, v3, vcc_lo
	global_load_b32 v2, v[2:3], off
	s_waitcnt vmcnt(0)
	v_add_f32_e32 v2, v5, v2
	ds_store_b32 v4, v2
	s_branch .LBB31_9
.LBB31_12:
	s_or_b32 exec_lo, exec_lo, s16
	v_mov_b32_e32 v2, 0
	s_cmp_lt_i32 s13, 1
	s_waitcnt lgkmcnt(0)
	s_barrier
	buffer_gl0_inv
	s_cbranch_scc1 .LBB31_21
; %bb.13:
	s_add_u32 s4, s0, 56
	s_addc_u32 s5, s1, 0
	v_dual_mov_b32 v1, 0 :: v_dual_lshlrev_b32 v4, 1, v0
	v_lshl_add_u32 v5, v0, 3, 0
	v_dual_mov_b32 v2, 0 :: v_dual_mov_b32 v3, 0
	v_mov_b32_e32 v6, 0xff800000
	s_cmp_lg_u64 s[6:7], 0
	s_mov_b32 s18, 0
	s_cselect_b32 s12, -1, 0
	s_mov_b32 s19, 0x76543210
	s_branch .LBB31_15
.LBB31_14:                              ;   in Loop: Header=BB31_15 Depth=1
	v_cmp_eq_u32_e32 vcc_lo, s18, v0
	s_delay_alu instid0(VALU_DEP_2) | instskip(NEXT) | instid1(VALU_DEP_2)
	s_lshl_b32 s3, s16, 2
	v_add_f32_e32 v3, v3, v9
	s_add_i32 s3, s3, 0
	s_add_i32 s18, s18, 1
	v_cndmask_b32_e64 v1, v1, s16, vcc_lo
	v_dual_mov_b32 v7, s3 :: v_dual_cndmask_b32 v2, v2, v9
	s_cmp_eq_u32 s18, s13
	ds_store_b32 v7, v6
	s_cbranch_scc1 .LBB31_22
.LBB31_15:                              ; =>This Loop Header: Depth=1
                                        ;     Child Loop BB31_17 Depth 2
	v_dual_mov_b32 v7, s18 :: v_dual_mov_b32 v8, 0xff800000
	s_and_saveexec_b32 s16, s2
	s_cbranch_execz .LBB31_19
; %bb.16:                               ;   in Loop: Header=BB31_15 Depth=1
	s_load_b32 s3, s[4:5], 0xc
	v_dual_mov_b32 v7, s18 :: v_dual_mov_b32 v8, 0xff800000
	v_dual_mov_b32 v9, v5 :: v_dual_mov_b32 v10, v4
	v_mov_b32_e32 v11, v0
	s_mov_b32 s21, 0
	s_waitcnt lgkmcnt(0)
	s_and_b32 s17, s3, 0xffff
	s_delay_alu instid0(SALU_CYCLE_1)
	s_lshl_b32 s20, s17, 1
	s_lshl_b32 s22, s17, 3
	.p2align	6
.LBB31_17:                              ;   Parent Loop BB31_15 Depth=1
                                        ; =>  This Inner Loop Header: Depth=2
	ds_load_b64 v[12:13], v9
	v_add_nc_u32_e32 v9, s22, v9
	v_add_nc_u32_e32 v11, s17, v11
	s_delay_alu instid0(VALU_DEP_1) | instskip(NEXT) | instid1(VALU_DEP_1)
	v_cmp_le_i32_e64 s3, s14, v11
	s_or_b32 s21, s3, s21
	s_waitcnt lgkmcnt(0)
	v_cmp_gt_f32_e32 vcc_lo, v12, v8
	v_cndmask_b32_e32 v8, v8, v12, vcc_lo
	v_add_nc_u32_e32 v12, 1, v10
	v_cndmask_b32_e32 v7, v7, v10, vcc_lo
	s_delay_alu instid0(VALU_DEP_3) | instskip(SKIP_1) | instid1(VALU_DEP_3)
	v_cmp_gt_f32_e32 vcc_lo, v13, v8
	v_cndmask_b32_e32 v8, v8, v13, vcc_lo
	v_dual_cndmask_b32 v7, v7, v12 :: v_dual_add_nc_u32 v10, s20, v10
	s_and_not1_b32 exec_lo, exec_lo, s21
	s_cbranch_execnz .LBB31_17
; %bb.18:                               ;   in Loop: Header=BB31_15 Depth=1
	s_or_b32 exec_lo, exec_lo, s21
.LBB31_19:                              ;   in Loop: Header=BB31_15 Depth=1
	s_delay_alu instid0(SALU_CYCLE_1)
	s_or_b32 exec_lo, exec_lo, s16
	;;#ASMSTART
	v_max_f32 v9, v8, v8 quad_perm:[1,0,3,2] row_mask:0xf bank_mask:0xf bound_ctrl:1
	;;#ASMEND
	;;#ASMSTART
	v_max_f32 v10, v9, v9 quad_perm:[2,3,0,1] row_mask:0xf bank_mask:0xf bound_ctrl:1
	;;#ASMEND
	;;#ASMSTART
	v_max_f32 v9, v10, v10 row_half_mirror row_mask:0xf bank_mask:0xf bound_ctrl:1
	;;#ASMEND
	;;#ASMSTART
	v_max_f32 v10, v9, v9 row_mirror row_mask:0xf bank_mask:0xf bound_ctrl:1
	;;#ASMEND
	v_permlanex16_b32 v9, v10, s19, 0xfedcba98 op_sel:[1,1]
	s_delay_alu instid0(VALU_DEP_1) | instskip(NEXT) | instid1(VALU_DEP_1)
	v_dual_max_f32 v10, v10, v10 :: v_dual_max_f32 v9, v9, v9
	v_max_f32_e32 v9, v10, v9
	s_delay_alu instid0(VALU_DEP_1)
	v_cmp_eq_f32_e32 vcc_lo, v8, v9
	s_ctz_i32_b32 s3, vcc_lo
	s_cmp_lg_u32 vcc_lo, 0
	s_cselect_b32 s3, s3, 0
	s_and_b32 vcc_lo, exec_lo, s12
	v_readlane_b32 s16, v7, s3
	s_cbranch_vccz .LBB31_14
; %bb.20:                               ;   in Loop: Header=BB31_15 Depth=1
	s_delay_alu instid0(VALU_DEP_1) | instskip(NEXT) | instid1(SALU_CYCLE_1)
	s_ashr_i32 s17, s16, 31
	s_lshl_b64 s[20:21], s[16:17], 2
	s_delay_alu instid0(SALU_CYCLE_1)
	s_add_u32 s20, s6, s20
	s_addc_u32 s21, s7, s21
	s_load_b32 s3, s[20:21], 0x0
	s_waitcnt lgkmcnt(0)
	v_subrev_f32_e32 v9, s3, v9
	s_branch .LBB31_14
.LBB31_21:
	v_mov_b32_e32 v1, 0
	v_mov_b32_e32 v3, 0
.LBB31_22:
	s_mov_b32 s2, exec_lo
	v_cmpx_gt_i32_e64 s13, v0
	s_cbranch_execz .LBB31_25
; %bb.23:
	s_clause 0x1
	s_load_b32 s2, s[0:1], 0x34
	s_load_b32 s3, s[0:1], 0x44
	v_max_f32_e32 v3, v3, v3
	s_load_b64 s[0:1], s[0:1], 0x20
	s_ashr_i32 s4, s15, 31
	s_delay_alu instid0(VALU_DEP_1) | instskip(SKIP_1) | instid1(VALU_DEP_1)
	v_max_f32_e32 v3, 0x1e3ce508, v3
	s_waitcnt lgkmcnt(0)
	v_div_scale_f32 v4, null, v3, v3, s2
	v_div_scale_f32 v7, vcc_lo, s2, v3, s2
	s_mul_i32 s1, s15, s1
	s_delay_alu instid0(VALU_DEP_2) | instskip(SKIP_4) | instid1(VALU_DEP_1)
	v_rcp_f32_e32 v5, v4
	s_mul_i32 s4, s4, s0
	s_and_b32 s3, s3, 0xffff
	s_waitcnt_depctr 0xfff
	v_fma_f32 v6, -v4, v5, 1.0
	v_fmac_f32_e32 v5, v6, v5
	s_delay_alu instid0(VALU_DEP_1) | instskip(NEXT) | instid1(VALU_DEP_1)
	v_mul_f32_e32 v6, v7, v5
	v_fma_f32 v8, -v4, v6, v7
	s_delay_alu instid0(VALU_DEP_1) | instskip(NEXT) | instid1(VALU_DEP_1)
	v_fmac_f32_e32 v6, v8, v5
	v_fma_f32 v4, -v4, v6, v7
	s_delay_alu instid0(VALU_DEP_1) | instskip(NEXT) | instid1(VALU_DEP_1)
	v_div_fmas_f32 v4, v4, v5, v6
	v_div_fixup_f32 v3, v4, v3, s2
	s_mul_hi_u32 s2, s15, s0
	s_delay_alu instid0(SALU_CYCLE_1) | instskip(SKIP_1) | instid1(VALU_DEP_1)
	s_add_i32 s1, s2, s1
	s_mul_i32 s2, s15, s0
	v_mul_f32_e32 v2, v2, v3
	s_add_i32 s1, s1, s4
	s_mov_b32 s4, 0
	.p2align	6
.LBB31_24:                              ; =>This Inner Loop Header: Depth=1
	v_ashrrev_i32_e32 v4, 31, v0
	v_add_co_u32 v3, vcc_lo, s2, v0
	v_add_nc_u32_e32 v0, s3, v0
	s_delay_alu instid0(VALU_DEP_3) | instskip(NEXT) | instid1(VALU_DEP_2)
	v_add_co_ci_u32_e32 v4, vcc_lo, s1, v4, vcc_lo
	v_cmp_le_i32_e32 vcc_lo, s13, v0
	s_delay_alu instid0(VALU_DEP_2) | instskip(SKIP_1) | instid1(VALU_DEP_1)
	v_lshlrev_b64 v[3:4], 2, v[3:4]
	s_or_b32 s4, vcc_lo, s4
	v_add_co_u32 v5, s0, s8, v3
	s_delay_alu instid0(VALU_DEP_1) | instskip(SKIP_1) | instid1(VALU_DEP_1)
	v_add_co_ci_u32_e64 v6, s0, s9, v4, s0
	v_add_co_u32 v3, s0, s10, v3
	v_add_co_ci_u32_e64 v4, s0, s11, v4, s0
	global_store_b32 v[5:6], v2, off
	global_store_b32 v[3:4], v1, off
	s_and_not1_b32 exec_lo, exec_lo, s4
	s_cbranch_execnz .LBB31_24
.LBB31_25:
	s_nop 0
	s_sendmsg sendmsg(MSG_DEALLOC_VGPRS)
	s_endpgm
	.section	.rodata,"a",@progbits
	.p2align	6, 0x0
	.amdhsa_kernel _ZN5aiter20topk_softplus_kernelIffDv2_fLb1ELi0EEEvPKT_PKT0_PfPimiiif
		.amdhsa_group_segment_fixed_size 0
		.amdhsa_private_segment_fixed_size 0
		.amdhsa_kernarg_size 312
		.amdhsa_user_sgpr_count 15
		.amdhsa_user_sgpr_dispatch_ptr 0
		.amdhsa_user_sgpr_queue_ptr 0
		.amdhsa_user_sgpr_kernarg_segment_ptr 1
		.amdhsa_user_sgpr_dispatch_id 0
		.amdhsa_user_sgpr_private_segment_size 0
		.amdhsa_wavefront_size32 1
		.amdhsa_uses_dynamic_stack 0
		.amdhsa_enable_private_segment 0
		.amdhsa_system_sgpr_workgroup_id_x 1
		.amdhsa_system_sgpr_workgroup_id_y 0
		.amdhsa_system_sgpr_workgroup_id_z 0
		.amdhsa_system_sgpr_workgroup_info 0
		.amdhsa_system_vgpr_workitem_id 0
		.amdhsa_next_free_vgpr 14
		.amdhsa_next_free_sgpr 23
		.amdhsa_reserve_vcc 1
		.amdhsa_float_round_mode_32 0
		.amdhsa_float_round_mode_16_64 0
		.amdhsa_float_denorm_mode_32 3
		.amdhsa_float_denorm_mode_16_64 3
		.amdhsa_dx10_clamp 1
		.amdhsa_ieee_mode 1
		.amdhsa_fp16_overflow 0
		.amdhsa_workgroup_processor_mode 1
		.amdhsa_memory_ordered 1
		.amdhsa_forward_progress 0
		.amdhsa_shared_vgpr_count 0
		.amdhsa_exception_fp_ieee_invalid_op 0
		.amdhsa_exception_fp_denorm_src 0
		.amdhsa_exception_fp_ieee_div_zero 0
		.amdhsa_exception_fp_ieee_overflow 0
		.amdhsa_exception_fp_ieee_underflow 0
		.amdhsa_exception_fp_ieee_inexact 0
		.amdhsa_exception_int_div_zero 0
	.end_amdhsa_kernel
	.section	.text._ZN5aiter20topk_softplus_kernelIffDv2_fLb1ELi0EEEvPKT_PKT0_PfPimiiif,"axG",@progbits,_ZN5aiter20topk_softplus_kernelIffDv2_fLb1ELi0EEEvPKT_PKT0_PfPimiiif,comdat
.Lfunc_end31:
	.size	_ZN5aiter20topk_softplus_kernelIffDv2_fLb1ELi0EEEvPKT_PKT0_PfPimiiif, .Lfunc_end31-_ZN5aiter20topk_softplus_kernelIffDv2_fLb1ELi0EEEvPKT_PKT0_PfPimiiif
                                        ; -- End function
	.section	.AMDGPU.csdata,"",@progbits
; Kernel info:
; codeLenInByte = 2200
; NumSgprs: 25
; NumVgprs: 14
; ScratchSize: 0
; MemoryBound: 0
; FloatMode: 240
; IeeeMode: 1
; LDSByteSize: 0 bytes/workgroup (compile time only)
; SGPRBlocks: 3
; VGPRBlocks: 1
; NumSGPRsForWavesPerEU: 25
; NumVGPRsForWavesPerEU: 14
; Occupancy: 16
; WaveLimiterHint : 0
; COMPUTE_PGM_RSRC2:SCRATCH_EN: 0
; COMPUTE_PGM_RSRC2:USER_SGPR: 15
; COMPUTE_PGM_RSRC2:TRAP_HANDLER: 0
; COMPUTE_PGM_RSRC2:TGID_X_EN: 1
; COMPUTE_PGM_RSRC2:TGID_Y_EN: 0
; COMPUTE_PGM_RSRC2:TGID_Z_EN: 0
; COMPUTE_PGM_RSRC2:TIDIG_COMP_CNT: 0
	.section	.text._ZN5aiter20topk_softplus_kernelIffDv2_fLb0ELi0EEEvPKT_PKT0_PfPimiiif,"axG",@progbits,_ZN5aiter20topk_softplus_kernelIffDv2_fLb0ELi0EEEvPKT_PKT0_PfPimiiif,comdat
	.protected	_ZN5aiter20topk_softplus_kernelIffDv2_fLb0ELi0EEEvPKT_PKT0_PfPimiiif ; -- Begin function _ZN5aiter20topk_softplus_kernelIffDv2_fLb0ELi0EEEvPKT_PKT0_PfPimiiif
	.globl	_ZN5aiter20topk_softplus_kernelIffDv2_fLb0ELi0EEEvPKT_PKT0_PfPimiiif
	.p2align	8
	.type	_ZN5aiter20topk_softplus_kernelIffDv2_fLb0ELi0EEEvPKT_PKT0_PfPimiiif,@function
_ZN5aiter20topk_softplus_kernelIffDv2_fLb0ELi0EEEvPKT_PKT0_PfPimiiif: ; @_ZN5aiter20topk_softplus_kernelIffDv2_fLb0ELi0EEEvPKT_PKT0_PfPimiiif
; %bb.0:
	s_clause 0x1
	s_load_b64 s[12:13], s[0:1], 0x28
	s_load_b256 s[4:11], s[0:1], 0x0
	s_waitcnt lgkmcnt(0)
	s_lshr_b32 s3, s12, 31
	s_mul_i32 s2, s15, s12
	s_add_i32 s14, s12, s3
	s_ashr_i32 s3, s2, 31
	s_ashr_i32 s14, s14, 1
	s_lshl_b64 s[16:17], s[2:3], 2
	v_cmp_gt_i32_e64 s2, s14, v0
	s_add_u32 s4, s4, s16
	s_addc_u32 s5, s5, s17
	s_delay_alu instid0(VALU_DEP_1)
	s_and_saveexec_b32 s16, s2
	s_cbranch_execz .LBB32_7
; %bb.1:
	s_load_b32 s3, s[0:1], 0x44
	v_dual_mov_b32 v4, 0 :: v_dual_lshlrev_b32 v3, 3, v0
	s_cmp_lg_u64 s[6:7], 0
	s_mov_b32 s19, 0
	s_delay_alu instid0(VALU_DEP_1) | instskip(SKIP_3) | instid1(SALU_CYCLE_1)
	v_dual_mov_b32 v6, v0 :: v_dual_add_nc_u32 v5, 0, v3
	s_cselect_b32 s17, -1, 0
	s_waitcnt lgkmcnt(0)
	s_and_b32 s18, s3, 0xffff
	s_lshl_b32 s20, s18, 3
	s_branch .LBB32_3
.LBB32_2:                               ;   in Loop: Header=BB32_3 Depth=1
	v_add_nc_u32_e32 v6, s18, v6
	v_add_co_u32 v3, s3, v3, s20
	ds_store_b64 v5, v[1:2]
	v_add_co_ci_u32_e64 v4, s3, 0, v4, s3
	v_cmp_le_i32_e32 vcc_lo, s14, v6
	v_add_nc_u32_e32 v5, s20, v5
	s_or_b32 s19, vcc_lo, s19
	s_delay_alu instid0(SALU_CYCLE_1)
	s_and_not1_b32 exec_lo, exec_lo, s19
	s_cbranch_execz .LBB32_7
.LBB32_3:                               ; =>This Inner Loop Header: Depth=1
	v_add_co_u32 v1, vcc_lo, s4, v3
	v_add_co_ci_u32_e32 v2, vcc_lo, s5, v4, vcc_lo
	global_load_b64 v[1:2], v[1:2], off
	s_waitcnt vmcnt(0)
	v_mul_f32_e32 v7, 0x3fb8aa3b, v1
	s_delay_alu instid0(VALU_DEP_1) | instskip(SKIP_2) | instid1(VALU_DEP_2)
	v_cmp_gt_f32_e32 vcc_lo, 0xc2fc0000, v7
	v_cndmask_b32_e64 v7, 0, 0x42800000, vcc_lo
	v_cndmask_b32_e64 v8, 1.0, 0x1f800000, vcc_lo
	v_fmac_f32_e32 v7, 0x3fb8aa3b, v1
	s_delay_alu instid0(VALU_DEP_1) | instskip(SKIP_2) | instid1(VALU_DEP_1)
	v_exp_f32_e32 v7, v7
	s_waitcnt_depctr 0xfff
	v_fma_f32 v7, v7, v8, 1.0
	v_cmp_gt_f32_e32 vcc_lo, 0x800000, v7
	v_cndmask_b32_e64 v8, 1.0, 0x4f800000, vcc_lo
	s_delay_alu instid0(VALU_DEP_1) | instskip(SKIP_2) | instid1(VALU_DEP_3)
	v_mul_f32_e32 v7, v7, v8
	v_cndmask_b32_e64 v8, 0, 0x42000000, vcc_lo
	v_cmp_lt_f32_e32 vcc_lo, 0x41a00000, v1
	v_log_f32_e32 v7, v7
	s_waitcnt_depctr 0xfff
	v_sub_f32_e32 v7, v7, v8
	s_delay_alu instid0(VALU_DEP_1) | instskip(NEXT) | instid1(VALU_DEP_1)
	v_mul_f32_e32 v7, 0x3f317218, v7
	v_cndmask_b32_e32 v1, v7, v1, vcc_lo
	s_delay_alu instid0(VALU_DEP_1) | instskip(SKIP_1) | instid1(VALU_DEP_2)
	v_mul_f32_e32 v7, 0x4f800000, v1
	v_cmp_gt_f32_e32 vcc_lo, 0xf800000, v1
	v_cndmask_b32_e32 v1, v1, v7, vcc_lo
	s_delay_alu instid0(VALU_DEP_1) | instskip(SKIP_3) | instid1(VALU_DEP_2)
	v_sqrt_f32_e32 v7, v1
	s_waitcnt_depctr 0xfff
	v_add_nc_u32_e32 v8, -1, v7
	v_add_nc_u32_e32 v9, 1, v7
	v_fma_f32 v10, -v8, v7, v1
	s_delay_alu instid0(VALU_DEP_2) | instskip(NEXT) | instid1(VALU_DEP_2)
	v_fma_f32 v11, -v9, v7, v1
	v_cmp_ge_f32_e64 s3, 0, v10
	s_delay_alu instid0(VALU_DEP_1) | instskip(NEXT) | instid1(VALU_DEP_3)
	v_cndmask_b32_e64 v7, v7, v8, s3
	v_cmp_lt_f32_e64 s3, 0, v11
	s_delay_alu instid0(VALU_DEP_1) | instskip(NEXT) | instid1(VALU_DEP_1)
	v_cndmask_b32_e64 v7, v7, v9, s3
	v_mul_f32_e32 v8, 0x37800000, v7
	s_delay_alu instid0(VALU_DEP_1) | instskip(SKIP_1) | instid1(VALU_DEP_2)
	v_cndmask_b32_e32 v7, v7, v8, vcc_lo
	v_cmp_class_f32_e64 vcc_lo, v1, 0x260
	v_cndmask_b32_e32 v1, v7, v1, vcc_lo
	s_and_not1_b32 vcc_lo, exec_lo, s17
	s_cbranch_vccnz .LBB32_5
; %bb.4:                                ;   in Loop: Header=BB32_3 Depth=1
	v_add_co_u32 v7, vcc_lo, s6, v3
	v_add_co_ci_u32_e32 v8, vcc_lo, s7, v4, vcc_lo
	global_load_b32 v7, v[7:8], off
	s_waitcnt vmcnt(0)
	v_add_f32_e32 v1, v1, v7
.LBB32_5:                               ;   in Loop: Header=BB32_3 Depth=1
	v_mul_f32_e32 v7, 0x3fb8aa3b, v2
	s_delay_alu instid0(VALU_DEP_1) | instskip(SKIP_2) | instid1(VALU_DEP_2)
	v_cmp_gt_f32_e32 vcc_lo, 0xc2fc0000, v7
	v_cndmask_b32_e64 v8, 0, 0x42800000, vcc_lo
	v_cndmask_b32_e64 v7, 1.0, 0x1f800000, vcc_lo
	v_fmac_f32_e32 v8, 0x3fb8aa3b, v2
	s_delay_alu instid0(VALU_DEP_1) | instskip(SKIP_2) | instid1(VALU_DEP_1)
	v_exp_f32_e32 v8, v8
	s_waitcnt_depctr 0xfff
	v_fma_f32 v7, v8, v7, 1.0
	v_cmp_gt_f32_e32 vcc_lo, 0x800000, v7
	v_cndmask_b32_e64 v8, 1.0, 0x4f800000, vcc_lo
	s_delay_alu instid0(VALU_DEP_1) | instskip(SKIP_2) | instid1(VALU_DEP_3)
	v_mul_f32_e32 v7, v7, v8
	v_cndmask_b32_e64 v8, 0, 0x42000000, vcc_lo
	v_cmp_lt_f32_e32 vcc_lo, 0x41a00000, v2
	v_log_f32_e32 v7, v7
	s_waitcnt_depctr 0xfff
	v_sub_f32_e32 v7, v7, v8
	s_delay_alu instid0(VALU_DEP_1) | instskip(NEXT) | instid1(VALU_DEP_1)
	v_mul_f32_e32 v7, 0x3f317218, v7
	v_cndmask_b32_e32 v2, v7, v2, vcc_lo
	s_delay_alu instid0(VALU_DEP_1) | instskip(SKIP_1) | instid1(VALU_DEP_2)
	v_mul_f32_e32 v7, 0x4f800000, v2
	v_cmp_gt_f32_e32 vcc_lo, 0xf800000, v2
	v_cndmask_b32_e32 v2, v2, v7, vcc_lo
	s_delay_alu instid0(VALU_DEP_1) | instskip(SKIP_3) | instid1(VALU_DEP_2)
	v_sqrt_f32_e32 v7, v2
	s_waitcnt_depctr 0xfff
	v_add_nc_u32_e32 v8, -1, v7
	v_add_nc_u32_e32 v9, 1, v7
	v_fma_f32 v10, -v8, v7, v2
	s_delay_alu instid0(VALU_DEP_2) | instskip(NEXT) | instid1(VALU_DEP_2)
	v_fma_f32 v11, -v9, v7, v2
	v_cmp_ge_f32_e64 s3, 0, v10
	s_delay_alu instid0(VALU_DEP_1) | instskip(NEXT) | instid1(VALU_DEP_3)
	v_cndmask_b32_e64 v7, v7, v8, s3
	v_cmp_lt_f32_e64 s3, 0, v11
	s_delay_alu instid0(VALU_DEP_1) | instskip(NEXT) | instid1(VALU_DEP_1)
	v_cndmask_b32_e64 v7, v7, v9, s3
	v_mul_f32_e32 v8, 0x37800000, v7
	s_delay_alu instid0(VALU_DEP_1) | instskip(SKIP_1) | instid1(VALU_DEP_2)
	v_cndmask_b32_e32 v7, v7, v8, vcc_lo
	v_cmp_class_f32_e64 vcc_lo, v2, 0x260
	v_cndmask_b32_e32 v2, v7, v2, vcc_lo
	s_and_not1_b32 vcc_lo, exec_lo, s17
	s_cbranch_vccnz .LBB32_2
; %bb.6:                                ;   in Loop: Header=BB32_3 Depth=1
	v_add_co_u32 v7, vcc_lo, s6, v3
	v_add_co_ci_u32_e32 v8, vcc_lo, s7, v4, vcc_lo
	global_load_b32 v7, v[7:8], off offset:4
	s_waitcnt vmcnt(0)
	v_add_f32_e32 v2, v2, v7
	s_branch .LBB32_2
.LBB32_7:
	s_or_b32 exec_lo, exec_lo, s16
	v_lshl_add_u32 v1, s14, 1, v0
	s_mov_b32 s16, exec_lo
	s_delay_alu instid0(VALU_DEP_1)
	v_cmpx_gt_i32_e64 s12, v1
	s_cbranch_execz .LBB32_12
; %bb.8:
	s_load_b32 s3, s[0:1], 0x44
	v_lshlrev_b32_e32 v2, 2, v0
	s_cmp_lg_u64 s[6:7], 0
	s_mov_b32 s19, 0
	s_cselect_b32 s17, -1, 0
	s_lshl_b32 s18, s14, 3
	s_delay_alu instid0(SALU_CYCLE_1) | instskip(SKIP_2) | instid1(SALU_CYCLE_1)
	v_add3_u32 v4, 0, s18, v2
	s_waitcnt lgkmcnt(0)
	s_and_b32 s18, s3, 0xffff
	s_lshl_b32 s20, s18, 2
	s_branch .LBB32_10
.LBB32_9:                               ;   in Loop: Header=BB32_10 Depth=1
	v_add_nc_u32_e32 v1, s18, v1
	v_add_nc_u32_e32 v4, s20, v4
	s_delay_alu instid0(VALU_DEP_2) | instskip(SKIP_1) | instid1(SALU_CYCLE_1)
	v_cmp_le_i32_e32 vcc_lo, s12, v1
	s_or_b32 s19, vcc_lo, s19
	s_and_not1_b32 exec_lo, exec_lo, s19
	s_cbranch_execz .LBB32_12
.LBB32_10:                              ; =>This Inner Loop Header: Depth=1
	v_ashrrev_i32_e32 v2, 31, v1
	s_delay_alu instid0(VALU_DEP_1) | instskip(NEXT) | instid1(VALU_DEP_1)
	v_lshlrev_b64 v[2:3], 2, v[1:2]
	v_add_co_u32 v5, vcc_lo, s4, v2
	s_delay_alu instid0(VALU_DEP_2) | instskip(SKIP_3) | instid1(VALU_DEP_1)
	v_add_co_ci_u32_e32 v6, vcc_lo, s5, v3, vcc_lo
	global_load_b32 v5, v[5:6], off
	s_waitcnt vmcnt(0)
	v_mul_f32_e32 v6, 0x3fb8aa3b, v5
	v_cmp_gt_f32_e32 vcc_lo, 0xc2fc0000, v6
	v_cndmask_b32_e64 v6, 0, 0x42800000, vcc_lo
	v_cndmask_b32_e64 v7, 1.0, 0x1f800000, vcc_lo
	s_delay_alu instid0(VALU_DEP_2) | instskip(NEXT) | instid1(VALU_DEP_1)
	v_fmac_f32_e32 v6, 0x3fb8aa3b, v5
	v_exp_f32_e32 v6, v6
	s_waitcnt_depctr 0xfff
	v_fma_f32 v6, v6, v7, 1.0
	s_delay_alu instid0(VALU_DEP_1) | instskip(SKIP_1) | instid1(VALU_DEP_1)
	v_cmp_gt_f32_e32 vcc_lo, 0x800000, v6
	v_cndmask_b32_e64 v7, 1.0, 0x4f800000, vcc_lo
	v_mul_f32_e32 v6, v6, v7
	v_cndmask_b32_e64 v7, 0, 0x42000000, vcc_lo
	v_cmp_lt_f32_e32 vcc_lo, 0x41a00000, v5
	s_delay_alu instid0(VALU_DEP_3) | instskip(SKIP_2) | instid1(VALU_DEP_1)
	v_log_f32_e32 v6, v6
	s_waitcnt_depctr 0xfff
	v_sub_f32_e32 v6, v6, v7
	v_mul_f32_e32 v6, 0x3f317218, v6
	s_delay_alu instid0(VALU_DEP_1) | instskip(NEXT) | instid1(VALU_DEP_1)
	v_cndmask_b32_e32 v5, v6, v5, vcc_lo
	v_mul_f32_e32 v6, 0x4f800000, v5
	v_cmp_gt_f32_e32 vcc_lo, 0xf800000, v5
	s_delay_alu instid0(VALU_DEP_2) | instskip(NEXT) | instid1(VALU_DEP_1)
	v_cndmask_b32_e32 v5, v5, v6, vcc_lo
	v_sqrt_f32_e32 v6, v5
	s_waitcnt_depctr 0xfff
	v_add_nc_u32_e32 v7, -1, v6
	v_add_nc_u32_e32 v8, 1, v6
	s_delay_alu instid0(VALU_DEP_2) | instskip(NEXT) | instid1(VALU_DEP_2)
	v_fma_f32 v9, -v7, v6, v5
	v_fma_f32 v10, -v8, v6, v5
	s_delay_alu instid0(VALU_DEP_2) | instskip(NEXT) | instid1(VALU_DEP_1)
	v_cmp_ge_f32_e64 s3, 0, v9
	v_cndmask_b32_e64 v6, v6, v7, s3
	s_delay_alu instid0(VALU_DEP_3) | instskip(NEXT) | instid1(VALU_DEP_1)
	v_cmp_lt_f32_e64 s3, 0, v10
	v_cndmask_b32_e64 v6, v6, v8, s3
	s_delay_alu instid0(VALU_DEP_1) | instskip(NEXT) | instid1(VALU_DEP_1)
	v_mul_f32_e32 v7, 0x37800000, v6
	v_cndmask_b32_e32 v6, v6, v7, vcc_lo
	v_cmp_class_f32_e64 vcc_lo, v5, 0x260
	s_delay_alu instid0(VALU_DEP_2)
	v_cndmask_b32_e32 v5, v6, v5, vcc_lo
	s_and_not1_b32 vcc_lo, exec_lo, s17
	ds_store_b32 v4, v5
	s_cbranch_vccnz .LBB32_9
; %bb.11:                               ;   in Loop: Header=BB32_10 Depth=1
	v_add_co_u32 v2, vcc_lo, s6, v2
	v_add_co_ci_u32_e32 v3, vcc_lo, s7, v3, vcc_lo
	global_load_b32 v2, v[2:3], off
	s_waitcnt vmcnt(0)
	v_add_f32_e32 v2, v5, v2
	ds_store_b32 v4, v2
	s_branch .LBB32_9
.LBB32_12:
	s_or_b32 exec_lo, exec_lo, s16
	s_cmp_lt_i32 s13, 1
	s_waitcnt lgkmcnt(0)
	s_barrier
	buffer_gl0_inv
	s_cbranch_scc1 .LBB32_21
; %bb.13:
	s_add_u32 s4, s0, 56
	s_addc_u32 s5, s1, 0
	v_dual_mov_b32 v2, 0 :: v_dual_lshlrev_b32 v3, 1, v0
	v_lshl_add_u32 v4, v0, 3, 0
	v_mov_b32_e32 v1, 0
	v_mov_b32_e32 v5, 0xff800000
	s_cmp_lg_u64 s[6:7], 0
	s_mov_b32 s18, 0
	s_cselect_b32 s12, -1, 0
	s_mov_b32 s19, 0x76543210
	s_branch .LBB32_15
.LBB32_14:                              ;   in Loop: Header=BB32_15 Depth=1
	v_cmp_eq_u32_e32 vcc_lo, s18, v0
	s_delay_alu instid0(VALU_DEP_2)
	s_lshl_b32 s3, s16, 2
	s_add_i32 s18, s18, 1
	s_add_i32 s3, s3, 0
	s_cmp_eq_u32 s18, s13
	v_cndmask_b32_e64 v1, v1, s16, vcc_lo
	v_mov_b32_e32 v6, s3
	v_cndmask_b32_e32 v2, v2, v8, vcc_lo
	ds_store_b32 v6, v5
	s_cbranch_scc1 .LBB32_22
.LBB32_15:                              ; =>This Loop Header: Depth=1
                                        ;     Child Loop BB32_17 Depth 2
	v_dual_mov_b32 v6, s18 :: v_dual_mov_b32 v7, 0xff800000
	s_and_saveexec_b32 s16, s2
	s_cbranch_execz .LBB32_19
; %bb.16:                               ;   in Loop: Header=BB32_15 Depth=1
	s_load_b32 s3, s[4:5], 0xc
	v_dual_mov_b32 v6, s18 :: v_dual_mov_b32 v7, 0xff800000
	v_dual_mov_b32 v8, v4 :: v_dual_mov_b32 v9, v3
	v_mov_b32_e32 v10, v0
	s_mov_b32 s21, 0
	s_waitcnt lgkmcnt(0)
	s_and_b32 s17, s3, 0xffff
	s_delay_alu instid0(SALU_CYCLE_1)
	s_lshl_b32 s20, s17, 1
	s_lshl_b32 s22, s17, 3
	.p2align	6
.LBB32_17:                              ;   Parent Loop BB32_15 Depth=1
                                        ; =>  This Inner Loop Header: Depth=2
	ds_load_b64 v[11:12], v8
	v_add_nc_u32_e32 v8, s22, v8
	v_add_nc_u32_e32 v10, s17, v10
	s_delay_alu instid0(VALU_DEP_1) | instskip(NEXT) | instid1(VALU_DEP_1)
	v_cmp_le_i32_e64 s3, s14, v10
	s_or_b32 s21, s3, s21
	s_waitcnt lgkmcnt(0)
	v_cmp_gt_f32_e32 vcc_lo, v11, v7
	v_cndmask_b32_e32 v7, v7, v11, vcc_lo
	v_add_nc_u32_e32 v11, 1, v9
	v_cndmask_b32_e32 v6, v6, v9, vcc_lo
	s_delay_alu instid0(VALU_DEP_3) | instskip(SKIP_1) | instid1(VALU_DEP_3)
	v_cmp_gt_f32_e32 vcc_lo, v12, v7
	v_cndmask_b32_e32 v7, v7, v12, vcc_lo
	v_dual_cndmask_b32 v6, v6, v11 :: v_dual_add_nc_u32 v9, s20, v9
	s_and_not1_b32 exec_lo, exec_lo, s21
	s_cbranch_execnz .LBB32_17
; %bb.18:                               ;   in Loop: Header=BB32_15 Depth=1
	s_or_b32 exec_lo, exec_lo, s21
.LBB32_19:                              ;   in Loop: Header=BB32_15 Depth=1
	s_delay_alu instid0(SALU_CYCLE_1)
	s_or_b32 exec_lo, exec_lo, s16
	;;#ASMSTART
	v_max_f32 v8, v7, v7 quad_perm:[1,0,3,2] row_mask:0xf bank_mask:0xf bound_ctrl:1
	;;#ASMEND
	;;#ASMSTART
	v_max_f32 v9, v8, v8 quad_perm:[2,3,0,1] row_mask:0xf bank_mask:0xf bound_ctrl:1
	;;#ASMEND
	;;#ASMSTART
	v_max_f32 v8, v9, v9 row_half_mirror row_mask:0xf bank_mask:0xf bound_ctrl:1
	;;#ASMEND
	;;#ASMSTART
	v_max_f32 v9, v8, v8 row_mirror row_mask:0xf bank_mask:0xf bound_ctrl:1
	;;#ASMEND
	v_permlanex16_b32 v8, v9, s19, 0xfedcba98 op_sel:[1,1]
	s_delay_alu instid0(VALU_DEP_1) | instskip(NEXT) | instid1(VALU_DEP_1)
	v_dual_max_f32 v9, v9, v9 :: v_dual_max_f32 v8, v8, v8
	v_max_f32_e32 v8, v9, v8
	s_delay_alu instid0(VALU_DEP_1)
	v_cmp_eq_f32_e32 vcc_lo, v7, v8
	s_ctz_i32_b32 s3, vcc_lo
	s_cmp_lg_u32 vcc_lo, 0
	s_cselect_b32 s3, s3, 0
	s_and_b32 vcc_lo, exec_lo, s12
	v_readlane_b32 s16, v6, s3
	s_cbranch_vccz .LBB32_14
; %bb.20:                               ;   in Loop: Header=BB32_15 Depth=1
	s_delay_alu instid0(VALU_DEP_1) | instskip(NEXT) | instid1(SALU_CYCLE_1)
	s_ashr_i32 s17, s16, 31
	s_lshl_b64 s[20:21], s[16:17], 2
	s_delay_alu instid0(SALU_CYCLE_1)
	s_add_u32 s20, s6, s20
	s_addc_u32 s21, s7, s21
	s_load_b32 s3, s[20:21], 0x0
	s_waitcnt lgkmcnt(0)
	v_subrev_f32_e32 v8, s3, v8
	s_branch .LBB32_14
.LBB32_21:
	v_dual_mov_b32 v2, 0 :: v_dual_mov_b32 v1, 0
.LBB32_22:
	s_mov_b32 s2, exec_lo
	v_cmpx_gt_i32_e64 s13, v0
	s_cbranch_execz .LBB32_25
; %bb.23:
	s_clause 0x2
	s_load_b32 s4, s[0:1], 0x34
	s_load_b64 s[2:3], s[0:1], 0x20
	s_load_b32 s0, s[0:1], 0x44
	s_ashr_i32 s1, s15, 31
	s_waitcnt lgkmcnt(0)
	v_mul_f32_e32 v2, s4, v2
	s_mul_i32 s3, s15, s3
	s_mul_hi_u32 s4, s15, s2
	s_mul_i32 s5, s1, s2
	s_add_i32 s3, s4, s3
	s_mul_i32 s1, s15, s2
	s_and_b32 s2, s0, 0xffff
	s_add_i32 s3, s3, s5
	s_mov_b32 s4, 0
	.p2align	6
.LBB32_24:                              ; =>This Inner Loop Header: Depth=1
	v_ashrrev_i32_e32 v4, 31, v0
	v_add_co_u32 v3, vcc_lo, s1, v0
	v_add_nc_u32_e32 v0, s2, v0
	s_delay_alu instid0(VALU_DEP_3) | instskip(NEXT) | instid1(VALU_DEP_2)
	v_add_co_ci_u32_e32 v4, vcc_lo, s3, v4, vcc_lo
	v_cmp_le_i32_e32 vcc_lo, s13, v0
	s_delay_alu instid0(VALU_DEP_2) | instskip(SKIP_1) | instid1(VALU_DEP_1)
	v_lshlrev_b64 v[3:4], 2, v[3:4]
	s_or_b32 s4, vcc_lo, s4
	v_add_co_u32 v5, s0, s8, v3
	s_delay_alu instid0(VALU_DEP_1) | instskip(SKIP_1) | instid1(VALU_DEP_1)
	v_add_co_ci_u32_e64 v6, s0, s9, v4, s0
	v_add_co_u32 v3, s0, s10, v3
	v_add_co_ci_u32_e64 v4, s0, s11, v4, s0
	global_store_b32 v[5:6], v2, off
	global_store_b32 v[3:4], v1, off
	s_and_not1_b32 exec_lo, exec_lo, s4
	s_cbranch_execnz .LBB32_24
.LBB32_25:
	s_nop 0
	s_sendmsg sendmsg(MSG_DEALLOC_VGPRS)
	s_endpgm
	.section	.rodata,"a",@progbits
	.p2align	6, 0x0
	.amdhsa_kernel _ZN5aiter20topk_softplus_kernelIffDv2_fLb0ELi0EEEvPKT_PKT0_PfPimiiif
		.amdhsa_group_segment_fixed_size 0
		.amdhsa_private_segment_fixed_size 0
		.amdhsa_kernarg_size 312
		.amdhsa_user_sgpr_count 15
		.amdhsa_user_sgpr_dispatch_ptr 0
		.amdhsa_user_sgpr_queue_ptr 0
		.amdhsa_user_sgpr_kernarg_segment_ptr 1
		.amdhsa_user_sgpr_dispatch_id 0
		.amdhsa_user_sgpr_private_segment_size 0
		.amdhsa_wavefront_size32 1
		.amdhsa_uses_dynamic_stack 0
		.amdhsa_enable_private_segment 0
		.amdhsa_system_sgpr_workgroup_id_x 1
		.amdhsa_system_sgpr_workgroup_id_y 0
		.amdhsa_system_sgpr_workgroup_id_z 0
		.amdhsa_system_sgpr_workgroup_info 0
		.amdhsa_system_vgpr_workitem_id 0
		.amdhsa_next_free_vgpr 13
		.amdhsa_next_free_sgpr 23
		.amdhsa_reserve_vcc 1
		.amdhsa_float_round_mode_32 0
		.amdhsa_float_round_mode_16_64 0
		.amdhsa_float_denorm_mode_32 3
		.amdhsa_float_denorm_mode_16_64 3
		.amdhsa_dx10_clamp 1
		.amdhsa_ieee_mode 1
		.amdhsa_fp16_overflow 0
		.amdhsa_workgroup_processor_mode 1
		.amdhsa_memory_ordered 1
		.amdhsa_forward_progress 0
		.amdhsa_shared_vgpr_count 0
		.amdhsa_exception_fp_ieee_invalid_op 0
		.amdhsa_exception_fp_denorm_src 0
		.amdhsa_exception_fp_ieee_div_zero 0
		.amdhsa_exception_fp_ieee_overflow 0
		.amdhsa_exception_fp_ieee_underflow 0
		.amdhsa_exception_fp_ieee_inexact 0
		.amdhsa_exception_int_div_zero 0
	.end_amdhsa_kernel
	.section	.text._ZN5aiter20topk_softplus_kernelIffDv2_fLb0ELi0EEEvPKT_PKT0_PfPimiiif,"axG",@progbits,_ZN5aiter20topk_softplus_kernelIffDv2_fLb0ELi0EEEvPKT_PKT0_PfPimiiif,comdat
.Lfunc_end32:
	.size	_ZN5aiter20topk_softplus_kernelIffDv2_fLb0ELi0EEEvPKT_PKT0_PfPimiiif, .Lfunc_end32-_ZN5aiter20topk_softplus_kernelIffDv2_fLb0ELi0EEEvPKT_PKT0_PfPimiiif
                                        ; -- End function
	.section	.AMDGPU.csdata,"",@progbits
; Kernel info:
; codeLenInByte = 2076
; NumSgprs: 25
; NumVgprs: 13
; ScratchSize: 0
; MemoryBound: 0
; FloatMode: 240
; IeeeMode: 1
; LDSByteSize: 0 bytes/workgroup (compile time only)
; SGPRBlocks: 3
; VGPRBlocks: 1
; NumSGPRsForWavesPerEU: 25
; NumVGPRsForWavesPerEU: 13
; Occupancy: 16
; WaveLimiterHint : 0
; COMPUTE_PGM_RSRC2:SCRATCH_EN: 0
; COMPUTE_PGM_RSRC2:USER_SGPR: 15
; COMPUTE_PGM_RSRC2:TRAP_HANDLER: 0
; COMPUTE_PGM_RSRC2:TGID_X_EN: 1
; COMPUTE_PGM_RSRC2:TGID_Y_EN: 0
; COMPUTE_PGM_RSRC2:TGID_Z_EN: 0
; COMPUTE_PGM_RSRC2:TIDIG_COMP_CNT: 0
	.section	.text._ZN5aiter20topk_softplus_kernelIffDv1_fLb1ELi0EEEvPKT_PKT0_PfPimiiif,"axG",@progbits,_ZN5aiter20topk_softplus_kernelIffDv1_fLb1ELi0EEEvPKT_PKT0_PfPimiiif,comdat
	.protected	_ZN5aiter20topk_softplus_kernelIffDv1_fLb1ELi0EEEvPKT_PKT0_PfPimiiif ; -- Begin function _ZN5aiter20topk_softplus_kernelIffDv1_fLb1ELi0EEEvPKT_PKT0_PfPimiiif
	.globl	_ZN5aiter20topk_softplus_kernelIffDv1_fLb1ELi0EEEvPKT_PKT0_PfPimiiif
	.p2align	8
	.type	_ZN5aiter20topk_softplus_kernelIffDv1_fLb1ELi0EEEvPKT_PKT0_PfPimiiif,@function
_ZN5aiter20topk_softplus_kernelIffDv1_fLb1ELi0EEEvPKT_PKT0_PfPimiiif: ; @_ZN5aiter20topk_softplus_kernelIffDv1_fLb1ELi0EEEvPKT_PKT0_PfPimiiif
; %bb.0:
	s_clause 0x1
	s_load_b64 s[12:13], s[0:1], 0x28
	s_load_b256 s[4:11], s[0:1], 0x0
	v_lshl_add_u32 v4, v0, 2, 0
	s_waitcnt lgkmcnt(0)
	s_mul_i32 s16, s15, s12
	v_cmp_gt_i32_e64 s2, s12, v0
	s_ashr_i32 s17, s16, 31
	s_delay_alu instid0(SALU_CYCLE_1) | instskip(NEXT) | instid1(SALU_CYCLE_1)
	s_lshl_b64 s[16:17], s[16:17], 2
	s_add_u32 s4, s4, s16
	s_addc_u32 s5, s5, s17
	s_and_saveexec_b32 s14, s2
	s_cbranch_execz .LBB33_5
; %bb.1:
	s_load_b32 s3, s[0:1], 0x44
	s_cmp_lg_u64 s[6:7], 0
	v_lshl_add_u32 v5, v0, 2, 0
	v_mov_b32_e32 v1, v0
	s_cselect_b32 s16, -1, 0
	s_mov_b32 s18, 0
	s_waitcnt lgkmcnt(0)
	s_and_b32 s17, s3, 0xffff
	s_delay_alu instid0(SALU_CYCLE_1)
	s_lshl_b32 s19, s17, 2
	s_branch .LBB33_3
.LBB33_2:                               ;   in Loop: Header=BB33_3 Depth=1
	v_add_nc_u32_e32 v1, s17, v1
	ds_store_b32 v5, v6
	v_add_nc_u32_e32 v5, s19, v5
	v_cmp_le_i32_e32 vcc_lo, s12, v1
	s_or_b32 s18, vcc_lo, s18
	s_delay_alu instid0(SALU_CYCLE_1)
	s_and_not1_b32 exec_lo, exec_lo, s18
	s_cbranch_execz .LBB33_5
.LBB33_3:                               ; =>This Inner Loop Header: Depth=1
	v_ashrrev_i32_e32 v2, 31, v1
	s_delay_alu instid0(VALU_DEP_1) | instskip(NEXT) | instid1(VALU_DEP_1)
	v_lshlrev_b64 v[2:3], 2, v[1:2]
	v_add_co_u32 v6, vcc_lo, s4, v2
	s_delay_alu instid0(VALU_DEP_2) | instskip(SKIP_3) | instid1(VALU_DEP_1)
	v_add_co_ci_u32_e32 v7, vcc_lo, s5, v3, vcc_lo
	global_load_b32 v6, v[6:7], off
	s_waitcnt vmcnt(0)
	v_mul_f32_e32 v7, 0x3fb8aa3b, v6
	v_cmp_gt_f32_e32 vcc_lo, 0xc2fc0000, v7
	v_cndmask_b32_e64 v7, 0, 0x42800000, vcc_lo
	v_cndmask_b32_e64 v8, 1.0, 0x1f800000, vcc_lo
	s_delay_alu instid0(VALU_DEP_2) | instskip(NEXT) | instid1(VALU_DEP_1)
	v_fmac_f32_e32 v7, 0x3fb8aa3b, v6
	v_exp_f32_e32 v7, v7
	s_waitcnt_depctr 0xfff
	v_fma_f32 v7, v7, v8, 1.0
	s_delay_alu instid0(VALU_DEP_1) | instskip(SKIP_1) | instid1(VALU_DEP_1)
	v_cmp_gt_f32_e32 vcc_lo, 0x800000, v7
	v_cndmask_b32_e64 v8, 1.0, 0x4f800000, vcc_lo
	v_mul_f32_e32 v7, v7, v8
	v_cndmask_b32_e64 v8, 0, 0x42000000, vcc_lo
	v_cmp_lt_f32_e32 vcc_lo, 0x41a00000, v6
	s_delay_alu instid0(VALU_DEP_3) | instskip(SKIP_2) | instid1(VALU_DEP_1)
	v_log_f32_e32 v7, v7
	s_waitcnt_depctr 0xfff
	v_sub_f32_e32 v7, v7, v8
	v_mul_f32_e32 v7, 0x3f317218, v7
	s_delay_alu instid0(VALU_DEP_1) | instskip(NEXT) | instid1(VALU_DEP_1)
	v_cndmask_b32_e32 v6, v7, v6, vcc_lo
	v_mul_f32_e32 v7, 0x4f800000, v6
	v_cmp_gt_f32_e32 vcc_lo, 0xf800000, v6
	s_delay_alu instid0(VALU_DEP_2) | instskip(NEXT) | instid1(VALU_DEP_1)
	v_cndmask_b32_e32 v6, v6, v7, vcc_lo
	v_sqrt_f32_e32 v7, v6
	s_waitcnt_depctr 0xfff
	v_add_nc_u32_e32 v8, -1, v7
	v_add_nc_u32_e32 v9, 1, v7
	s_delay_alu instid0(VALU_DEP_2) | instskip(NEXT) | instid1(VALU_DEP_2)
	v_fma_f32 v10, -v8, v7, v6
	v_fma_f32 v11, -v9, v7, v6
	s_delay_alu instid0(VALU_DEP_2) | instskip(NEXT) | instid1(VALU_DEP_1)
	v_cmp_ge_f32_e64 s3, 0, v10
	v_cndmask_b32_e64 v7, v7, v8, s3
	s_delay_alu instid0(VALU_DEP_3) | instskip(NEXT) | instid1(VALU_DEP_1)
	v_cmp_lt_f32_e64 s3, 0, v11
	v_cndmask_b32_e64 v7, v7, v9, s3
	s_delay_alu instid0(VALU_DEP_1) | instskip(NEXT) | instid1(VALU_DEP_1)
	v_mul_f32_e32 v8, 0x37800000, v7
	v_cndmask_b32_e32 v7, v7, v8, vcc_lo
	v_cmp_class_f32_e64 vcc_lo, v6, 0x260
	s_delay_alu instid0(VALU_DEP_2)
	v_cndmask_b32_e32 v6, v7, v6, vcc_lo
	s_and_not1_b32 vcc_lo, exec_lo, s16
	s_cbranch_vccnz .LBB33_2
; %bb.4:                                ;   in Loop: Header=BB33_3 Depth=1
	v_add_co_u32 v2, vcc_lo, s6, v2
	v_add_co_ci_u32_e32 v3, vcc_lo, s7, v3, vcc_lo
	global_load_b32 v2, v[2:3], off
	s_waitcnt vmcnt(0)
	v_add_f32_e32 v6, v6, v2
	s_branch .LBB33_2
.LBB33_5:
	s_or_b32 exec_lo, exec_lo, s14
	v_add_nc_u32_e32 v1, s12, v0
	s_mov_b32 s14, exec_lo
	s_delay_alu instid0(VALU_DEP_1)
	v_cmpx_gt_i32_e64 s12, v1
	s_cbranch_execz .LBB33_10
; %bb.6:
	s_load_b32 s3, s[0:1], 0x44
	s_cmp_lg_u64 s[6:7], 0
	v_lshl_add_u32 v5, v1, 2, 0
	s_cselect_b32 s16, -1, 0
	s_mov_b32 s18, 0
	s_waitcnt lgkmcnt(0)
	s_and_b32 s17, s3, 0xffff
	s_delay_alu instid0(SALU_CYCLE_1)
	s_lshl_b32 s19, s17, 2
	s_branch .LBB33_8
.LBB33_7:                               ;   in Loop: Header=BB33_8 Depth=1
	v_add_nc_u32_e32 v1, s17, v1
	v_add_nc_u32_e32 v5, s19, v5
	s_delay_alu instid0(VALU_DEP_2) | instskip(SKIP_1) | instid1(SALU_CYCLE_1)
	v_cmp_le_i32_e32 vcc_lo, s12, v1
	s_or_b32 s18, vcc_lo, s18
	s_and_not1_b32 exec_lo, exec_lo, s18
	s_cbranch_execz .LBB33_10
.LBB33_8:                               ; =>This Inner Loop Header: Depth=1
	v_ashrrev_i32_e32 v2, 31, v1
	s_delay_alu instid0(VALU_DEP_1) | instskip(NEXT) | instid1(VALU_DEP_1)
	v_lshlrev_b64 v[2:3], 2, v[1:2]
	v_add_co_u32 v6, vcc_lo, s4, v2
	s_delay_alu instid0(VALU_DEP_2) | instskip(SKIP_3) | instid1(VALU_DEP_1)
	v_add_co_ci_u32_e32 v7, vcc_lo, s5, v3, vcc_lo
	global_load_b32 v6, v[6:7], off
	s_waitcnt vmcnt(0)
	v_mul_f32_e32 v7, 0x3fb8aa3b, v6
	v_cmp_gt_f32_e32 vcc_lo, 0xc2fc0000, v7
	v_cndmask_b32_e64 v7, 0, 0x42800000, vcc_lo
	v_cndmask_b32_e64 v8, 1.0, 0x1f800000, vcc_lo
	s_delay_alu instid0(VALU_DEP_2) | instskip(NEXT) | instid1(VALU_DEP_1)
	v_fmac_f32_e32 v7, 0x3fb8aa3b, v6
	v_exp_f32_e32 v7, v7
	s_waitcnt_depctr 0xfff
	v_fma_f32 v7, v7, v8, 1.0
	s_delay_alu instid0(VALU_DEP_1) | instskip(SKIP_1) | instid1(VALU_DEP_1)
	v_cmp_gt_f32_e32 vcc_lo, 0x800000, v7
	v_cndmask_b32_e64 v8, 1.0, 0x4f800000, vcc_lo
	v_mul_f32_e32 v7, v7, v8
	v_cndmask_b32_e64 v8, 0, 0x42000000, vcc_lo
	v_cmp_lt_f32_e32 vcc_lo, 0x41a00000, v6
	s_delay_alu instid0(VALU_DEP_3) | instskip(SKIP_2) | instid1(VALU_DEP_1)
	v_log_f32_e32 v7, v7
	s_waitcnt_depctr 0xfff
	v_sub_f32_e32 v7, v7, v8
	v_mul_f32_e32 v7, 0x3f317218, v7
	s_delay_alu instid0(VALU_DEP_1) | instskip(NEXT) | instid1(VALU_DEP_1)
	v_cndmask_b32_e32 v6, v7, v6, vcc_lo
	v_mul_f32_e32 v7, 0x4f800000, v6
	v_cmp_gt_f32_e32 vcc_lo, 0xf800000, v6
	s_delay_alu instid0(VALU_DEP_2) | instskip(NEXT) | instid1(VALU_DEP_1)
	v_cndmask_b32_e32 v6, v6, v7, vcc_lo
	v_sqrt_f32_e32 v7, v6
	s_waitcnt_depctr 0xfff
	v_add_nc_u32_e32 v8, -1, v7
	v_add_nc_u32_e32 v9, 1, v7
	s_delay_alu instid0(VALU_DEP_2) | instskip(NEXT) | instid1(VALU_DEP_2)
	v_fma_f32 v10, -v8, v7, v6
	v_fma_f32 v11, -v9, v7, v6
	s_delay_alu instid0(VALU_DEP_2) | instskip(NEXT) | instid1(VALU_DEP_1)
	v_cmp_ge_f32_e64 s3, 0, v10
	v_cndmask_b32_e64 v7, v7, v8, s3
	s_delay_alu instid0(VALU_DEP_3) | instskip(NEXT) | instid1(VALU_DEP_1)
	v_cmp_lt_f32_e64 s3, 0, v11
	v_cndmask_b32_e64 v7, v7, v9, s3
	s_delay_alu instid0(VALU_DEP_1) | instskip(NEXT) | instid1(VALU_DEP_1)
	v_mul_f32_e32 v8, 0x37800000, v7
	v_cndmask_b32_e32 v7, v7, v8, vcc_lo
	v_cmp_class_f32_e64 vcc_lo, v6, 0x260
	s_delay_alu instid0(VALU_DEP_2)
	v_cndmask_b32_e32 v6, v7, v6, vcc_lo
	s_and_not1_b32 vcc_lo, exec_lo, s16
	ds_store_b32 v5, v6
	s_cbranch_vccnz .LBB33_7
; %bb.9:                                ;   in Loop: Header=BB33_8 Depth=1
	v_add_co_u32 v2, vcc_lo, s6, v2
	v_add_co_ci_u32_e32 v3, vcc_lo, s7, v3, vcc_lo
	global_load_b32 v2, v[2:3], off
	s_waitcnt vmcnt(0)
	v_add_f32_e32 v2, v6, v2
	ds_store_b32 v5, v2
	s_branch .LBB33_7
.LBB33_10:
	s_or_b32 exec_lo, exec_lo, s14
	v_mov_b32_e32 v2, 0
	s_cmp_lt_i32 s13, 1
	s_waitcnt lgkmcnt(0)
	s_barrier
	buffer_gl0_inv
	s_cbranch_scc1 .LBB33_19
; %bb.11:
	s_add_u32 s4, s0, 56
	s_addc_u32 s5, s1, 0
	v_dual_mov_b32 v2, 0 :: v_dual_mov_b32 v5, 0xff800000
	v_mov_b32_e32 v1, 0
	v_mov_b32_e32 v3, 0
	s_cmp_lg_u64 s[6:7], 0
	s_mov_b32 s14, 0
	s_cselect_b32 s3, -1, 0
	s_mov_b32 s18, 0x76543210
	s_branch .LBB33_13
.LBB33_12:                              ;   in Loop: Header=BB33_13 Depth=1
	v_cmp_eq_u32_e32 vcc_lo, s14, v0
	s_delay_alu instid0(VALU_DEP_2)
	s_lshl_b32 s17, s16, 2
	s_add_i32 s14, s14, 1
	s_add_i32 s17, s17, 0
	v_add_f32_e32 v3, v3, v8
	v_cndmask_b32_e64 v1, v1, s16, vcc_lo
	v_mov_b32_e32 v6, s17
	v_cndmask_b32_e32 v2, v2, v8, vcc_lo
	s_cmp_eq_u32 s14, s13
	ds_store_b32 v6, v5
	s_cbranch_scc1 .LBB33_20
.LBB33_13:                              ; =>This Loop Header: Depth=1
                                        ;     Child Loop BB33_15 Depth 2
	v_dual_mov_b32 v6, s14 :: v_dual_mov_b32 v7, 0xff800000
	s_and_saveexec_b32 s16, s2
	s_cbranch_execz .LBB33_17
; %bb.14:                               ;   in Loop: Header=BB33_13 Depth=1
	s_load_b32 s17, s[4:5], 0xc
	v_dual_mov_b32 v6, s14 :: v_dual_mov_b32 v7, 0xff800000
	v_mov_b32_e32 v8, v4
	v_mov_b32_e32 v9, v0
	s_mov_b32 s19, 0
	s_waitcnt lgkmcnt(0)
	s_and_b32 s17, s17, 0xffff
	s_delay_alu instid0(SALU_CYCLE_1)
	s_lshl_b32 s20, s17, 2
.LBB33_15:                              ;   Parent Loop BB33_13 Depth=1
                                        ; =>  This Inner Loop Header: Depth=2
	ds_load_b32 v10, v8
	v_add_nc_u32_e32 v8, s20, v8
	s_waitcnt lgkmcnt(0)
	v_cmp_gt_f32_e32 vcc_lo, v10, v7
	v_dual_cndmask_b32 v7, v7, v10 :: v_dual_cndmask_b32 v6, v6, v9
	v_add_nc_u32_e32 v9, s17, v9
	s_delay_alu instid0(VALU_DEP_1) | instskip(SKIP_1) | instid1(SALU_CYCLE_1)
	v_cmp_le_i32_e32 vcc_lo, s12, v9
	s_or_b32 s19, vcc_lo, s19
	s_and_not1_b32 exec_lo, exec_lo, s19
	s_cbranch_execnz .LBB33_15
; %bb.16:                               ;   in Loop: Header=BB33_13 Depth=1
	s_or_b32 exec_lo, exec_lo, s19
.LBB33_17:                              ;   in Loop: Header=BB33_13 Depth=1
	s_delay_alu instid0(SALU_CYCLE_1)
	s_or_b32 exec_lo, exec_lo, s16
	;;#ASMSTART
	v_max_f32 v8, v7, v7 quad_perm:[1,0,3,2] row_mask:0xf bank_mask:0xf bound_ctrl:1
	;;#ASMEND
	;;#ASMSTART
	v_max_f32 v9, v8, v8 quad_perm:[2,3,0,1] row_mask:0xf bank_mask:0xf bound_ctrl:1
	;;#ASMEND
	;;#ASMSTART
	v_max_f32 v8, v9, v9 row_half_mirror row_mask:0xf bank_mask:0xf bound_ctrl:1
	;;#ASMEND
	;;#ASMSTART
	v_max_f32 v9, v8, v8 row_mirror row_mask:0xf bank_mask:0xf bound_ctrl:1
	;;#ASMEND
	v_permlanex16_b32 v8, v9, s18, 0xfedcba98 op_sel:[1,1]
	s_delay_alu instid0(VALU_DEP_1) | instskip(NEXT) | instid1(VALU_DEP_1)
	v_dual_max_f32 v9, v9, v9 :: v_dual_max_f32 v8, v8, v8
	v_max_f32_e32 v8, v9, v8
	s_delay_alu instid0(VALU_DEP_1)
	v_cmp_eq_f32_e32 vcc_lo, v7, v8
	s_ctz_i32_b32 s16, vcc_lo
	s_cmp_lg_u32 vcc_lo, 0
	s_cselect_b32 s16, s16, 0
	s_and_b32 vcc_lo, exec_lo, s3
	v_readlane_b32 s16, v6, s16
	s_cbranch_vccz .LBB33_12
; %bb.18:                               ;   in Loop: Header=BB33_13 Depth=1
	s_delay_alu instid0(VALU_DEP_1) | instskip(NEXT) | instid1(SALU_CYCLE_1)
	s_ashr_i32 s17, s16, 31
	s_lshl_b64 s[20:21], s[16:17], 2
	s_delay_alu instid0(SALU_CYCLE_1)
	s_add_u32 s20, s6, s20
	s_addc_u32 s21, s7, s21
	s_load_b32 s17, s[20:21], 0x0
	s_waitcnt lgkmcnt(0)
	v_subrev_f32_e32 v8, s17, v8
	s_branch .LBB33_12
.LBB33_19:
	v_mov_b32_e32 v1, 0
	v_mov_b32_e32 v3, 0
.LBB33_20:
	s_mov_b32 s2, exec_lo
	v_cmpx_gt_i32_e64 s13, v0
	s_cbranch_execz .LBB33_23
; %bb.21:
	s_clause 0x1
	s_load_b32 s2, s[0:1], 0x34
	s_load_b32 s3, s[0:1], 0x44
	v_max_f32_e32 v3, v3, v3
	s_load_b64 s[0:1], s[0:1], 0x20
	s_ashr_i32 s4, s15, 31
	s_delay_alu instid0(VALU_DEP_1) | instskip(SKIP_1) | instid1(VALU_DEP_1)
	v_max_f32_e32 v3, 0x1e3ce508, v3
	s_waitcnt lgkmcnt(0)
	v_div_scale_f32 v4, null, v3, v3, s2
	v_div_scale_f32 v7, vcc_lo, s2, v3, s2
	s_mul_i32 s1, s15, s1
	s_delay_alu instid0(VALU_DEP_2) | instskip(SKIP_4) | instid1(VALU_DEP_1)
	v_rcp_f32_e32 v5, v4
	s_mul_i32 s4, s4, s0
	s_and_b32 s3, s3, 0xffff
	s_waitcnt_depctr 0xfff
	v_fma_f32 v6, -v4, v5, 1.0
	v_fmac_f32_e32 v5, v6, v5
	s_delay_alu instid0(VALU_DEP_1) | instskip(NEXT) | instid1(VALU_DEP_1)
	v_mul_f32_e32 v6, v7, v5
	v_fma_f32 v8, -v4, v6, v7
	s_delay_alu instid0(VALU_DEP_1) | instskip(NEXT) | instid1(VALU_DEP_1)
	v_fmac_f32_e32 v6, v8, v5
	v_fma_f32 v4, -v4, v6, v7
	s_delay_alu instid0(VALU_DEP_1) | instskip(NEXT) | instid1(VALU_DEP_1)
	v_div_fmas_f32 v4, v4, v5, v6
	v_div_fixup_f32 v3, v4, v3, s2
	s_mul_hi_u32 s2, s15, s0
	s_delay_alu instid0(SALU_CYCLE_1) | instskip(SKIP_1) | instid1(VALU_DEP_1)
	s_add_i32 s1, s2, s1
	s_mul_i32 s2, s15, s0
	v_mul_f32_e32 v2, v2, v3
	s_add_i32 s1, s1, s4
	s_mov_b32 s4, 0
	.p2align	6
.LBB33_22:                              ; =>This Inner Loop Header: Depth=1
	v_ashrrev_i32_e32 v4, 31, v0
	v_add_co_u32 v3, vcc_lo, s2, v0
	v_add_nc_u32_e32 v0, s3, v0
	s_delay_alu instid0(VALU_DEP_3) | instskip(NEXT) | instid1(VALU_DEP_2)
	v_add_co_ci_u32_e32 v4, vcc_lo, s1, v4, vcc_lo
	v_cmp_le_i32_e32 vcc_lo, s13, v0
	s_delay_alu instid0(VALU_DEP_2) | instskip(SKIP_1) | instid1(VALU_DEP_1)
	v_lshlrev_b64 v[3:4], 2, v[3:4]
	s_or_b32 s4, vcc_lo, s4
	v_add_co_u32 v5, s0, s8, v3
	s_delay_alu instid0(VALU_DEP_1) | instskip(SKIP_1) | instid1(VALU_DEP_1)
	v_add_co_ci_u32_e64 v6, s0, s9, v4, s0
	v_add_co_u32 v3, s0, s10, v3
	v_add_co_ci_u32_e64 v4, s0, s11, v4, s0
	global_store_b32 v[5:6], v2, off
	global_store_b32 v[3:4], v1, off
	s_and_not1_b32 exec_lo, exec_lo, s4
	s_cbranch_execnz .LBB33_22
.LBB33_23:
	s_nop 0
	s_sendmsg sendmsg(MSG_DEALLOC_VGPRS)
	s_endpgm
	.section	.rodata,"a",@progbits
	.p2align	6, 0x0
	.amdhsa_kernel _ZN5aiter20topk_softplus_kernelIffDv1_fLb1ELi0EEEvPKT_PKT0_PfPimiiif
		.amdhsa_group_segment_fixed_size 0
		.amdhsa_private_segment_fixed_size 0
		.amdhsa_kernarg_size 312
		.amdhsa_user_sgpr_count 15
		.amdhsa_user_sgpr_dispatch_ptr 0
		.amdhsa_user_sgpr_queue_ptr 0
		.amdhsa_user_sgpr_kernarg_segment_ptr 1
		.amdhsa_user_sgpr_dispatch_id 0
		.amdhsa_user_sgpr_private_segment_size 0
		.amdhsa_wavefront_size32 1
		.amdhsa_uses_dynamic_stack 0
		.amdhsa_enable_private_segment 0
		.amdhsa_system_sgpr_workgroup_id_x 1
		.amdhsa_system_sgpr_workgroup_id_y 0
		.amdhsa_system_sgpr_workgroup_id_z 0
		.amdhsa_system_sgpr_workgroup_info 0
		.amdhsa_system_vgpr_workitem_id 0
		.amdhsa_next_free_vgpr 12
		.amdhsa_next_free_sgpr 22
		.amdhsa_reserve_vcc 1
		.amdhsa_float_round_mode_32 0
		.amdhsa_float_round_mode_16_64 0
		.amdhsa_float_denorm_mode_32 3
		.amdhsa_float_denorm_mode_16_64 3
		.amdhsa_dx10_clamp 1
		.amdhsa_ieee_mode 1
		.amdhsa_fp16_overflow 0
		.amdhsa_workgroup_processor_mode 1
		.amdhsa_memory_ordered 1
		.amdhsa_forward_progress 0
		.amdhsa_shared_vgpr_count 0
		.amdhsa_exception_fp_ieee_invalid_op 0
		.amdhsa_exception_fp_denorm_src 0
		.amdhsa_exception_fp_ieee_div_zero 0
		.amdhsa_exception_fp_ieee_overflow 0
		.amdhsa_exception_fp_ieee_underflow 0
		.amdhsa_exception_fp_ieee_inexact 0
		.amdhsa_exception_int_div_zero 0
	.end_amdhsa_kernel
	.section	.text._ZN5aiter20topk_softplus_kernelIffDv1_fLb1ELi0EEEvPKT_PKT0_PfPimiiif,"axG",@progbits,_ZN5aiter20topk_softplus_kernelIffDv1_fLb1ELi0EEEvPKT_PKT0_PfPimiiif,comdat
.Lfunc_end33:
	.size	_ZN5aiter20topk_softplus_kernelIffDv1_fLb1ELi0EEEvPKT_PKT0_PfPimiiif, .Lfunc_end33-_ZN5aiter20topk_softplus_kernelIffDv1_fLb1ELi0EEEvPKT_PKT0_PfPimiiif
                                        ; -- End function
	.section	.AMDGPU.csdata,"",@progbits
; Kernel info:
; codeLenInByte = 1816
; NumSgprs: 24
; NumVgprs: 12
; ScratchSize: 0
; MemoryBound: 0
; FloatMode: 240
; IeeeMode: 1
; LDSByteSize: 0 bytes/workgroup (compile time only)
; SGPRBlocks: 2
; VGPRBlocks: 1
; NumSGPRsForWavesPerEU: 24
; NumVGPRsForWavesPerEU: 12
; Occupancy: 16
; WaveLimiterHint : 0
; COMPUTE_PGM_RSRC2:SCRATCH_EN: 0
; COMPUTE_PGM_RSRC2:USER_SGPR: 15
; COMPUTE_PGM_RSRC2:TRAP_HANDLER: 0
; COMPUTE_PGM_RSRC2:TGID_X_EN: 1
; COMPUTE_PGM_RSRC2:TGID_Y_EN: 0
; COMPUTE_PGM_RSRC2:TGID_Z_EN: 0
; COMPUTE_PGM_RSRC2:TIDIG_COMP_CNT: 0
	.section	.text._ZN5aiter20topk_softplus_kernelIffDv1_fLb0ELi0EEEvPKT_PKT0_PfPimiiif,"axG",@progbits,_ZN5aiter20topk_softplus_kernelIffDv1_fLb0ELi0EEEvPKT_PKT0_PfPimiiif,comdat
	.protected	_ZN5aiter20topk_softplus_kernelIffDv1_fLb0ELi0EEEvPKT_PKT0_PfPimiiif ; -- Begin function _ZN5aiter20topk_softplus_kernelIffDv1_fLb0ELi0EEEvPKT_PKT0_PfPimiiif
	.globl	_ZN5aiter20topk_softplus_kernelIffDv1_fLb0ELi0EEEvPKT_PKT0_PfPimiiif
	.p2align	8
	.type	_ZN5aiter20topk_softplus_kernelIffDv1_fLb0ELi0EEEvPKT_PKT0_PfPimiiif,@function
_ZN5aiter20topk_softplus_kernelIffDv1_fLb0ELi0EEEvPKT_PKT0_PfPimiiif: ; @_ZN5aiter20topk_softplus_kernelIffDv1_fLb0ELi0EEEvPKT_PKT0_PfPimiiif
; %bb.0:
	s_clause 0x1
	s_load_b64 s[12:13], s[0:1], 0x28
	s_load_b256 s[4:11], s[0:1], 0x0
	v_lshl_add_u32 v4, v0, 2, 0
	s_waitcnt lgkmcnt(0)
	s_mul_i32 s16, s15, s12
	v_cmp_gt_i32_e64 s2, s12, v0
	s_ashr_i32 s17, s16, 31
	s_delay_alu instid0(SALU_CYCLE_1) | instskip(NEXT) | instid1(SALU_CYCLE_1)
	s_lshl_b64 s[16:17], s[16:17], 2
	s_add_u32 s4, s4, s16
	s_addc_u32 s5, s5, s17
	s_and_saveexec_b32 s14, s2
	s_cbranch_execz .LBB34_5
; %bb.1:
	s_load_b32 s3, s[0:1], 0x44
	s_cmp_lg_u64 s[6:7], 0
	v_lshl_add_u32 v5, v0, 2, 0
	v_mov_b32_e32 v1, v0
	s_cselect_b32 s16, -1, 0
	s_mov_b32 s18, 0
	s_waitcnt lgkmcnt(0)
	s_and_b32 s17, s3, 0xffff
	s_delay_alu instid0(SALU_CYCLE_1)
	s_lshl_b32 s19, s17, 2
	s_branch .LBB34_3
.LBB34_2:                               ;   in Loop: Header=BB34_3 Depth=1
	v_add_nc_u32_e32 v1, s17, v1
	ds_store_b32 v5, v6
	v_add_nc_u32_e32 v5, s19, v5
	v_cmp_le_i32_e32 vcc_lo, s12, v1
	s_or_b32 s18, vcc_lo, s18
	s_delay_alu instid0(SALU_CYCLE_1)
	s_and_not1_b32 exec_lo, exec_lo, s18
	s_cbranch_execz .LBB34_5
.LBB34_3:                               ; =>This Inner Loop Header: Depth=1
	v_ashrrev_i32_e32 v2, 31, v1
	s_delay_alu instid0(VALU_DEP_1) | instskip(NEXT) | instid1(VALU_DEP_1)
	v_lshlrev_b64 v[2:3], 2, v[1:2]
	v_add_co_u32 v6, vcc_lo, s4, v2
	s_delay_alu instid0(VALU_DEP_2) | instskip(SKIP_3) | instid1(VALU_DEP_1)
	v_add_co_ci_u32_e32 v7, vcc_lo, s5, v3, vcc_lo
	global_load_b32 v6, v[6:7], off
	s_waitcnt vmcnt(0)
	v_mul_f32_e32 v7, 0x3fb8aa3b, v6
	v_cmp_gt_f32_e32 vcc_lo, 0xc2fc0000, v7
	v_cndmask_b32_e64 v7, 0, 0x42800000, vcc_lo
	v_cndmask_b32_e64 v8, 1.0, 0x1f800000, vcc_lo
	s_delay_alu instid0(VALU_DEP_2) | instskip(NEXT) | instid1(VALU_DEP_1)
	v_fmac_f32_e32 v7, 0x3fb8aa3b, v6
	v_exp_f32_e32 v7, v7
	s_waitcnt_depctr 0xfff
	v_fma_f32 v7, v7, v8, 1.0
	s_delay_alu instid0(VALU_DEP_1) | instskip(SKIP_1) | instid1(VALU_DEP_1)
	v_cmp_gt_f32_e32 vcc_lo, 0x800000, v7
	v_cndmask_b32_e64 v8, 1.0, 0x4f800000, vcc_lo
	v_mul_f32_e32 v7, v7, v8
	v_cndmask_b32_e64 v8, 0, 0x42000000, vcc_lo
	v_cmp_lt_f32_e32 vcc_lo, 0x41a00000, v6
	s_delay_alu instid0(VALU_DEP_3) | instskip(SKIP_2) | instid1(VALU_DEP_1)
	v_log_f32_e32 v7, v7
	s_waitcnt_depctr 0xfff
	v_sub_f32_e32 v7, v7, v8
	v_mul_f32_e32 v7, 0x3f317218, v7
	s_delay_alu instid0(VALU_DEP_1) | instskip(NEXT) | instid1(VALU_DEP_1)
	v_cndmask_b32_e32 v6, v7, v6, vcc_lo
	v_mul_f32_e32 v7, 0x4f800000, v6
	v_cmp_gt_f32_e32 vcc_lo, 0xf800000, v6
	s_delay_alu instid0(VALU_DEP_2) | instskip(NEXT) | instid1(VALU_DEP_1)
	v_cndmask_b32_e32 v6, v6, v7, vcc_lo
	v_sqrt_f32_e32 v7, v6
	s_waitcnt_depctr 0xfff
	v_add_nc_u32_e32 v8, -1, v7
	v_add_nc_u32_e32 v9, 1, v7
	s_delay_alu instid0(VALU_DEP_2) | instskip(NEXT) | instid1(VALU_DEP_2)
	v_fma_f32 v10, -v8, v7, v6
	v_fma_f32 v11, -v9, v7, v6
	s_delay_alu instid0(VALU_DEP_2) | instskip(NEXT) | instid1(VALU_DEP_1)
	v_cmp_ge_f32_e64 s3, 0, v10
	v_cndmask_b32_e64 v7, v7, v8, s3
	s_delay_alu instid0(VALU_DEP_3) | instskip(NEXT) | instid1(VALU_DEP_1)
	v_cmp_lt_f32_e64 s3, 0, v11
	v_cndmask_b32_e64 v7, v7, v9, s3
	s_delay_alu instid0(VALU_DEP_1) | instskip(NEXT) | instid1(VALU_DEP_1)
	v_mul_f32_e32 v8, 0x37800000, v7
	v_cndmask_b32_e32 v7, v7, v8, vcc_lo
	v_cmp_class_f32_e64 vcc_lo, v6, 0x260
	s_delay_alu instid0(VALU_DEP_2)
	v_cndmask_b32_e32 v6, v7, v6, vcc_lo
	s_and_not1_b32 vcc_lo, exec_lo, s16
	s_cbranch_vccnz .LBB34_2
; %bb.4:                                ;   in Loop: Header=BB34_3 Depth=1
	v_add_co_u32 v2, vcc_lo, s6, v2
	v_add_co_ci_u32_e32 v3, vcc_lo, s7, v3, vcc_lo
	global_load_b32 v2, v[2:3], off
	s_waitcnt vmcnt(0)
	v_add_f32_e32 v6, v6, v2
	s_branch .LBB34_2
.LBB34_5:
	s_or_b32 exec_lo, exec_lo, s14
	v_add_nc_u32_e32 v1, s12, v0
	s_mov_b32 s14, exec_lo
	s_delay_alu instid0(VALU_DEP_1)
	v_cmpx_gt_i32_e64 s12, v1
	s_cbranch_execz .LBB34_10
; %bb.6:
	s_load_b32 s3, s[0:1], 0x44
	s_cmp_lg_u64 s[6:7], 0
	v_lshl_add_u32 v5, v1, 2, 0
	s_cselect_b32 s16, -1, 0
	s_mov_b32 s18, 0
	s_waitcnt lgkmcnt(0)
	s_and_b32 s17, s3, 0xffff
	s_delay_alu instid0(SALU_CYCLE_1)
	s_lshl_b32 s19, s17, 2
	s_branch .LBB34_8
.LBB34_7:                               ;   in Loop: Header=BB34_8 Depth=1
	v_add_nc_u32_e32 v1, s17, v1
	v_add_nc_u32_e32 v5, s19, v5
	s_delay_alu instid0(VALU_DEP_2) | instskip(SKIP_1) | instid1(SALU_CYCLE_1)
	v_cmp_le_i32_e32 vcc_lo, s12, v1
	s_or_b32 s18, vcc_lo, s18
	s_and_not1_b32 exec_lo, exec_lo, s18
	s_cbranch_execz .LBB34_10
.LBB34_8:                               ; =>This Inner Loop Header: Depth=1
	v_ashrrev_i32_e32 v2, 31, v1
	s_delay_alu instid0(VALU_DEP_1) | instskip(NEXT) | instid1(VALU_DEP_1)
	v_lshlrev_b64 v[2:3], 2, v[1:2]
	v_add_co_u32 v6, vcc_lo, s4, v2
	s_delay_alu instid0(VALU_DEP_2) | instskip(SKIP_3) | instid1(VALU_DEP_1)
	v_add_co_ci_u32_e32 v7, vcc_lo, s5, v3, vcc_lo
	global_load_b32 v6, v[6:7], off
	s_waitcnt vmcnt(0)
	v_mul_f32_e32 v7, 0x3fb8aa3b, v6
	v_cmp_gt_f32_e32 vcc_lo, 0xc2fc0000, v7
	v_cndmask_b32_e64 v7, 0, 0x42800000, vcc_lo
	v_cndmask_b32_e64 v8, 1.0, 0x1f800000, vcc_lo
	s_delay_alu instid0(VALU_DEP_2) | instskip(NEXT) | instid1(VALU_DEP_1)
	v_fmac_f32_e32 v7, 0x3fb8aa3b, v6
	v_exp_f32_e32 v7, v7
	s_waitcnt_depctr 0xfff
	v_fma_f32 v7, v7, v8, 1.0
	s_delay_alu instid0(VALU_DEP_1) | instskip(SKIP_1) | instid1(VALU_DEP_1)
	v_cmp_gt_f32_e32 vcc_lo, 0x800000, v7
	v_cndmask_b32_e64 v8, 1.0, 0x4f800000, vcc_lo
	v_mul_f32_e32 v7, v7, v8
	v_cndmask_b32_e64 v8, 0, 0x42000000, vcc_lo
	v_cmp_lt_f32_e32 vcc_lo, 0x41a00000, v6
	s_delay_alu instid0(VALU_DEP_3) | instskip(SKIP_2) | instid1(VALU_DEP_1)
	v_log_f32_e32 v7, v7
	s_waitcnt_depctr 0xfff
	v_sub_f32_e32 v7, v7, v8
	v_mul_f32_e32 v7, 0x3f317218, v7
	s_delay_alu instid0(VALU_DEP_1) | instskip(NEXT) | instid1(VALU_DEP_1)
	v_cndmask_b32_e32 v6, v7, v6, vcc_lo
	v_mul_f32_e32 v7, 0x4f800000, v6
	v_cmp_gt_f32_e32 vcc_lo, 0xf800000, v6
	s_delay_alu instid0(VALU_DEP_2) | instskip(NEXT) | instid1(VALU_DEP_1)
	v_cndmask_b32_e32 v6, v6, v7, vcc_lo
	v_sqrt_f32_e32 v7, v6
	s_waitcnt_depctr 0xfff
	v_add_nc_u32_e32 v8, -1, v7
	v_add_nc_u32_e32 v9, 1, v7
	s_delay_alu instid0(VALU_DEP_2) | instskip(NEXT) | instid1(VALU_DEP_2)
	v_fma_f32 v10, -v8, v7, v6
	v_fma_f32 v11, -v9, v7, v6
	s_delay_alu instid0(VALU_DEP_2) | instskip(NEXT) | instid1(VALU_DEP_1)
	v_cmp_ge_f32_e64 s3, 0, v10
	v_cndmask_b32_e64 v7, v7, v8, s3
	s_delay_alu instid0(VALU_DEP_3) | instskip(NEXT) | instid1(VALU_DEP_1)
	v_cmp_lt_f32_e64 s3, 0, v11
	v_cndmask_b32_e64 v7, v7, v9, s3
	s_delay_alu instid0(VALU_DEP_1) | instskip(NEXT) | instid1(VALU_DEP_1)
	v_mul_f32_e32 v8, 0x37800000, v7
	v_cndmask_b32_e32 v7, v7, v8, vcc_lo
	v_cmp_class_f32_e64 vcc_lo, v6, 0x260
	s_delay_alu instid0(VALU_DEP_2)
	v_cndmask_b32_e32 v6, v7, v6, vcc_lo
	s_and_not1_b32 vcc_lo, exec_lo, s16
	ds_store_b32 v5, v6
	s_cbranch_vccnz .LBB34_7
; %bb.9:                                ;   in Loop: Header=BB34_8 Depth=1
	v_add_co_u32 v2, vcc_lo, s6, v2
	v_add_co_ci_u32_e32 v3, vcc_lo, s7, v3, vcc_lo
	global_load_b32 v2, v[2:3], off
	s_waitcnt vmcnt(0)
	v_add_f32_e32 v2, v6, v2
	ds_store_b32 v5, v2
	s_branch .LBB34_7
.LBB34_10:
	s_or_b32 exec_lo, exec_lo, s14
	s_cmp_lt_i32 s13, 1
	s_waitcnt lgkmcnt(0)
	s_barrier
	buffer_gl0_inv
	s_cbranch_scc1 .LBB34_19
; %bb.11:
	s_add_u32 s4, s0, 56
	s_addc_u32 s5, s1, 0
	v_dual_mov_b32 v2, 0 :: v_dual_mov_b32 v1, 0
	v_mov_b32_e32 v3, 0xff800000
	s_cmp_lg_u64 s[6:7], 0
	s_mov_b32 s14, 0
	s_cselect_b32 s3, -1, 0
	s_mov_b32 s18, 0x76543210
	s_branch .LBB34_13
.LBB34_12:                              ;   in Loop: Header=BB34_13 Depth=1
	v_cmp_eq_u32_e32 vcc_lo, s14, v0
	s_delay_alu instid0(VALU_DEP_2)
	s_lshl_b32 s17, s16, 2
	s_add_i32 s14, s14, 1
	s_add_i32 s17, s17, 0
	s_cmp_eq_u32 s14, s13
	v_cndmask_b32_e64 v1, v1, s16, vcc_lo
	v_dual_mov_b32 v5, s17 :: v_dual_cndmask_b32 v2, v2, v7
	ds_store_b32 v5, v3
	s_cbranch_scc1 .LBB34_20
.LBB34_13:                              ; =>This Loop Header: Depth=1
                                        ;     Child Loop BB34_15 Depth 2
	v_dual_mov_b32 v5, s14 :: v_dual_mov_b32 v6, 0xff800000
	s_and_saveexec_b32 s16, s2
	s_cbranch_execz .LBB34_17
; %bb.14:                               ;   in Loop: Header=BB34_13 Depth=1
	s_load_b32 s17, s[4:5], 0xc
	v_dual_mov_b32 v5, s14 :: v_dual_mov_b32 v6, 0xff800000
	v_mov_b32_e32 v7, v4
	v_mov_b32_e32 v8, v0
	s_mov_b32 s19, 0
	s_waitcnt lgkmcnt(0)
	s_and_b32 s17, s17, 0xffff
	s_delay_alu instid0(SALU_CYCLE_1)
	s_lshl_b32 s20, s17, 2
.LBB34_15:                              ;   Parent Loop BB34_13 Depth=1
                                        ; =>  This Inner Loop Header: Depth=2
	ds_load_b32 v9, v7
	v_add_nc_u32_e32 v7, s20, v7
	s_waitcnt lgkmcnt(0)
	v_cmp_gt_f32_e32 vcc_lo, v9, v6
	v_dual_cndmask_b32 v6, v6, v9 :: v_dual_cndmask_b32 v5, v5, v8
	v_add_nc_u32_e32 v8, s17, v8
	s_delay_alu instid0(VALU_DEP_1) | instskip(SKIP_1) | instid1(SALU_CYCLE_1)
	v_cmp_le_i32_e32 vcc_lo, s12, v8
	s_or_b32 s19, vcc_lo, s19
	s_and_not1_b32 exec_lo, exec_lo, s19
	s_cbranch_execnz .LBB34_15
; %bb.16:                               ;   in Loop: Header=BB34_13 Depth=1
	s_or_b32 exec_lo, exec_lo, s19
.LBB34_17:                              ;   in Loop: Header=BB34_13 Depth=1
	s_delay_alu instid0(SALU_CYCLE_1)
	s_or_b32 exec_lo, exec_lo, s16
	;;#ASMSTART
	v_max_f32 v7, v6, v6 quad_perm:[1,0,3,2] row_mask:0xf bank_mask:0xf bound_ctrl:1
	;;#ASMEND
	;;#ASMSTART
	v_max_f32 v8, v7, v7 quad_perm:[2,3,0,1] row_mask:0xf bank_mask:0xf bound_ctrl:1
	;;#ASMEND
	;;#ASMSTART
	v_max_f32 v7, v8, v8 row_half_mirror row_mask:0xf bank_mask:0xf bound_ctrl:1
	;;#ASMEND
	;;#ASMSTART
	v_max_f32 v8, v7, v7 row_mirror row_mask:0xf bank_mask:0xf bound_ctrl:1
	;;#ASMEND
	v_permlanex16_b32 v7, v8, s18, 0xfedcba98 op_sel:[1,1]
	s_delay_alu instid0(VALU_DEP_1) | instskip(NEXT) | instid1(VALU_DEP_1)
	v_dual_max_f32 v8, v8, v8 :: v_dual_max_f32 v7, v7, v7
	v_max_f32_e32 v7, v8, v7
	s_delay_alu instid0(VALU_DEP_1)
	v_cmp_eq_f32_e32 vcc_lo, v6, v7
	s_ctz_i32_b32 s16, vcc_lo
	s_cmp_lg_u32 vcc_lo, 0
	s_cselect_b32 s16, s16, 0
	s_and_b32 vcc_lo, exec_lo, s3
	v_readlane_b32 s16, v5, s16
	s_cbranch_vccz .LBB34_12
; %bb.18:                               ;   in Loop: Header=BB34_13 Depth=1
	s_delay_alu instid0(VALU_DEP_1) | instskip(NEXT) | instid1(SALU_CYCLE_1)
	s_ashr_i32 s17, s16, 31
	s_lshl_b64 s[20:21], s[16:17], 2
	s_delay_alu instid0(SALU_CYCLE_1)
	s_add_u32 s20, s6, s20
	s_addc_u32 s21, s7, s21
	s_load_b32 s17, s[20:21], 0x0
	s_waitcnt lgkmcnt(0)
	v_subrev_f32_e32 v7, s17, v7
	s_branch .LBB34_12
.LBB34_19:
	v_dual_mov_b32 v2, 0 :: v_dual_mov_b32 v1, 0
.LBB34_20:
	s_mov_b32 s2, exec_lo
	v_cmpx_gt_i32_e64 s13, v0
	s_cbranch_execz .LBB34_23
; %bb.21:
	s_clause 0x2
	s_load_b32 s4, s[0:1], 0x34
	s_load_b64 s[2:3], s[0:1], 0x20
	s_load_b32 s0, s[0:1], 0x44
	s_ashr_i32 s1, s15, 31
	s_waitcnt lgkmcnt(0)
	v_mul_f32_e32 v2, s4, v2
	s_mul_i32 s3, s15, s3
	s_mul_hi_u32 s4, s15, s2
	s_mul_i32 s5, s1, s2
	s_add_i32 s3, s4, s3
	s_mul_i32 s1, s15, s2
	s_and_b32 s2, s0, 0xffff
	s_add_i32 s3, s3, s5
	s_mov_b32 s4, 0
	.p2align	6
.LBB34_22:                              ; =>This Inner Loop Header: Depth=1
	v_ashrrev_i32_e32 v4, 31, v0
	v_add_co_u32 v3, vcc_lo, s1, v0
	v_add_nc_u32_e32 v0, s2, v0
	s_delay_alu instid0(VALU_DEP_3) | instskip(NEXT) | instid1(VALU_DEP_2)
	v_add_co_ci_u32_e32 v4, vcc_lo, s3, v4, vcc_lo
	v_cmp_le_i32_e32 vcc_lo, s13, v0
	s_delay_alu instid0(VALU_DEP_2) | instskip(SKIP_1) | instid1(VALU_DEP_1)
	v_lshlrev_b64 v[3:4], 2, v[3:4]
	s_or_b32 s4, vcc_lo, s4
	v_add_co_u32 v5, s0, s8, v3
	s_delay_alu instid0(VALU_DEP_1) | instskip(SKIP_1) | instid1(VALU_DEP_1)
	v_add_co_ci_u32_e64 v6, s0, s9, v4, s0
	v_add_co_u32 v3, s0, s10, v3
	v_add_co_ci_u32_e64 v4, s0, s11, v4, s0
	global_store_b32 v[5:6], v2, off
	global_store_b32 v[3:4], v1, off
	s_and_not1_b32 exec_lo, exec_lo, s4
	s_cbranch_execnz .LBB34_22
.LBB34_23:
	s_nop 0
	s_sendmsg sendmsg(MSG_DEALLOC_VGPRS)
	s_endpgm
	.section	.rodata,"a",@progbits
	.p2align	6, 0x0
	.amdhsa_kernel _ZN5aiter20topk_softplus_kernelIffDv1_fLb0ELi0EEEvPKT_PKT0_PfPimiiif
		.amdhsa_group_segment_fixed_size 0
		.amdhsa_private_segment_fixed_size 0
		.amdhsa_kernarg_size 312
		.amdhsa_user_sgpr_count 15
		.amdhsa_user_sgpr_dispatch_ptr 0
		.amdhsa_user_sgpr_queue_ptr 0
		.amdhsa_user_sgpr_kernarg_segment_ptr 1
		.amdhsa_user_sgpr_dispatch_id 0
		.amdhsa_user_sgpr_private_segment_size 0
		.amdhsa_wavefront_size32 1
		.amdhsa_uses_dynamic_stack 0
		.amdhsa_enable_private_segment 0
		.amdhsa_system_sgpr_workgroup_id_x 1
		.amdhsa_system_sgpr_workgroup_id_y 0
		.amdhsa_system_sgpr_workgroup_id_z 0
		.amdhsa_system_sgpr_workgroup_info 0
		.amdhsa_system_vgpr_workitem_id 0
		.amdhsa_next_free_vgpr 12
		.amdhsa_next_free_sgpr 22
		.amdhsa_reserve_vcc 1
		.amdhsa_float_round_mode_32 0
		.amdhsa_float_round_mode_16_64 0
		.amdhsa_float_denorm_mode_32 3
		.amdhsa_float_denorm_mode_16_64 3
		.amdhsa_dx10_clamp 1
		.amdhsa_ieee_mode 1
		.amdhsa_fp16_overflow 0
		.amdhsa_workgroup_processor_mode 1
		.amdhsa_memory_ordered 1
		.amdhsa_forward_progress 0
		.amdhsa_shared_vgpr_count 0
		.amdhsa_exception_fp_ieee_invalid_op 0
		.amdhsa_exception_fp_denorm_src 0
		.amdhsa_exception_fp_ieee_div_zero 0
		.amdhsa_exception_fp_ieee_overflow 0
		.amdhsa_exception_fp_ieee_underflow 0
		.amdhsa_exception_fp_ieee_inexact 0
		.amdhsa_exception_int_div_zero 0
	.end_amdhsa_kernel
	.section	.text._ZN5aiter20topk_softplus_kernelIffDv1_fLb0ELi0EEEvPKT_PKT0_PfPimiiif,"axG",@progbits,_ZN5aiter20topk_softplus_kernelIffDv1_fLb0ELi0EEEvPKT_PKT0_PfPimiiif,comdat
.Lfunc_end34:
	.size	_ZN5aiter20topk_softplus_kernelIffDv1_fLb0ELi0EEEvPKT_PKT0_PfPimiiif, .Lfunc_end34-_ZN5aiter20topk_softplus_kernelIffDv1_fLb0ELi0EEEvPKT_PKT0_PfPimiiif
                                        ; -- End function
	.section	.AMDGPU.csdata,"",@progbits
; Kernel info:
; codeLenInByte = 1692
; NumSgprs: 24
; NumVgprs: 12
; ScratchSize: 0
; MemoryBound: 0
; FloatMode: 240
; IeeeMode: 1
; LDSByteSize: 0 bytes/workgroup (compile time only)
; SGPRBlocks: 2
; VGPRBlocks: 1
; NumSGPRsForWavesPerEU: 24
; NumVGPRsForWavesPerEU: 12
; Occupancy: 16
; WaveLimiterHint : 0
; COMPUTE_PGM_RSRC2:SCRATCH_EN: 0
; COMPUTE_PGM_RSRC2:USER_SGPR: 15
; COMPUTE_PGM_RSRC2:TRAP_HANDLER: 0
; COMPUTE_PGM_RSRC2:TGID_X_EN: 1
; COMPUTE_PGM_RSRC2:TGID_Y_EN: 0
; COMPUTE_PGM_RSRC2:TGID_Z_EN: 0
; COMPUTE_PGM_RSRC2:TIDIG_COMP_CNT: 0
	.section	.text._ZN5aiter24topk_softplus_kernel_optIf6__halfLi64ELb1ELi1EEEvPKT_PKT0_PfPimiif,"axG",@progbits,_ZN5aiter24topk_softplus_kernel_optIf6__halfLi64ELb1ELi1EEEvPKT_PKT0_PfPimiif,comdat
	.protected	_ZN5aiter24topk_softplus_kernel_optIf6__halfLi64ELb1ELi1EEEvPKT_PKT0_PfPimiif ; -- Begin function _ZN5aiter24topk_softplus_kernel_optIf6__halfLi64ELb1ELi1EEEvPKT_PKT0_PfPimiif
	.globl	_ZN5aiter24topk_softplus_kernel_optIf6__halfLi64ELb1ELi1EEEvPKT_PKT0_PfPimiif
	.p2align	8
	.type	_ZN5aiter24topk_softplus_kernel_optIf6__halfLi64ELb1ELi1EEEvPKT_PKT0_PfPimiif,@function
_ZN5aiter24topk_softplus_kernel_optIf6__halfLi64ELb1ELi1EEEvPKT_PKT0_PfPimiif: ; @_ZN5aiter24topk_softplus_kernel_optIf6__halfLi64ELb1ELi1EEEvPKT_PKT0_PfPimiif
; %bb.0:
	s_load_b128 s[4:7], s[0:1], 0x0
	s_lshl_b32 s2, s15, 6
	v_lshlrev_b32_e32 v3, 2, v0
	s_ashr_i32 s3, s2, 31
	v_lshlrev_b32_e32 v4, 1, v0
	s_lshl_b64 s[2:3], s[2:3], 2
	s_waitcnt lgkmcnt(0)
	s_add_u32 s4, s4, s2
	s_addc_u32 s5, s5, s3
	s_cmp_lg_u64 s[6:7], 0
	global_load_b32 v1, v3, s[4:5]
	s_cselect_b32 s2, -1, 0
	s_waitcnt vmcnt(0)
	v_mul_f32_e32 v2, 0xbfb8aa3b, v1
	s_delay_alu instid0(VALU_DEP_1) | instskip(SKIP_1) | instid1(VALU_DEP_1)
	v_cmp_gt_f32_e32 vcc_lo, 0xc2fc0000, v2
	v_cndmask_b32_e64 v2, 0, 0x42800000, vcc_lo
	v_fmac_f32_e32 v2, 0xbfb8aa3b, v1
	s_delay_alu instid0(VALU_DEP_1) | instskip(SKIP_4) | instid1(VALU_DEP_1)
	v_exp_f32_e32 v1, v2
	v_cndmask_b32_e64 v2, 1.0, 0x1f800000, vcc_lo
	s_and_b32 vcc_lo, exec_lo, s2
	s_waitcnt_depctr 0xfff
	v_fma_f32 v1, v1, v2, 1.0
	v_rcp_f32_e32 v10, v1
	v_add_co_u32 v1, s3, s4, v3
	s_delay_alu instid0(VALU_DEP_1)
	v_add_co_ci_u32_e64 v2, null, s5, 0, s3
	s_waitcnt_depctr 0xfff
	v_mov_b32_e32 v8, v10
	s_cbranch_vccz .LBB35_2
; %bb.1:
	global_load_u16 v5, v4, s[6:7]
	s_waitcnt vmcnt(0)
	v_cvt_f32_f16_e32 v5, v5
	s_delay_alu instid0(VALU_DEP_1)
	v_add_f32_e32 v8, v10, v5
.LBB35_2:
	global_load_b32 v1, v[1:2], off offset:128
	s_waitcnt vmcnt(0)
	v_mul_f32_e32 v2, 0xbfb8aa3b, v1
	s_delay_alu instid0(VALU_DEP_1) | instskip(SKIP_3) | instid1(VALU_DEP_2)
	v_cmp_gt_f32_e32 vcc_lo, 0xc2fc0000, v2
	v_cndmask_b32_e64 v5, 0, 0x42800000, vcc_lo
	v_cndmask_b32_e64 v2, 1.0, 0x1f800000, vcc_lo
	s_and_not1_b32 vcc_lo, exec_lo, s2
	v_fmac_f32_e32 v5, 0xbfb8aa3b, v1
	s_delay_alu instid0(VALU_DEP_1) | instskip(SKIP_2) | instid1(VALU_DEP_1)
	v_exp_f32_e32 v1, v5
	s_waitcnt_depctr 0xfff
	v_fma_f32 v1, v1, v2, 1.0
	v_rcp_f32_e32 v11, v1
	s_waitcnt_depctr 0xfff
	v_mov_b32_e32 v9, v11
	s_cbranch_vccnz .LBB35_4
; %bb.3:
	global_load_u16 v1, v4, s[6:7] offset:64
	s_waitcnt vmcnt(0)
	v_cvt_f32_f16_e32 v1, v1
	s_delay_alu instid0(VALU_DEP_1)
	v_add_f32_e32 v9, v11, v1
.LBB35_4:
	s_clause 0x1
	s_load_b32 s8, s[0:1], 0x28
	s_load_b128 s[4:7], s[0:1], 0x10
	v_dual_mov_b32 v4, 0 :: v_dual_mov_b32 v1, 0
	v_mov_b32_e32 v2, 0
	s_waitcnt lgkmcnt(0)
	s_cmp_gt_i32 s8, 0
	s_cbranch_scc0 .LBB35_7
; %bb.5:
	v_cmp_lt_f32_e32 vcc_lo, v8, v9
	v_add_nc_u32_e32 v1, 32, v0
	s_mov_b32 s9, 0x76543210
	s_mov_b32 s10, s8
	v_dual_mov_b32 v4, 0 :: v_dual_cndmask_b32 v7, v9, v8
	s_delay_alu instid0(VALU_DEP_2)
	v_dual_cndmask_b32 v8, v8, v9 :: v_dual_cndmask_b32 v5, v1, v0
	v_dual_cndmask_b32 v6, v0, v1 :: v_dual_cndmask_b32 v9, v11, v10
	v_dual_cndmask_b32 v10, v10, v11 :: v_dual_mov_b32 v11, 0
	v_dual_mov_b32 v12, v0 :: v_dual_mov_b32 v1, 0
	v_mov_b32_e32 v2, 0
.LBB35_6:                               ; =>This Inner Loop Header: Depth=1
	s_delay_alu instid0(VALU_DEP_3) | instskip(SKIP_2) | instid1(VALU_DEP_1)
	v_cmp_eq_u32_e32 vcc_lo, 1, v11
	v_cmp_gt_u32_e64 s2, 2, v11
	v_dual_cndmask_b32 v13, v8, v7 :: v_dual_cndmask_b32 v14, v6, v5
	v_cndmask_b32_e64 v13, 0xff800000, v13, s2
	;;#ASMSTART
	v_max_f32 v16, v13, v13 quad_perm:[1,0,3,2] row_mask:0xf bank_mask:0xf bound_ctrl:1
	;;#ASMEND
	;;#ASMSTART
	v_max_f32 v17, v16, v16 quad_perm:[2,3,0,1] row_mask:0xf bank_mask:0xf bound_ctrl:1
	;;#ASMEND
	;;#ASMSTART
	v_max_f32 v16, v17, v17 row_half_mirror row_mask:0xf bank_mask:0xf bound_ctrl:1
	;;#ASMEND
	;;#ASMSTART
	v_max_f32 v17, v16, v16 row_mirror row_mask:0xf bank_mask:0xf bound_ctrl:1
	;;#ASMEND
	v_permlanex16_b32 v16, v17, s9, 0xfedcba98 op_sel:[1,1]
	v_max_f32_e32 v17, v17, v17
	v_cndmask_b32_e64 v15, 0, v14, s2
	s_delay_alu instid0(VALU_DEP_3) | instskip(NEXT) | instid1(VALU_DEP_1)
	v_max_f32_e32 v16, v16, v16
	v_max_f32_e32 v16, v17, v16
	s_delay_alu instid0(VALU_DEP_1) | instskip(SKIP_1) | instid1(VALU_DEP_2)
	v_cmp_eq_f32_e64 s3, v13, v16
	v_cndmask_b32_e32 v13, v10, v9, vcc_lo
	s_ctz_i32_b32 s11, s3
	s_cmp_lg_u32 s3, 0
	s_cselect_b32 s3, s11, 0
	s_add_i32 s10, s10, -1
	v_readlane_b32 s3, v15, s3
	s_delay_alu instid0(VALU_DEP_1)
	v_cmp_eq_u32_e32 vcc_lo, s3, v14
	s_and_b32 vcc_lo, s2, vcc_lo
	s_and_b32 s2, s3, 31
	v_cndmask_b32_e32 v13, 0, v13, vcc_lo
	v_add_co_ci_u32_e32 v11, vcc_lo, 0, v11, vcc_lo
	s_cmp_eq_u32 s10, 0
	s_delay_alu instid0(VALU_DEP_2) | instskip(SKIP_2) | instid1(VALU_DEP_3)
	v_readlane_b32 s11, v13, s2
	v_cmp_eq_u32_e64 s2, 0, v12
	v_add_nc_u32_e32 v12, -1, v12
	v_add_f32_e32 v4, s11, v4
	s_delay_alu instid0(VALU_DEP_3)
	v_cndmask_b32_e64 v2, v2, s11, s2
	v_cndmask_b32_e64 v1, v1, s3, s2
	s_cbranch_scc0 .LBB35_6
.LBB35_7:
	s_mov_b32 s2, exec_lo
	v_cmpx_gt_i32_e64 s8, v0
	s_cbranch_execz .LBB35_9
; %bb.8:
	s_load_b32 s2, s[0:1], 0x30
	v_max_f32_e32 v0, v4, v4
	s_load_b64 s[0:1], s[0:1], 0x20
	s_ashr_i32 s3, s15, 31
	s_delay_alu instid0(VALU_DEP_1) | instskip(SKIP_1) | instid1(VALU_DEP_1)
	v_max_f32_e32 v0, 0x1e3ce508, v0
	s_waitcnt lgkmcnt(0)
	v_div_scale_f32 v4, null, v0, v0, s2
	v_div_scale_f32 v7, vcc_lo, s2, v0, s2
	s_mul_i32 s1, s15, s1
	s_delay_alu instid0(VALU_DEP_2)
	v_rcp_f32_e32 v5, v4
	s_mul_hi_u32 s8, s15, s0
	s_mul_i32 s3, s3, s0
	s_add_i32 s1, s8, s1
	s_mul_i32 s0, s15, s0
	s_add_i32 s1, s1, s3
	s_delay_alu instid0(SALU_CYCLE_1) | instskip(SKIP_2) | instid1(VALU_DEP_1)
	s_lshl_b64 s[0:1], s[0:1], 2
	s_waitcnt_depctr 0xfff
	v_fma_f32 v6, -v4, v5, 1.0
	v_fmac_f32_e32 v5, v6, v5
	s_delay_alu instid0(VALU_DEP_1) | instskip(NEXT) | instid1(VALU_DEP_1)
	v_mul_f32_e32 v6, v7, v5
	v_fma_f32 v8, -v4, v6, v7
	s_delay_alu instid0(VALU_DEP_1) | instskip(NEXT) | instid1(VALU_DEP_1)
	v_fmac_f32_e32 v6, v8, v5
	v_fma_f32 v4, -v4, v6, v7
	s_delay_alu instid0(VALU_DEP_1) | instskip(NEXT) | instid1(VALU_DEP_1)
	v_div_fmas_f32 v4, v4, v5, v6
	v_div_fixup_f32 v0, v4, v0, s2
	s_add_u32 s2, s4, s0
	s_addc_u32 s3, s5, s1
	s_add_u32 s0, s6, s0
	s_addc_u32 s1, s7, s1
	v_mul_f32_e32 v0, v2, v0
	s_clause 0x1
	global_store_b32 v3, v0, s[2:3]
	global_store_b32 v3, v1, s[0:1]
.LBB35_9:
	s_nop 0
	s_sendmsg sendmsg(MSG_DEALLOC_VGPRS)
	s_endpgm
	.section	.rodata,"a",@progbits
	.p2align	6, 0x0
	.amdhsa_kernel _ZN5aiter24topk_softplus_kernel_optIf6__halfLi64ELb1ELi1EEEvPKT_PKT0_PfPimiif
		.amdhsa_group_segment_fixed_size 0
		.amdhsa_private_segment_fixed_size 0
		.amdhsa_kernarg_size 52
		.amdhsa_user_sgpr_count 15
		.amdhsa_user_sgpr_dispatch_ptr 0
		.amdhsa_user_sgpr_queue_ptr 0
		.amdhsa_user_sgpr_kernarg_segment_ptr 1
		.amdhsa_user_sgpr_dispatch_id 0
		.amdhsa_user_sgpr_private_segment_size 0
		.amdhsa_wavefront_size32 1
		.amdhsa_uses_dynamic_stack 0
		.amdhsa_enable_private_segment 0
		.amdhsa_system_sgpr_workgroup_id_x 1
		.amdhsa_system_sgpr_workgroup_id_y 0
		.amdhsa_system_sgpr_workgroup_id_z 0
		.amdhsa_system_sgpr_workgroup_info 0
		.amdhsa_system_vgpr_workitem_id 0
		.amdhsa_next_free_vgpr 18
		.amdhsa_next_free_sgpr 16
		.amdhsa_reserve_vcc 1
		.amdhsa_float_round_mode_32 0
		.amdhsa_float_round_mode_16_64 0
		.amdhsa_float_denorm_mode_32 3
		.amdhsa_float_denorm_mode_16_64 3
		.amdhsa_dx10_clamp 1
		.amdhsa_ieee_mode 1
		.amdhsa_fp16_overflow 0
		.amdhsa_workgroup_processor_mode 1
		.amdhsa_memory_ordered 1
		.amdhsa_forward_progress 0
		.amdhsa_shared_vgpr_count 0
		.amdhsa_exception_fp_ieee_invalid_op 0
		.amdhsa_exception_fp_denorm_src 0
		.amdhsa_exception_fp_ieee_div_zero 0
		.amdhsa_exception_fp_ieee_overflow 0
		.amdhsa_exception_fp_ieee_underflow 0
		.amdhsa_exception_fp_ieee_inexact 0
		.amdhsa_exception_int_div_zero 0
	.end_amdhsa_kernel
	.section	.text._ZN5aiter24topk_softplus_kernel_optIf6__halfLi64ELb1ELi1EEEvPKT_PKT0_PfPimiif,"axG",@progbits,_ZN5aiter24topk_softplus_kernel_optIf6__halfLi64ELb1ELi1EEEvPKT_PKT0_PfPimiif,comdat
.Lfunc_end35:
	.size	_ZN5aiter24topk_softplus_kernel_optIf6__halfLi64ELb1ELi1EEEvPKT_PKT0_PfPimiif, .Lfunc_end35-_ZN5aiter24topk_softplus_kernel_optIf6__halfLi64ELb1ELi1EEEvPKT_PKT0_PfPimiif
                                        ; -- End function
	.section	.AMDGPU.csdata,"",@progbits
; Kernel info:
; codeLenInByte = 940
; NumSgprs: 18
; NumVgprs: 18
; ScratchSize: 0
; MemoryBound: 0
; FloatMode: 240
; IeeeMode: 1
; LDSByteSize: 0 bytes/workgroup (compile time only)
; SGPRBlocks: 2
; VGPRBlocks: 2
; NumSGPRsForWavesPerEU: 18
; NumVGPRsForWavesPerEU: 18
; Occupancy: 16
; WaveLimiterHint : 0
; COMPUTE_PGM_RSRC2:SCRATCH_EN: 0
; COMPUTE_PGM_RSRC2:USER_SGPR: 15
; COMPUTE_PGM_RSRC2:TRAP_HANDLER: 0
; COMPUTE_PGM_RSRC2:TGID_X_EN: 1
; COMPUTE_PGM_RSRC2:TGID_Y_EN: 0
; COMPUTE_PGM_RSRC2:TGID_Z_EN: 0
; COMPUTE_PGM_RSRC2:TIDIG_COMP_CNT: 0
	.section	.text._ZN5aiter24topk_softplus_kernel_optIf6__halfLi64ELb0ELi1EEEvPKT_PKT0_PfPimiif,"axG",@progbits,_ZN5aiter24topk_softplus_kernel_optIf6__halfLi64ELb0ELi1EEEvPKT_PKT0_PfPimiif,comdat
	.protected	_ZN5aiter24topk_softplus_kernel_optIf6__halfLi64ELb0ELi1EEEvPKT_PKT0_PfPimiif ; -- Begin function _ZN5aiter24topk_softplus_kernel_optIf6__halfLi64ELb0ELi1EEEvPKT_PKT0_PfPimiif
	.globl	_ZN5aiter24topk_softplus_kernel_optIf6__halfLi64ELb0ELi1EEEvPKT_PKT0_PfPimiif
	.p2align	8
	.type	_ZN5aiter24topk_softplus_kernel_optIf6__halfLi64ELb0ELi1EEEvPKT_PKT0_PfPimiif,@function
_ZN5aiter24topk_softplus_kernel_optIf6__halfLi64ELb0ELi1EEEvPKT_PKT0_PfPimiif: ; @_ZN5aiter24topk_softplus_kernel_optIf6__halfLi64ELb0ELi1EEEvPKT_PKT0_PfPimiif
; %bb.0:
	s_load_b128 s[4:7], s[0:1], 0x0
	s_lshl_b32 s2, s15, 6
	v_lshlrev_b32_e32 v3, 2, v0
	s_ashr_i32 s3, s2, 31
	v_lshlrev_b32_e32 v4, 1, v0
	s_lshl_b64 s[2:3], s[2:3], 2
	s_waitcnt lgkmcnt(0)
	s_add_u32 s4, s4, s2
	s_addc_u32 s5, s5, s3
	s_cmp_lg_u64 s[6:7], 0
	global_load_b32 v1, v3, s[4:5]
	s_cselect_b32 s2, -1, 0
	s_waitcnt vmcnt(0)
	v_mul_f32_e32 v2, 0xbfb8aa3b, v1
	s_delay_alu instid0(VALU_DEP_1) | instskip(SKIP_1) | instid1(VALU_DEP_1)
	v_cmp_gt_f32_e32 vcc_lo, 0xc2fc0000, v2
	v_cndmask_b32_e64 v2, 0, 0x42800000, vcc_lo
	v_fmac_f32_e32 v2, 0xbfb8aa3b, v1
	s_delay_alu instid0(VALU_DEP_1) | instskip(SKIP_4) | instid1(VALU_DEP_1)
	v_exp_f32_e32 v1, v2
	v_cndmask_b32_e64 v2, 1.0, 0x1f800000, vcc_lo
	s_and_b32 vcc_lo, exec_lo, s2
	s_waitcnt_depctr 0xfff
	v_fma_f32 v1, v1, v2, 1.0
	v_rcp_f32_e32 v9, v1
	v_add_co_u32 v1, s3, s4, v3
	s_delay_alu instid0(VALU_DEP_1)
	v_add_co_ci_u32_e64 v2, null, s5, 0, s3
	s_waitcnt_depctr 0xfff
	v_mov_b32_e32 v7, v9
	s_cbranch_vccz .LBB36_2
; %bb.1:
	global_load_u16 v5, v4, s[6:7]
	s_waitcnt vmcnt(0)
	v_cvt_f32_f16_e32 v5, v5
	s_delay_alu instid0(VALU_DEP_1)
	v_add_f32_e32 v7, v9, v5
.LBB36_2:
	global_load_b32 v1, v[1:2], off offset:128
	s_waitcnt vmcnt(0)
	v_mul_f32_e32 v2, 0xbfb8aa3b, v1
	s_delay_alu instid0(VALU_DEP_1) | instskip(SKIP_3) | instid1(VALU_DEP_2)
	v_cmp_gt_f32_e32 vcc_lo, 0xc2fc0000, v2
	v_cndmask_b32_e64 v5, 0, 0x42800000, vcc_lo
	v_cndmask_b32_e64 v2, 1.0, 0x1f800000, vcc_lo
	s_and_not1_b32 vcc_lo, exec_lo, s2
	v_fmac_f32_e32 v5, 0xbfb8aa3b, v1
	s_delay_alu instid0(VALU_DEP_1) | instskip(SKIP_2) | instid1(VALU_DEP_1)
	v_exp_f32_e32 v1, v5
	s_waitcnt_depctr 0xfff
	v_fma_f32 v1, v1, v2, 1.0
	v_rcp_f32_e32 v2, v1
	s_waitcnt_depctr 0xfff
	v_mov_b32_e32 v8, v2
	s_cbranch_vccnz .LBB36_4
; %bb.3:
	global_load_u16 v1, v4, s[6:7] offset:64
	s_waitcnt vmcnt(0)
	v_cvt_f32_f16_e32 v1, v1
	s_delay_alu instid0(VALU_DEP_1)
	v_add_f32_e32 v8, v2, v1
.LBB36_4:
	s_clause 0x1
	s_load_b32 s8, s[0:1], 0x28
	s_load_b128 s[4:7], s[0:1], 0x10
	v_mov_b32_e32 v1, 0
	s_waitcnt lgkmcnt(0)
	s_cmp_gt_i32 s8, 0
	s_cbranch_scc0 .LBB36_10
; %bb.5:
	v_cmp_lt_f32_e32 vcc_lo, v7, v8
	v_add_nc_u32_e32 v1, 32, v0
	s_mov_b32 s9, 0x76543210
	s_mov_b32 s10, s8
	v_mov_b32_e32 v10, 0
	v_cndmask_b32_e32 v6, v8, v7, vcc_lo
	v_dual_cndmask_b32 v4, v1, v0 :: v_dual_cndmask_b32 v5, v0, v1
	v_dual_cndmask_b32 v7, v7, v8 :: v_dual_cndmask_b32 v8, v2, v9
	v_dual_cndmask_b32 v9, v9, v2 :: v_dual_mov_b32 v2, 0
	v_mov_b32_e32 v11, v0
	v_mov_b32_e32 v1, 0
.LBB36_6:                               ; =>This Inner Loop Header: Depth=1
	v_cmp_eq_u32_e32 vcc_lo, 1, v10
	v_cmp_gt_u32_e64 s2, 2, v10
	v_cndmask_b32_e32 v12, v7, v6, vcc_lo
	s_delay_alu instid0(VALU_DEP_1)
	v_cndmask_b32_e64 v12, 0xff800000, v12, s2
	;;#ASMSTART
	v_max_f32 v13, v12, v12 quad_perm:[1,0,3,2] row_mask:0xf bank_mask:0xf bound_ctrl:1
	;;#ASMEND
	;;#ASMSTART
	v_max_f32 v14, v13, v13 quad_perm:[2,3,0,1] row_mask:0xf bank_mask:0xf bound_ctrl:1
	;;#ASMEND
	;;#ASMSTART
	v_max_f32 v13, v14, v14 row_half_mirror row_mask:0xf bank_mask:0xf bound_ctrl:1
	;;#ASMEND
	;;#ASMSTART
	v_max_f32 v14, v13, v13 row_mirror row_mask:0xf bank_mask:0xf bound_ctrl:1
	;;#ASMEND
	v_permlanex16_b32 v13, v14, s9, 0xfedcba98 op_sel:[1,1]
	s_delay_alu instid0(VALU_DEP_1) | instskip(NEXT) | instid1(VALU_DEP_1)
	v_dual_max_f32 v14, v14, v14 :: v_dual_max_f32 v13, v13, v13
	v_dual_max_f32 v13, v14, v13 :: v_dual_cndmask_b32 v14, v5, v4
	s_delay_alu instid0(VALU_DEP_1) | instskip(NEXT) | instid1(VALU_DEP_2)
	v_cmp_eq_f32_e64 s3, v12, v13
	v_cndmask_b32_e64 v12, 0, v14, s2
	s_delay_alu instid0(VALU_DEP_2)
	s_ctz_i32_b32 s11, s3
	s_cmp_lg_u32 s3, 0
	s_cselect_b32 s3, s11, 0
	s_add_i32 s10, s10, -1
	v_readlane_b32 s3, v12, s3
	v_cndmask_b32_e32 v12, v9, v8, vcc_lo
	s_delay_alu instid0(VALU_DEP_2) | instskip(SKIP_2) | instid1(VALU_DEP_2)
	v_cmp_eq_u32_e32 vcc_lo, s3, v14
	s_and_b32 vcc_lo, s2, vcc_lo
	s_and_b32 s2, s3, 31
	v_cndmask_b32_e32 v12, 0, v12, vcc_lo
	v_add_co_ci_u32_e32 v10, vcc_lo, 0, v10, vcc_lo
	s_cmp_eq_u32 s10, 0
	s_delay_alu instid0(VALU_DEP_2) | instskip(SKIP_2) | instid1(VALU_DEP_2)
	v_readlane_b32 s11, v12, s2
	v_cmp_eq_u32_e64 s2, 0, v11
	v_add_nc_u32_e32 v11, -1, v11
	v_cndmask_b32_e64 v2, v2, s11, s2
	v_cndmask_b32_e64 v1, v1, s3, s2
	s_cbranch_scc0 .LBB36_6
; %bb.7:
	s_mov_b32 s2, exec_lo
	v_cmpx_gt_i32_e64 s8, v0
	s_cbranch_execz .LBB36_9
.LBB36_8:
	s_clause 0x1
	s_load_b64 s[2:3], s[0:1], 0x20
	s_load_b32 s8, s[0:1], 0x30
	s_ashr_i32 s0, s15, 31
	s_waitcnt lgkmcnt(0)
	s_mul_i32 s1, s15, s3
	s_mul_hi_u32 s3, s15, s2
	s_mul_i32 s0, s0, s2
	s_add_i32 s1, s3, s1
	v_mul_f32_e32 v0, s8, v2
	s_add_i32 s1, s1, s0
	s_mul_i32 s0, s15, s2
	s_delay_alu instid0(SALU_CYCLE_1) | instskip(NEXT) | instid1(SALU_CYCLE_1)
	s_lshl_b64 s[0:1], s[0:1], 2
	s_add_u32 s2, s4, s0
	s_addc_u32 s3, s5, s1
	s_add_u32 s0, s6, s0
	s_addc_u32 s1, s7, s1
	s_clause 0x1
	global_store_b32 v3, v0, s[2:3]
	global_store_b32 v3, v1, s[0:1]
.LBB36_9:
	s_nop 0
	s_sendmsg sendmsg(MSG_DEALLOC_VGPRS)
	s_endpgm
.LBB36_10:
	v_mov_b32_e32 v2, 0
	s_mov_b32 s2, exec_lo
	v_cmpx_gt_i32_e64 s8, v0
	s_cbranch_execnz .LBB36_8
	s_branch .LBB36_9
	.section	.rodata,"a",@progbits
	.p2align	6, 0x0
	.amdhsa_kernel _ZN5aiter24topk_softplus_kernel_optIf6__halfLi64ELb0ELi1EEEvPKT_PKT0_PfPimiif
		.amdhsa_group_segment_fixed_size 0
		.amdhsa_private_segment_fixed_size 0
		.amdhsa_kernarg_size 52
		.amdhsa_user_sgpr_count 15
		.amdhsa_user_sgpr_dispatch_ptr 0
		.amdhsa_user_sgpr_queue_ptr 0
		.amdhsa_user_sgpr_kernarg_segment_ptr 1
		.amdhsa_user_sgpr_dispatch_id 0
		.amdhsa_user_sgpr_private_segment_size 0
		.amdhsa_wavefront_size32 1
		.amdhsa_uses_dynamic_stack 0
		.amdhsa_enable_private_segment 0
		.amdhsa_system_sgpr_workgroup_id_x 1
		.amdhsa_system_sgpr_workgroup_id_y 0
		.amdhsa_system_sgpr_workgroup_id_z 0
		.amdhsa_system_sgpr_workgroup_info 0
		.amdhsa_system_vgpr_workitem_id 0
		.amdhsa_next_free_vgpr 15
		.amdhsa_next_free_sgpr 16
		.amdhsa_reserve_vcc 1
		.amdhsa_float_round_mode_32 0
		.amdhsa_float_round_mode_16_64 0
		.amdhsa_float_denorm_mode_32 3
		.amdhsa_float_denorm_mode_16_64 3
		.amdhsa_dx10_clamp 1
		.amdhsa_ieee_mode 1
		.amdhsa_fp16_overflow 0
		.amdhsa_workgroup_processor_mode 1
		.amdhsa_memory_ordered 1
		.amdhsa_forward_progress 0
		.amdhsa_shared_vgpr_count 0
		.amdhsa_exception_fp_ieee_invalid_op 0
		.amdhsa_exception_fp_denorm_src 0
		.amdhsa_exception_fp_ieee_div_zero 0
		.amdhsa_exception_fp_ieee_overflow 0
		.amdhsa_exception_fp_ieee_underflow 0
		.amdhsa_exception_fp_ieee_inexact 0
		.amdhsa_exception_int_div_zero 0
	.end_amdhsa_kernel
	.section	.text._ZN5aiter24topk_softplus_kernel_optIf6__halfLi64ELb0ELi1EEEvPKT_PKT0_PfPimiif,"axG",@progbits,_ZN5aiter24topk_softplus_kernel_optIf6__halfLi64ELb0ELi1EEEvPKT_PKT0_PfPimiif,comdat
.Lfunc_end36:
	.size	_ZN5aiter24topk_softplus_kernel_optIf6__halfLi64ELb0ELi1EEEvPKT_PKT0_PfPimiif, .Lfunc_end36-_ZN5aiter24topk_softplus_kernel_optIf6__halfLi64ELb0ELi1EEEvPKT_PKT0_PfPimiif
                                        ; -- End function
	.section	.AMDGPU.csdata,"",@progbits
; Kernel info:
; codeLenInByte = 840
; NumSgprs: 18
; NumVgprs: 15
; ScratchSize: 0
; MemoryBound: 0
; FloatMode: 240
; IeeeMode: 1
; LDSByteSize: 0 bytes/workgroup (compile time only)
; SGPRBlocks: 2
; VGPRBlocks: 1
; NumSGPRsForWavesPerEU: 18
; NumVGPRsForWavesPerEU: 15
; Occupancy: 16
; WaveLimiterHint : 0
; COMPUTE_PGM_RSRC2:SCRATCH_EN: 0
; COMPUTE_PGM_RSRC2:USER_SGPR: 15
; COMPUTE_PGM_RSRC2:TRAP_HANDLER: 0
; COMPUTE_PGM_RSRC2:TGID_X_EN: 1
; COMPUTE_PGM_RSRC2:TGID_Y_EN: 0
; COMPUTE_PGM_RSRC2:TGID_Z_EN: 0
; COMPUTE_PGM_RSRC2:TIDIG_COMP_CNT: 0
	.section	.text._ZN5aiter24topk_softplus_kernel_optIf6__halfLi128ELb1ELi1EEEvPKT_PKT0_PfPimiif,"axG",@progbits,_ZN5aiter24topk_softplus_kernel_optIf6__halfLi128ELb1ELi1EEEvPKT_PKT0_PfPimiif,comdat
	.protected	_ZN5aiter24topk_softplus_kernel_optIf6__halfLi128ELb1ELi1EEEvPKT_PKT0_PfPimiif ; -- Begin function _ZN5aiter24topk_softplus_kernel_optIf6__halfLi128ELb1ELi1EEEvPKT_PKT0_PfPimiif
	.globl	_ZN5aiter24topk_softplus_kernel_optIf6__halfLi128ELb1ELi1EEEvPKT_PKT0_PfPimiif
	.p2align	8
	.type	_ZN5aiter24topk_softplus_kernel_optIf6__halfLi128ELb1ELi1EEEvPKT_PKT0_PfPimiif,@function
_ZN5aiter24topk_softplus_kernel_optIf6__halfLi128ELb1ELi1EEEvPKT_PKT0_PfPimiif: ; @_ZN5aiter24topk_softplus_kernel_optIf6__halfLi128ELb1ELi1EEEvPKT_PKT0_PfPimiif
; %bb.0:
	s_load_b128 s[4:7], s[0:1], 0x0
	s_lshl_b32 s2, s15, 7
	v_lshlrev_b32_e32 v3, 2, v0
	s_ashr_i32 s3, s2, 31
	v_lshlrev_b32_e32 v4, 1, v0
	s_lshl_b64 s[2:3], s[2:3], 2
	s_waitcnt lgkmcnt(0)
	s_add_u32 s4, s4, s2
	s_addc_u32 s5, s5, s3
	s_cmp_lg_u64 s[6:7], 0
	global_load_b32 v1, v3, s[4:5]
	s_cselect_b32 s2, -1, 0
	s_waitcnt vmcnt(0)
	v_mul_f32_e32 v2, 0xbfb8aa3b, v1
	s_delay_alu instid0(VALU_DEP_1) | instskip(SKIP_1) | instid1(VALU_DEP_1)
	v_cmp_gt_f32_e32 vcc_lo, 0xc2fc0000, v2
	v_cndmask_b32_e64 v2, 0, 0x42800000, vcc_lo
	v_fmac_f32_e32 v2, 0xbfb8aa3b, v1
	s_delay_alu instid0(VALU_DEP_1) | instskip(SKIP_4) | instid1(VALU_DEP_1)
	v_exp_f32_e32 v1, v2
	v_cndmask_b32_e64 v2, 1.0, 0x1f800000, vcc_lo
	s_and_b32 vcc_lo, exec_lo, s2
	s_waitcnt_depctr 0xfff
	v_fma_f32 v1, v1, v2, 1.0
	v_rcp_f32_e32 v6, v1
	v_add_co_u32 v1, s3, s4, v3
	s_delay_alu instid0(VALU_DEP_1)
	v_add_co_ci_u32_e64 v2, null, s5, 0, s3
	s_waitcnt_depctr 0xfff
	v_mov_b32_e32 v11, v6
	s_cbranch_vccz .LBB37_2
; %bb.1:
	global_load_u16 v5, v4, s[6:7]
	s_waitcnt vmcnt(0)
	v_cvt_f32_f16_e32 v5, v5
	s_delay_alu instid0(VALU_DEP_1)
	v_add_f32_e32 v11, v6, v5
.LBB37_2:
	global_load_b32 v5, v[1:2], off offset:128
	s_waitcnt vmcnt(0)
	v_mul_f32_e32 v7, 0xbfb8aa3b, v5
	s_delay_alu instid0(VALU_DEP_1) | instskip(SKIP_3) | instid1(VALU_DEP_2)
	v_cmp_gt_f32_e32 vcc_lo, 0xc2fc0000, v7
	v_cndmask_b32_e64 v8, 0, 0x42800000, vcc_lo
	v_cndmask_b32_e64 v7, 1.0, 0x1f800000, vcc_lo
	s_and_not1_b32 vcc_lo, exec_lo, s2
	v_fmac_f32_e32 v8, 0xbfb8aa3b, v5
	s_delay_alu instid0(VALU_DEP_1) | instskip(SKIP_3) | instid1(VALU_DEP_1)
	v_exp_f32_e32 v5, v8
	v_cndmask_b32_e64 v8, 0, 1, s2
	s_waitcnt_depctr 0xfff
	v_fma_f32 v5, v5, v7, 1.0
	v_rcp_f32_e32 v9, v5
	s_waitcnt_depctr 0xfff
	v_mov_b32_e32 v13, v9
	s_cbranch_vccnz .LBB37_4
; %bb.3:
	global_load_u16 v5, v4, s[6:7] offset:64
	s_waitcnt vmcnt(0)
	v_cvt_f32_f16_e32 v5, v5
	s_delay_alu instid0(VALU_DEP_1)
	v_add_f32_e32 v13, v9, v5
.LBB37_4:
	global_load_b32 v5, v[1:2], off offset:256
	s_waitcnt vmcnt(0)
	v_mul_f32_e32 v7, 0xbfb8aa3b, v5
	s_delay_alu instid0(VALU_DEP_1) | instskip(SKIP_3) | instid1(VALU_DEP_3)
	v_cmp_gt_f32_e32 vcc_lo, 0xc2fc0000, v7
	v_cndmask_b32_e64 v10, 0, 0x42800000, vcc_lo
	v_cndmask_b32_e64 v7, 1.0, 0x1f800000, vcc_lo
	v_cmp_ne_u32_e32 vcc_lo, 1, v8
	v_fmac_f32_e32 v10, 0xbfb8aa3b, v5
	s_and_b32 vcc_lo, exec_lo, vcc_lo
	s_delay_alu instid0(VALU_DEP_1) | instskip(SKIP_2) | instid1(VALU_DEP_1)
	v_exp_f32_e32 v5, v10
	s_waitcnt_depctr 0xfff
	v_fma_f32 v5, v5, v7, 1.0
	v_rcp_f32_e32 v5, v5
	s_waitcnt_depctr 0xfff
	v_mov_b32_e32 v7, v5
	s_cbranch_vccnz .LBB37_6
; %bb.5:
	global_load_u16 v7, v4, s[6:7] offset:128
	s_waitcnt vmcnt(0)
	v_cvt_f32_f16_e32 v7, v7
	s_delay_alu instid0(VALU_DEP_1)
	v_add_f32_e32 v7, v5, v7
.LBB37_6:
	global_load_b32 v1, v[1:2], off offset:384
	s_waitcnt vmcnt(0)
	v_mul_f32_e32 v2, 0xbfb8aa3b, v1
	s_delay_alu instid0(VALU_DEP_1) | instskip(SKIP_3) | instid1(VALU_DEP_3)
	v_cmp_gt_f32_e32 vcc_lo, 0xc2fc0000, v2
	v_cndmask_b32_e64 v10, 0, 0x42800000, vcc_lo
	v_cndmask_b32_e64 v2, 1.0, 0x1f800000, vcc_lo
	v_cmp_ne_u32_e32 vcc_lo, 1, v8
	v_fmac_f32_e32 v10, 0xbfb8aa3b, v1
	s_and_b32 vcc_lo, exec_lo, vcc_lo
	s_delay_alu instid0(VALU_DEP_1) | instskip(SKIP_2) | instid1(VALU_DEP_1)
	v_exp_f32_e32 v1, v10
	s_waitcnt_depctr 0xfff
	v_fma_f32 v1, v1, v2, 1.0
	v_rcp_f32_e32 v1, v1
	s_waitcnt_depctr 0xfff
	v_mov_b32_e32 v2, v1
	s_cbranch_vccnz .LBB37_8
; %bb.7:
	global_load_u16 v2, v4, s[6:7] offset:192
	s_waitcnt vmcnt(0)
	v_cvt_f32_f16_e32 v2, v2
	s_delay_alu instid0(VALU_DEP_1)
	v_add_f32_e32 v2, v1, v2
.LBB37_8:
	v_cmp_lt_f32_e32 vcc_lo, v11, v13
	v_add_nc_u32_e32 v12, 32, v0
	v_add_nc_u32_e32 v14, 64, v0
	v_dual_mov_b32 v15, v7 :: v_dual_add_nc_u32 v4, 0x60, v0
	v_cndmask_b32_e32 v8, v9, v6, vcc_lo
	v_dual_cndmask_b32 v6, v6, v9 :: v_dual_cndmask_b32 v9, v13, v11
	v_cndmask_b32_e32 v10, v12, v0, vcc_lo
	v_dual_cndmask_b32 v12, v0, v12 :: v_dual_cndmask_b32 v11, v11, v13
	s_mov_b32 s2, exec_lo
	v_cmpx_lt_f32_e32 v7, v2
	s_xor_b32 s2, exec_lo, s2
; %bb.9:
	v_dual_mov_b32 v13, v5 :: v_dual_mov_b32 v16, v7
	v_mov_b32_e32 v15, v14
	v_swap_b32 v5, v1
	v_swap_b32 v14, v4
	v_mov_b32_e32 v7, v2
	v_dual_mov_b32 v15, v2 :: v_dual_mov_b32 v2, v16
; %bb.10:
	s_or_b32 exec_lo, exec_lo, s2
	s_delay_alu instid0(VALU_DEP_2)
	v_cmp_lt_f32_e32 vcc_lo, v11, v7
	s_mov_b32 s2, exec_lo
	v_dual_cndmask_b32 v16, v5, v6 :: v_dual_cndmask_b32 v5, v6, v5
	v_dual_cndmask_b32 v13, v14, v12 :: v_dual_cndmask_b32 v6, v12, v14
	v_dual_cndmask_b32 v14, v15, v11 :: v_dual_mov_b32 v15, v9
	v_cndmask_b32_e32 v7, v11, v7, vcc_lo
	v_cmpx_lt_f32_e32 v9, v2
; %bb.11:
	v_mov_b32_e32 v17, v9
	v_dual_mov_b32 v11, v8 :: v_dual_mov_b32 v12, v10
	v_swap_b32 v8, v1
	v_swap_b32 v10, v4
	v_mov_b32_e32 v9, v2
	v_dual_mov_b32 v15, v2 :: v_dual_mov_b32 v2, v17
; %bb.12:
	s_or_b32 exec_lo, exec_lo, s2
	s_clause 0x1
	s_load_b32 s8, s[0:1], 0x28
	s_load_b128 s[4:7], s[0:1], 0x10
	v_mov_b32_e32 v11, 0
	s_waitcnt lgkmcnt(0)
	s_cmp_lt_i32 s8, 1
	s_cbranch_scc1 .LBB37_18
; %bb.13:
	v_cmp_lt_f32_e32 vcc_lo, v9, v14
	v_mov_b32_e32 v18, v0
	s_mov_b32 s9, 0x76543210
	s_mov_b32 s10, s8
	v_dual_mov_b32 v11, 0 :: v_dual_cndmask_b32 v12, v13, v10
	v_cndmask_b32_e32 v10, v10, v13, vcc_lo
	v_dual_cndmask_b32 v13, v14, v9 :: v_dual_cndmask_b32 v14, v15, v14
	v_cndmask_b32_e32 v15, v16, v8, vcc_lo
	v_dual_cndmask_b32 v16, v8, v16 :: v_dual_mov_b32 v17, 0
	v_dual_mov_b32 v8, 0 :: v_dual_mov_b32 v9, 0
.LBB37_14:                              ; =>This Inner Loop Header: Depth=1
	s_delay_alu instid0(VALU_DEP_2) | instskip(SKIP_1) | instid1(VALU_DEP_4)
	v_cmp_eq_u32_e32 vcc_lo, 1, v17
	v_cmp_eq_u32_e64 s2, 2, v17
	v_dual_cndmask_b32 v20, v6, v10 :: v_dual_cndmask_b32 v21, v5, v16
	s_delay_alu instid0(VALU_DEP_1) | instskip(SKIP_2) | instid1(VALU_DEP_4)
	v_cndmask_b32_e64 v20, v20, v12, s2
	v_cndmask_b32_e32 v19, v7, v14, vcc_lo
	v_cmp_eq_u32_e32 vcc_lo, 3, v17
	v_cndmask_b32_e64 v21, v21, v15, s2
	s_delay_alu instid0(VALU_DEP_4) | instskip(NEXT) | instid1(VALU_DEP_4)
	v_cndmask_b32_e32 v20, v20, v4, vcc_lo
	v_cndmask_b32_e64 v19, v19, v13, s2
	v_cmp_gt_u32_e64 s2, 4, v17
	s_delay_alu instid0(VALU_DEP_2) | instskip(NEXT) | instid1(VALU_DEP_2)
	v_cndmask_b32_e32 v19, v19, v2, vcc_lo
	v_cndmask_b32_e64 v22, 0, v20, s2
	s_delay_alu instid0(VALU_DEP_2)
	v_cndmask_b32_e64 v19, 0xff800000, v19, s2
	;;#ASMSTART
	v_max_f32 v23, v19, v19 quad_perm:[1,0,3,2] row_mask:0xf bank_mask:0xf bound_ctrl:1
	;;#ASMEND
	;;#ASMSTART
	v_max_f32 v24, v23, v23 quad_perm:[2,3,0,1] row_mask:0xf bank_mask:0xf bound_ctrl:1
	;;#ASMEND
	;;#ASMSTART
	v_max_f32 v23, v24, v24 row_half_mirror row_mask:0xf bank_mask:0xf bound_ctrl:1
	;;#ASMEND
	;;#ASMSTART
	v_max_f32 v24, v23, v23 row_mirror row_mask:0xf bank_mask:0xf bound_ctrl:1
	;;#ASMEND
	v_permlanex16_b32 v23, v24, s9, 0xfedcba98 op_sel:[1,1]
	s_delay_alu instid0(VALU_DEP_1) | instskip(NEXT) | instid1(VALU_DEP_1)
	v_dual_max_f32 v24, v24, v24 :: v_dual_max_f32 v23, v23, v23
	v_max_f32_e32 v23, v24, v23
	s_delay_alu instid0(VALU_DEP_1) | instskip(SKIP_1) | instid1(VALU_DEP_2)
	v_cmp_eq_f32_e64 s3, v19, v23
	v_cndmask_b32_e32 v19, v21, v1, vcc_lo
	s_ctz_i32_b32 s11, s3
	s_cmp_lg_u32 s3, 0
	s_cselect_b32 s3, s11, 0
	s_add_i32 s10, s10, -1
	v_readlane_b32 s3, v22, s3
	s_delay_alu instid0(VALU_DEP_1)
	v_cmp_eq_u32_e32 vcc_lo, s3, v20
	s_and_b32 vcc_lo, s2, vcc_lo
	s_and_b32 s2, s3, 31
	v_cndmask_b32_e32 v19, 0, v19, vcc_lo
	v_add_co_ci_u32_e32 v17, vcc_lo, 0, v17, vcc_lo
	s_cmp_eq_u32 s10, 0
	s_delay_alu instid0(VALU_DEP_2) | instskip(SKIP_1) | instid1(VALU_DEP_2)
	v_readlane_b32 s11, v19, s2
	v_cmp_eq_u32_e64 s2, 0, v18
	v_dual_add_f32 v11, s11, v11 :: v_dual_add_nc_u32 v18, -1, v18
	s_delay_alu instid0(VALU_DEP_2)
	v_cndmask_b32_e64 v9, v9, s11, s2
	v_cndmask_b32_e64 v8, v8, s3, s2
	s_cbranch_scc0 .LBB37_14
; %bb.15:
	s_mov_b32 s2, exec_lo
	v_cmpx_gt_i32_e64 s8, v0
	s_cbranch_execz .LBB37_17
.LBB37_16:
	s_load_b32 s2, s[0:1], 0x30
	v_max_f32_e32 v0, v11, v11
	s_load_b64 s[0:1], s[0:1], 0x20
	s_ashr_i32 s3, s15, 31
	s_delay_alu instid0(VALU_DEP_1) | instskip(SKIP_1) | instid1(VALU_DEP_1)
	v_max_f32_e32 v0, 0x1e3ce508, v0
	s_waitcnt lgkmcnt(0)
	v_div_scale_f32 v1, null, v0, v0, s2
	v_div_scale_f32 v5, vcc_lo, s2, v0, s2
	s_mul_i32 s1, s15, s1
	s_delay_alu instid0(VALU_DEP_2)
	v_rcp_f32_e32 v2, v1
	s_mul_hi_u32 s8, s15, s0
	s_mul_i32 s3, s3, s0
	s_add_i32 s1, s8, s1
	s_mul_i32 s0, s15, s0
	s_add_i32 s1, s1, s3
	s_delay_alu instid0(SALU_CYCLE_1) | instskip(SKIP_2) | instid1(VALU_DEP_1)
	s_lshl_b64 s[0:1], s[0:1], 2
	s_waitcnt_depctr 0xfff
	v_fma_f32 v4, -v1, v2, 1.0
	v_fmac_f32_e32 v2, v4, v2
	s_delay_alu instid0(VALU_DEP_1) | instskip(NEXT) | instid1(VALU_DEP_1)
	v_mul_f32_e32 v4, v5, v2
	v_fma_f32 v6, -v1, v4, v5
	s_delay_alu instid0(VALU_DEP_1) | instskip(NEXT) | instid1(VALU_DEP_1)
	v_fmac_f32_e32 v4, v6, v2
	v_fma_f32 v1, -v1, v4, v5
	s_delay_alu instid0(VALU_DEP_1) | instskip(NEXT) | instid1(VALU_DEP_1)
	v_div_fmas_f32 v1, v1, v2, v4
	v_div_fixup_f32 v0, v1, v0, s2
	s_add_u32 s2, s4, s0
	s_addc_u32 s3, s5, s1
	s_add_u32 s0, s6, s0
	s_addc_u32 s1, s7, s1
	v_mul_f32_e32 v0, v9, v0
	s_clause 0x1
	global_store_b32 v3, v0, s[2:3]
	global_store_b32 v3, v8, s[0:1]
.LBB37_17:
	s_nop 0
	s_sendmsg sendmsg(MSG_DEALLOC_VGPRS)
	s_endpgm
.LBB37_18:
	v_dual_mov_b32 v8, 0 :: v_dual_mov_b32 v9, 0
	s_mov_b32 s2, exec_lo
	v_cmpx_gt_i32_e64 s8, v0
	s_cbranch_execnz .LBB37_16
	s_branch .LBB37_17
	.section	.rodata,"a",@progbits
	.p2align	6, 0x0
	.amdhsa_kernel _ZN5aiter24topk_softplus_kernel_optIf6__halfLi128ELb1ELi1EEEvPKT_PKT0_PfPimiif
		.amdhsa_group_segment_fixed_size 0
		.amdhsa_private_segment_fixed_size 0
		.amdhsa_kernarg_size 52
		.amdhsa_user_sgpr_count 15
		.amdhsa_user_sgpr_dispatch_ptr 0
		.amdhsa_user_sgpr_queue_ptr 0
		.amdhsa_user_sgpr_kernarg_segment_ptr 1
		.amdhsa_user_sgpr_dispatch_id 0
		.amdhsa_user_sgpr_private_segment_size 0
		.amdhsa_wavefront_size32 1
		.amdhsa_uses_dynamic_stack 0
		.amdhsa_enable_private_segment 0
		.amdhsa_system_sgpr_workgroup_id_x 1
		.amdhsa_system_sgpr_workgroup_id_y 0
		.amdhsa_system_sgpr_workgroup_id_z 0
		.amdhsa_system_sgpr_workgroup_info 0
		.amdhsa_system_vgpr_workitem_id 0
		.amdhsa_next_free_vgpr 25
		.amdhsa_next_free_sgpr 16
		.amdhsa_reserve_vcc 1
		.amdhsa_float_round_mode_32 0
		.amdhsa_float_round_mode_16_64 0
		.amdhsa_float_denorm_mode_32 3
		.amdhsa_float_denorm_mode_16_64 3
		.amdhsa_dx10_clamp 1
		.amdhsa_ieee_mode 1
		.amdhsa_fp16_overflow 0
		.amdhsa_workgroup_processor_mode 1
		.amdhsa_memory_ordered 1
		.amdhsa_forward_progress 0
		.amdhsa_shared_vgpr_count 0
		.amdhsa_exception_fp_ieee_invalid_op 0
		.amdhsa_exception_fp_denorm_src 0
		.amdhsa_exception_fp_ieee_div_zero 0
		.amdhsa_exception_fp_ieee_overflow 0
		.amdhsa_exception_fp_ieee_underflow 0
		.amdhsa_exception_fp_ieee_inexact 0
		.amdhsa_exception_int_div_zero 0
	.end_amdhsa_kernel
	.section	.text._ZN5aiter24topk_softplus_kernel_optIf6__halfLi128ELb1ELi1EEEvPKT_PKT0_PfPimiif,"axG",@progbits,_ZN5aiter24topk_softplus_kernel_optIf6__halfLi128ELb1ELi1EEEvPKT_PKT0_PfPimiif,comdat
.Lfunc_end37:
	.size	_ZN5aiter24topk_softplus_kernel_optIf6__halfLi128ELb1ELi1EEEvPKT_PKT0_PfPimiif, .Lfunc_end37-_ZN5aiter24topk_softplus_kernel_optIf6__halfLi128ELb1ELi1EEEvPKT_PKT0_PfPimiif
                                        ; -- End function
	.section	.AMDGPU.csdata,"",@progbits
; Kernel info:
; codeLenInByte = 1464
; NumSgprs: 18
; NumVgprs: 25
; ScratchSize: 0
; MemoryBound: 0
; FloatMode: 240
; IeeeMode: 1
; LDSByteSize: 0 bytes/workgroup (compile time only)
; SGPRBlocks: 2
; VGPRBlocks: 3
; NumSGPRsForWavesPerEU: 18
; NumVGPRsForWavesPerEU: 25
; Occupancy: 16
; WaveLimiterHint : 0
; COMPUTE_PGM_RSRC2:SCRATCH_EN: 0
; COMPUTE_PGM_RSRC2:USER_SGPR: 15
; COMPUTE_PGM_RSRC2:TRAP_HANDLER: 0
; COMPUTE_PGM_RSRC2:TGID_X_EN: 1
; COMPUTE_PGM_RSRC2:TGID_Y_EN: 0
; COMPUTE_PGM_RSRC2:TGID_Z_EN: 0
; COMPUTE_PGM_RSRC2:TIDIG_COMP_CNT: 0
	.section	.text._ZN5aiter24topk_softplus_kernel_optIf6__halfLi128ELb0ELi1EEEvPKT_PKT0_PfPimiif,"axG",@progbits,_ZN5aiter24topk_softplus_kernel_optIf6__halfLi128ELb0ELi1EEEvPKT_PKT0_PfPimiif,comdat
	.protected	_ZN5aiter24topk_softplus_kernel_optIf6__halfLi128ELb0ELi1EEEvPKT_PKT0_PfPimiif ; -- Begin function _ZN5aiter24topk_softplus_kernel_optIf6__halfLi128ELb0ELi1EEEvPKT_PKT0_PfPimiif
	.globl	_ZN5aiter24topk_softplus_kernel_optIf6__halfLi128ELb0ELi1EEEvPKT_PKT0_PfPimiif
	.p2align	8
	.type	_ZN5aiter24topk_softplus_kernel_optIf6__halfLi128ELb0ELi1EEEvPKT_PKT0_PfPimiif,@function
_ZN5aiter24topk_softplus_kernel_optIf6__halfLi128ELb0ELi1EEEvPKT_PKT0_PfPimiif: ; @_ZN5aiter24topk_softplus_kernel_optIf6__halfLi128ELb0ELi1EEEvPKT_PKT0_PfPimiif
; %bb.0:
	s_load_b128 s[4:7], s[0:1], 0x0
	s_lshl_b32 s2, s15, 7
	v_lshlrev_b32_e32 v3, 2, v0
	s_ashr_i32 s3, s2, 31
	v_lshlrev_b32_e32 v4, 1, v0
	s_lshl_b64 s[2:3], s[2:3], 2
	s_waitcnt lgkmcnt(0)
	s_add_u32 s4, s4, s2
	s_addc_u32 s5, s5, s3
	s_cmp_lg_u64 s[6:7], 0
	global_load_b32 v1, v3, s[4:5]
	s_cselect_b32 s2, -1, 0
	s_waitcnt vmcnt(0)
	v_mul_f32_e32 v2, 0xbfb8aa3b, v1
	s_delay_alu instid0(VALU_DEP_1) | instskip(SKIP_1) | instid1(VALU_DEP_1)
	v_cmp_gt_f32_e32 vcc_lo, 0xc2fc0000, v2
	v_cndmask_b32_e64 v2, 0, 0x42800000, vcc_lo
	v_fmac_f32_e32 v2, 0xbfb8aa3b, v1
	s_delay_alu instid0(VALU_DEP_1) | instskip(SKIP_4) | instid1(VALU_DEP_1)
	v_exp_f32_e32 v1, v2
	v_cndmask_b32_e64 v2, 1.0, 0x1f800000, vcc_lo
	s_and_b32 vcc_lo, exec_lo, s2
	s_waitcnt_depctr 0xfff
	v_fma_f32 v1, v1, v2, 1.0
	v_rcp_f32_e32 v6, v1
	v_add_co_u32 v1, s3, s4, v3
	s_delay_alu instid0(VALU_DEP_1)
	v_add_co_ci_u32_e64 v2, null, s5, 0, s3
	s_waitcnt_depctr 0xfff
	v_mov_b32_e32 v11, v6
	s_cbranch_vccz .LBB38_2
; %bb.1:
	global_load_u16 v5, v4, s[6:7]
	s_waitcnt vmcnt(0)
	v_cvt_f32_f16_e32 v5, v5
	s_delay_alu instid0(VALU_DEP_1)
	v_add_f32_e32 v11, v6, v5
.LBB38_2:
	global_load_b32 v5, v[1:2], off offset:128
	s_waitcnt vmcnt(0)
	v_mul_f32_e32 v7, 0xbfb8aa3b, v5
	s_delay_alu instid0(VALU_DEP_1) | instskip(SKIP_3) | instid1(VALU_DEP_2)
	v_cmp_gt_f32_e32 vcc_lo, 0xc2fc0000, v7
	v_cndmask_b32_e64 v8, 0, 0x42800000, vcc_lo
	v_cndmask_b32_e64 v7, 1.0, 0x1f800000, vcc_lo
	s_and_not1_b32 vcc_lo, exec_lo, s2
	v_fmac_f32_e32 v8, 0xbfb8aa3b, v5
	s_delay_alu instid0(VALU_DEP_1) | instskip(SKIP_3) | instid1(VALU_DEP_1)
	v_exp_f32_e32 v5, v8
	v_cndmask_b32_e64 v8, 0, 1, s2
	s_waitcnt_depctr 0xfff
	v_fma_f32 v5, v5, v7, 1.0
	v_rcp_f32_e32 v9, v5
	s_waitcnt_depctr 0xfff
	v_mov_b32_e32 v12, v9
	s_cbranch_vccnz .LBB38_4
; %bb.3:
	global_load_u16 v5, v4, s[6:7] offset:64
	s_waitcnt vmcnt(0)
	v_cvt_f32_f16_e32 v5, v5
	s_delay_alu instid0(VALU_DEP_1)
	v_add_f32_e32 v12, v9, v5
.LBB38_4:
	global_load_b32 v5, v[1:2], off offset:256
	s_waitcnt vmcnt(0)
	v_mul_f32_e32 v7, 0xbfb8aa3b, v5
	s_delay_alu instid0(VALU_DEP_1) | instskip(SKIP_3) | instid1(VALU_DEP_3)
	v_cmp_gt_f32_e32 vcc_lo, 0xc2fc0000, v7
	v_cndmask_b32_e64 v10, 0, 0x42800000, vcc_lo
	v_cndmask_b32_e64 v7, 1.0, 0x1f800000, vcc_lo
	v_cmp_ne_u32_e32 vcc_lo, 1, v8
	v_fmac_f32_e32 v10, 0xbfb8aa3b, v5
	s_and_b32 vcc_lo, exec_lo, vcc_lo
	s_delay_alu instid0(VALU_DEP_1) | instskip(SKIP_2) | instid1(VALU_DEP_1)
	v_exp_f32_e32 v5, v10
	s_waitcnt_depctr 0xfff
	v_fma_f32 v5, v5, v7, 1.0
	v_rcp_f32_e32 v5, v5
	s_waitcnt_depctr 0xfff
	v_mov_b32_e32 v7, v5
	s_cbranch_vccnz .LBB38_6
; %bb.5:
	global_load_u16 v7, v4, s[6:7] offset:128
	s_waitcnt vmcnt(0)
	v_cvt_f32_f16_e32 v7, v7
	s_delay_alu instid0(VALU_DEP_1)
	v_add_f32_e32 v7, v5, v7
.LBB38_6:
	global_load_b32 v1, v[1:2], off offset:384
	s_waitcnt vmcnt(0)
	v_mul_f32_e32 v2, 0xbfb8aa3b, v1
	s_delay_alu instid0(VALU_DEP_1) | instskip(SKIP_3) | instid1(VALU_DEP_3)
	v_cmp_gt_f32_e32 vcc_lo, 0xc2fc0000, v2
	v_cndmask_b32_e64 v10, 0, 0x42800000, vcc_lo
	v_cndmask_b32_e64 v2, 1.0, 0x1f800000, vcc_lo
	v_cmp_ne_u32_e32 vcc_lo, 1, v8
	v_fmac_f32_e32 v10, 0xbfb8aa3b, v1
	s_and_b32 vcc_lo, exec_lo, vcc_lo
	s_delay_alu instid0(VALU_DEP_1) | instskip(SKIP_2) | instid1(VALU_DEP_1)
	v_exp_f32_e32 v1, v10
	s_waitcnt_depctr 0xfff
	v_fma_f32 v1, v1, v2, 1.0
	v_rcp_f32_e32 v1, v1
	s_waitcnt_depctr 0xfff
	v_mov_b32_e32 v2, v1
	s_cbranch_vccnz .LBB38_8
; %bb.7:
	global_load_u16 v2, v4, s[6:7] offset:192
	s_waitcnt vmcnt(0)
	v_cvt_f32_f16_e32 v2, v2
	s_delay_alu instid0(VALU_DEP_1)
	v_add_f32_e32 v2, v1, v2
.LBB38_8:
	v_cmp_lt_f32_e32 vcc_lo, v11, v12
	v_add_nc_u32_e32 v13, 32, v0
	v_add_nc_u32_e32 v4, 0x60, v0
	v_mov_b32_e32 v16, v7
	s_mov_b32 s2, exec_lo
	v_cndmask_b32_e32 v8, v9, v6, vcc_lo
	v_add_nc_u32_e32 v14, 64, v0
	v_cndmask_b32_e32 v6, v6, v9, vcc_lo
	v_dual_cndmask_b32 v10, v13, v0 :: v_dual_cndmask_b32 v13, v0, v13
	v_cndmask_b32_e32 v9, v12, v11, vcc_lo
	v_cndmask_b32_e32 v11, v11, v12, vcc_lo
	v_cmpx_lt_f32_e32 v7, v2
	s_xor_b32 s2, exec_lo, s2
; %bb.9:
	v_dual_mov_b32 v17, v7 :: v_dual_mov_b32 v16, v2
	v_dual_mov_b32 v12, v5 :: v_dual_mov_b32 v15, v14
	v_swap_b32 v5, v1
	v_swap_b32 v14, v4
	s_delay_alu instid0(VALU_DEP_4)
	v_dual_mov_b32 v7, v2 :: v_dual_mov_b32 v2, v17
; %bb.10:
	s_or_b32 exec_lo, exec_lo, s2
	s_delay_alu instid0(VALU_DEP_1) | instskip(SKIP_1) | instid1(VALU_DEP_3)
	v_cmp_lt_f32_e32 vcc_lo, v11, v7
	s_mov_b32 s2, exec_lo
	v_dual_cndmask_b32 v15, v5, v6 :: v_dual_cndmask_b32 v12, v14, v13
	v_dual_cndmask_b32 v5, v6, v5 :: v_dual_cndmask_b32 v6, v13, v14
	v_dual_cndmask_b32 v13, v16, v11 :: v_dual_mov_b32 v14, v9
	v_cndmask_b32_e32 v7, v11, v7, vcc_lo
	v_cmpx_lt_f32_e32 v9, v2
; %bb.11:
	v_dual_mov_b32 v16, v9 :: v_dual_mov_b32 v9, v2
	v_dual_mov_b32 v11, v8 :: v_dual_mov_b32 v14, v10
	v_swap_b32 v8, v1
	v_swap_b32 v10, v4
	v_mov_b32_e32 v14, v2
	v_mov_b32_e32 v2, v16
; %bb.12:
	s_or_b32 exec_lo, exec_lo, s2
	s_clause 0x1
	s_load_b32 s8, s[0:1], 0x28
	s_load_b128 s[4:7], s[0:1], 0x10
	s_waitcnt lgkmcnt(0)
	s_cmp_lt_i32 s8, 1
	s_cbranch_scc1 .LBB38_18
; %bb.13:
	v_cmp_lt_f32_e32 vcc_lo, v9, v13
	v_dual_mov_b32 v16, 0 :: v_dual_mov_b32 v17, v0
	s_mov_b32 s9, 0x76543210
	s_mov_b32 s10, s8
	v_dual_cndmask_b32 v11, v12, v10 :: v_dual_cndmask_b32 v10, v10, v12
	v_cndmask_b32_e32 v12, v13, v9, vcc_lo
	v_dual_cndmask_b32 v13, v14, v13 :: v_dual_cndmask_b32 v14, v15, v8
	v_cndmask_b32_e32 v15, v8, v15, vcc_lo
	v_dual_mov_b32 v9, 0 :: v_dual_mov_b32 v8, 0
.LBB38_14:                              ; =>This Inner Loop Header: Depth=1
	v_cmp_eq_u32_e32 vcc_lo, 1, v16
	v_cmp_eq_u32_e64 s2, 2, v16
	v_cmp_gt_u32_e64 s3, 4, v16
	v_dual_cndmask_b32 v18, v7, v13 :: v_dual_cndmask_b32 v19, v6, v10
	v_cndmask_b32_e32 v20, v5, v15, vcc_lo
	v_cmp_eq_u32_e32 vcc_lo, 3, v16
	s_delay_alu instid0(VALU_DEP_3) | instskip(NEXT) | instid1(VALU_DEP_4)
	v_cndmask_b32_e64 v18, v18, v12, s2
	v_cndmask_b32_e64 v19, v19, v11, s2
	s_delay_alu instid0(VALU_DEP_1) | instskip(NEXT) | instid1(VALU_DEP_1)
	v_dual_cndmask_b32 v18, v18, v2 :: v_dual_cndmask_b32 v19, v19, v4
	v_cndmask_b32_e64 v18, 0xff800000, v18, s3
	;;#ASMSTART
	v_max_f32 v21, v18, v18 quad_perm:[1,0,3,2] row_mask:0xf bank_mask:0xf bound_ctrl:1
	;;#ASMEND
	;;#ASMSTART
	v_max_f32 v22, v21, v21 quad_perm:[2,3,0,1] row_mask:0xf bank_mask:0xf bound_ctrl:1
	;;#ASMEND
	;;#ASMSTART
	v_max_f32 v21, v22, v22 row_half_mirror row_mask:0xf bank_mask:0xf bound_ctrl:1
	;;#ASMEND
	;;#ASMSTART
	v_max_f32 v22, v21, v21 row_mirror row_mask:0xf bank_mask:0xf bound_ctrl:1
	;;#ASMEND
	v_permlanex16_b32 v21, v22, s9, 0xfedcba98 op_sel:[1,1]
	s_delay_alu instid0(VALU_DEP_1) | instskip(NEXT) | instid1(VALU_DEP_1)
	v_dual_max_f32 v22, v22, v22 :: v_dual_max_f32 v21, v21, v21
	v_max_f32_e32 v21, v22, v21
	v_cndmask_b32_e64 v20, v20, v14, s2
	s_delay_alu instid0(VALU_DEP_2) | instskip(SKIP_1) | instid1(VALU_DEP_2)
	v_cmp_eq_f32_e64 s2, v18, v21
	v_cndmask_b32_e64 v18, 0, v19, s3
	s_ctz_i32_b32 s11, s2
	s_cmp_lg_u32 s2, 0
	s_cselect_b32 s2, s11, 0
	s_add_i32 s10, s10, -1
	v_readlane_b32 s11, v18, s2
	v_cndmask_b32_e32 v18, v20, v1, vcc_lo
	s_delay_alu instid0(VALU_DEP_2)
	v_cmp_eq_u32_e32 vcc_lo, s11, v19
	s_and_b32 s2, s11, 31
	s_and_b32 vcc_lo, s3, vcc_lo
	s_cmp_eq_u32 s10, 0
	v_cndmask_b32_e32 v18, 0, v18, vcc_lo
	v_add_co_ci_u32_e32 v16, vcc_lo, 0, v16, vcc_lo
	s_delay_alu instid0(VALU_DEP_2) | instskip(SKIP_2) | instid1(VALU_DEP_2)
	v_readlane_b32 s3, v18, s2
	v_cmp_eq_u32_e64 s2, 0, v17
	v_add_nc_u32_e32 v17, -1, v17
	v_cndmask_b32_e64 v9, v9, s3, s2
	v_cndmask_b32_e64 v8, v8, s11, s2
	s_cbranch_scc0 .LBB38_14
; %bb.15:
	s_mov_b32 s2, exec_lo
	v_cmpx_gt_i32_e64 s8, v0
	s_cbranch_execz .LBB38_17
.LBB38_16:
	s_clause 0x1
	s_load_b64 s[2:3], s[0:1], 0x20
	s_load_b32 s8, s[0:1], 0x30
	s_ashr_i32 s0, s15, 31
	s_waitcnt lgkmcnt(0)
	s_mul_i32 s1, s15, s3
	s_mul_hi_u32 s3, s15, s2
	s_mul_i32 s0, s0, s2
	s_add_i32 s1, s3, s1
	v_mul_f32_e32 v0, s8, v9
	s_add_i32 s1, s1, s0
	s_mul_i32 s0, s15, s2
	s_delay_alu instid0(SALU_CYCLE_1) | instskip(NEXT) | instid1(SALU_CYCLE_1)
	s_lshl_b64 s[0:1], s[0:1], 2
	s_add_u32 s2, s4, s0
	s_addc_u32 s3, s5, s1
	s_add_u32 s0, s6, s0
	s_addc_u32 s1, s7, s1
	s_clause 0x1
	global_store_b32 v3, v0, s[2:3]
	global_store_b32 v3, v8, s[0:1]
.LBB38_17:
	s_nop 0
	s_sendmsg sendmsg(MSG_DEALLOC_VGPRS)
	s_endpgm
.LBB38_18:
	v_dual_mov_b32 v8, 0 :: v_dual_mov_b32 v9, 0
	s_mov_b32 s2, exec_lo
	v_cmpx_gt_i32_e64 s8, v0
	s_cbranch_execnz .LBB38_16
	s_branch .LBB38_17
	.section	.rodata,"a",@progbits
	.p2align	6, 0x0
	.amdhsa_kernel _ZN5aiter24topk_softplus_kernel_optIf6__halfLi128ELb0ELi1EEEvPKT_PKT0_PfPimiif
		.amdhsa_group_segment_fixed_size 0
		.amdhsa_private_segment_fixed_size 0
		.amdhsa_kernarg_size 52
		.amdhsa_user_sgpr_count 15
		.amdhsa_user_sgpr_dispatch_ptr 0
		.amdhsa_user_sgpr_queue_ptr 0
		.amdhsa_user_sgpr_kernarg_segment_ptr 1
		.amdhsa_user_sgpr_dispatch_id 0
		.amdhsa_user_sgpr_private_segment_size 0
		.amdhsa_wavefront_size32 1
		.amdhsa_uses_dynamic_stack 0
		.amdhsa_enable_private_segment 0
		.amdhsa_system_sgpr_workgroup_id_x 1
		.amdhsa_system_sgpr_workgroup_id_y 0
		.amdhsa_system_sgpr_workgroup_id_z 0
		.amdhsa_system_sgpr_workgroup_info 0
		.amdhsa_system_vgpr_workitem_id 0
		.amdhsa_next_free_vgpr 23
		.amdhsa_next_free_sgpr 16
		.amdhsa_reserve_vcc 1
		.amdhsa_float_round_mode_32 0
		.amdhsa_float_round_mode_16_64 0
		.amdhsa_float_denorm_mode_32 3
		.amdhsa_float_denorm_mode_16_64 3
		.amdhsa_dx10_clamp 1
		.amdhsa_ieee_mode 1
		.amdhsa_fp16_overflow 0
		.amdhsa_workgroup_processor_mode 1
		.amdhsa_memory_ordered 1
		.amdhsa_forward_progress 0
		.amdhsa_shared_vgpr_count 0
		.amdhsa_exception_fp_ieee_invalid_op 0
		.amdhsa_exception_fp_denorm_src 0
		.amdhsa_exception_fp_ieee_div_zero 0
		.amdhsa_exception_fp_ieee_overflow 0
		.amdhsa_exception_fp_ieee_underflow 0
		.amdhsa_exception_fp_ieee_inexact 0
		.amdhsa_exception_int_div_zero 0
	.end_amdhsa_kernel
	.section	.text._ZN5aiter24topk_softplus_kernel_optIf6__halfLi128ELb0ELi1EEEvPKT_PKT0_PfPimiif,"axG",@progbits,_ZN5aiter24topk_softplus_kernel_optIf6__halfLi128ELb0ELi1EEEvPKT_PKT0_PfPimiif,comdat
.Lfunc_end38:
	.size	_ZN5aiter24topk_softplus_kernel_optIf6__halfLi128ELb0ELi1EEEvPKT_PKT0_PfPimiif, .Lfunc_end38-_ZN5aiter24topk_softplus_kernel_optIf6__halfLi128ELb0ELi1EEEvPKT_PKT0_PfPimiif
                                        ; -- End function
	.section	.AMDGPU.csdata,"",@progbits
; Kernel info:
; codeLenInByte = 1336
; NumSgprs: 18
; NumVgprs: 23
; ScratchSize: 0
; MemoryBound: 0
; FloatMode: 240
; IeeeMode: 1
; LDSByteSize: 0 bytes/workgroup (compile time only)
; SGPRBlocks: 2
; VGPRBlocks: 2
; NumSGPRsForWavesPerEU: 18
; NumVGPRsForWavesPerEU: 23
; Occupancy: 16
; WaveLimiterHint : 0
; COMPUTE_PGM_RSRC2:SCRATCH_EN: 0
; COMPUTE_PGM_RSRC2:USER_SGPR: 15
; COMPUTE_PGM_RSRC2:TRAP_HANDLER: 0
; COMPUTE_PGM_RSRC2:TGID_X_EN: 1
; COMPUTE_PGM_RSRC2:TGID_Y_EN: 0
; COMPUTE_PGM_RSRC2:TGID_Z_EN: 0
; COMPUTE_PGM_RSRC2:TIDIG_COMP_CNT: 0
	.section	.text._ZN5aiter24topk_softplus_kernel_optIf6__halfLi256ELb1ELi1EEEvPKT_PKT0_PfPimiif,"axG",@progbits,_ZN5aiter24topk_softplus_kernel_optIf6__halfLi256ELb1ELi1EEEvPKT_PKT0_PfPimiif,comdat
	.protected	_ZN5aiter24topk_softplus_kernel_optIf6__halfLi256ELb1ELi1EEEvPKT_PKT0_PfPimiif ; -- Begin function _ZN5aiter24topk_softplus_kernel_optIf6__halfLi256ELb1ELi1EEEvPKT_PKT0_PfPimiif
	.globl	_ZN5aiter24topk_softplus_kernel_optIf6__halfLi256ELb1ELi1EEEvPKT_PKT0_PfPimiif
	.p2align	8
	.type	_ZN5aiter24topk_softplus_kernel_optIf6__halfLi256ELb1ELi1EEEvPKT_PKT0_PfPimiif,@function
_ZN5aiter24topk_softplus_kernel_optIf6__halfLi256ELb1ELi1EEEvPKT_PKT0_PfPimiif: ; @_ZN5aiter24topk_softplus_kernel_optIf6__halfLi256ELb1ELi1EEEvPKT_PKT0_PfPimiif
; %bb.0:
	s_load_b128 s[4:7], s[0:1], 0x0
	s_lshl_b32 s2, s15, 8
	v_lshlrev_b32_e32 v103, 2, v0
	s_ashr_i32 s3, s2, 31
	v_lshlrev_b32_e32 v3, 1, v0
	s_lshl_b64 s[2:3], s[2:3], 2
	s_waitcnt lgkmcnt(0)
	s_add_u32 s4, s4, s2
	s_addc_u32 s5, s5, s3
	s_cmp_lg_u64 s[6:7], 0
	global_load_b32 v1, v103, s[4:5]
	s_cselect_b32 s2, -1, 0
	s_waitcnt vmcnt(0)
	v_mul_f32_e32 v2, 0xbfb8aa3b, v1
	s_delay_alu instid0(VALU_DEP_1) | instskip(SKIP_1) | instid1(VALU_DEP_1)
	v_cmp_gt_f32_e32 vcc_lo, 0xc2fc0000, v2
	v_cndmask_b32_e64 v2, 0, 0x42800000, vcc_lo
	v_fmac_f32_e32 v2, 0xbfb8aa3b, v1
	s_delay_alu instid0(VALU_DEP_1) | instskip(SKIP_4) | instid1(VALU_DEP_1)
	v_exp_f32_e32 v1, v2
	v_cndmask_b32_e64 v2, 1.0, 0x1f800000, vcc_lo
	s_and_b32 vcc_lo, exec_lo, s2
	s_waitcnt_depctr 0xfff
	v_fma_f32 v1, v1, v2, 1.0
	v_rcp_f32_e32 v48, v1
	v_add_co_u32 v1, s3, s4, v103
	s_delay_alu instid0(VALU_DEP_1)
	v_add_co_ci_u32_e64 v2, null, s5, 0, s3
	s_waitcnt_depctr 0xfff
	v_mov_b32_e32 v32, v48
	s_cbranch_vccz .LBB39_2
; %bb.1:
	global_load_u16 v4, v3, s[6:7]
	s_waitcnt vmcnt(0)
	v_cvt_f32_f16_e32 v4, v4
	s_delay_alu instid0(VALU_DEP_1)
	v_add_f32_e32 v32, v48, v4
.LBB39_2:
	global_load_b32 v4, v[1:2], off offset:128
	s_waitcnt vmcnt(0)
	v_mul_f32_e32 v5, 0xbfb8aa3b, v4
	s_delay_alu instid0(VALU_DEP_1) | instskip(SKIP_3) | instid1(VALU_DEP_2)
	v_cmp_gt_f32_e32 vcc_lo, 0xc2fc0000, v5
	v_cndmask_b32_e64 v6, 0, 0x42800000, vcc_lo
	v_cndmask_b32_e64 v5, 1.0, 0x1f800000, vcc_lo
	s_and_not1_b32 vcc_lo, exec_lo, s2
	v_fmac_f32_e32 v6, 0xbfb8aa3b, v4
	s_delay_alu instid0(VALU_DEP_1) | instskip(SKIP_2) | instid1(VALU_DEP_1)
	v_exp_f32_e32 v4, v6
	s_waitcnt_depctr 0xfff
	v_fma_f32 v4, v4, v5, 1.0
	v_rcp_f32_e32 v17, v4
	v_cndmask_b32_e64 v4, 0, 1, s2
	s_waitcnt_depctr 0xfff
	v_mov_b32_e32 v33, v17
	s_cbranch_vccnz .LBB39_4
; %bb.3:
	global_load_u16 v5, v3, s[6:7] offset:64
	s_waitcnt vmcnt(0)
	v_cvt_f32_f16_e32 v5, v5
	s_delay_alu instid0(VALU_DEP_1)
	v_add_f32_e32 v33, v17, v5
.LBB39_4:
	global_load_b32 v5, v[1:2], off offset:256
	s_waitcnt vmcnt(0)
	v_mul_f32_e32 v6, 0xbfb8aa3b, v5
	s_delay_alu instid0(VALU_DEP_1) | instskip(SKIP_3) | instid1(VALU_DEP_3)
	v_cmp_gt_f32_e32 vcc_lo, 0xc2fc0000, v6
	v_cndmask_b32_e64 v7, 0, 0x42800000, vcc_lo
	v_cndmask_b32_e64 v6, 1.0, 0x1f800000, vcc_lo
	v_cmp_ne_u32_e32 vcc_lo, 1, v4
	v_fmac_f32_e32 v7, 0xbfb8aa3b, v5
	s_and_b32 vcc_lo, exec_lo, vcc_lo
	s_delay_alu instid0(VALU_DEP_1) | instskip(SKIP_2) | instid1(VALU_DEP_1)
	v_exp_f32_e32 v5, v7
	s_waitcnt_depctr 0xfff
	v_fma_f32 v5, v5, v6, 1.0
	v_rcp_f32_e32 v18, v5
	s_waitcnt_depctr 0xfff
	v_mov_b32_e32 v34, v18
	s_cbranch_vccnz .LBB39_6
; %bb.5:
	global_load_u16 v5, v3, s[6:7] offset:128
	s_waitcnt vmcnt(0)
	v_cvt_f32_f16_e32 v5, v5
	s_delay_alu instid0(VALU_DEP_1)
	v_add_f32_e32 v34, v18, v5
.LBB39_6:
	global_load_b32 v5, v[1:2], off offset:384
	s_waitcnt vmcnt(0)
	v_mul_f32_e32 v6, 0xbfb8aa3b, v5
	s_delay_alu instid0(VALU_DEP_1) | instskip(SKIP_3) | instid1(VALU_DEP_3)
	v_cmp_gt_f32_e32 vcc_lo, 0xc2fc0000, v6
	v_cndmask_b32_e64 v7, 0, 0x42800000, vcc_lo
	v_cndmask_b32_e64 v6, 1.0, 0x1f800000, vcc_lo
	v_cmp_ne_u32_e32 vcc_lo, 1, v4
	v_fmac_f32_e32 v7, 0xbfb8aa3b, v5
	s_and_b32 vcc_lo, exec_lo, vcc_lo
	s_delay_alu instid0(VALU_DEP_1) | instskip(SKIP_2) | instid1(VALU_DEP_1)
	v_exp_f32_e32 v5, v7
	s_waitcnt_depctr 0xfff
	v_fma_f32 v5, v5, v6, 1.0
	v_rcp_f32_e32 v19, v5
	;; [unrolled: 25-line block ×5, first 2 shown]
	s_waitcnt_depctr 0xfff
	v_mov_b32_e32 v38, v22
	s_cbranch_vccnz .LBB39_14
; %bb.13:
	global_load_u16 v5, v3, s[6:7] offset:384
	s_waitcnt vmcnt(0)
	v_cvt_f32_f16_e32 v5, v5
	s_delay_alu instid0(VALU_DEP_1)
	v_add_f32_e32 v38, v22, v5
.LBB39_14:
	global_load_b32 v1, v[1:2], off offset:896
	s_waitcnt vmcnt(0)
	v_mul_f32_e32 v2, 0xbfb8aa3b, v1
	s_delay_alu instid0(VALU_DEP_1) | instskip(SKIP_3) | instid1(VALU_DEP_3)
	v_cmp_gt_f32_e32 vcc_lo, 0xc2fc0000, v2
	v_cndmask_b32_e64 v5, 0, 0x42800000, vcc_lo
	v_cndmask_b32_e64 v2, 1.0, 0x1f800000, vcc_lo
	v_cmp_ne_u32_e32 vcc_lo, 1, v4
	v_fmac_f32_e32 v5, 0xbfb8aa3b, v1
	s_delay_alu instid0(VALU_DEP_1) | instskip(SKIP_2) | instid1(VALU_DEP_1)
	v_exp_f32_e32 v1, v5
	s_waitcnt_depctr 0xfff
	v_fma_f32 v1, v1, v2, 1.0
	v_rcp_f32_e32 v23, v1
	s_cbranch_vccnz .LBB39_16
; %bb.15:
	global_load_u16 v1, v3, s[6:7] offset:448
	s_waitcnt vmcnt(0)
	v_cvt_f32_f16_e32 v1, v1
	s_delay_alu instid0(VALU_DEP_1)
	v_add_f32_e32 v39, v23, v1
	s_branch .LBB39_17
.LBB39_16:
	s_waitcnt_depctr 0xfff
	v_mov_b32_e32 v39, v23
.LBB39_17:
	v_add_nc_u32_e32 v7, 0xe0, v0
	v_dual_mov_b32 v8, v32 :: v_dual_add_nc_u32 v1, 32, v0
	v_dual_mov_b32 v9, v33 :: v_dual_add_nc_u32 v2, 64, v0
	;; [unrolled: 1-line block ×6, first 2 shown]
	v_dual_mov_b32 v14, v38 :: v_dual_mov_b32 v31, v7
	s_delay_alu instid0(VALU_DEP_2)
	v_dual_mov_b32 v47, v7 :: v_dual_mov_b32 v46, v6
	v_dual_mov_b32 v78, v7 :: v_dual_mov_b32 v77, v6
	;; [unrolled: 1-line block ×9, first 2 shown]
	v_mov_b32_e32 v40, v0
	v_dual_mov_b32 v76, v5 :: v_dual_mov_b32 v75, v4
	v_dual_mov_b32 v74, v3 :: v_dual_mov_b32 v73, v2
	;; [unrolled: 1-line block ×7, first 2 shown]
	s_mov_b32 s2, exec_lo
	v_cmpx_lt_f32_e32 v32, v33
	s_xor_b32 s2, exec_lo, s2
	s_cbranch_execz .LBB39_19
; %bb.18:
	v_dual_mov_b32 v30, v6 :: v_dual_mov_b32 v31, v7
	v_dual_mov_b32 v24, v1 :: v_dual_mov_b32 v25, v0
	;; [unrolled: 1-line block ×4, first 2 shown]
	s_delay_alu instid0(VALU_DEP_4)
	v_dual_mov_b32 v47, v31 :: v_dual_mov_b32 v46, v30
	v_dual_mov_b32 v78, v31 :: v_dual_mov_b32 v77, v30
	;; [unrolled: 1-line block ×17, first 2 shown]
	v_mov_b32_e32 v17, v48
	v_mov_b32_e32 v1, v0
.LBB39_19:
	s_or_b32 exec_lo, exec_lo, s2
	v_dual_mov_b32 v62, v23 :: v_dual_mov_b32 v61, v22
	v_dual_mov_b32 v86, v23 :: v_dual_mov_b32 v85, v22
	;; [unrolled: 1-line block ×16, first 2 shown]
	v_mov_b32_e32 v32, v10
	s_mov_b32 s2, exec_lo
	v_cmpx_lt_f32_e32 v33, v10
	s_cbranch_execz .LBB39_21
; %bb.20:
	v_dual_mov_b32 v70, v31 :: v_dual_mov_b32 v69, v30
	v_dual_mov_b32 v64, v25 :: v_dual_mov_b32 v63, v24
	;; [unrolled: 1-line block ×13, first 2 shown]
	v_mov_b32_e32 v74, v3
	v_dual_mov_b32 v87, v95 :: v_dual_mov_b32 v88, v96
	v_dual_mov_b32 v76, v68 :: v_dual_mov_b32 v75, v67
	v_dual_mov_b32 v90, v98 :: v_dual_mov_b32 v91, v99
	v_dual_mov_b32 v89, v97 :: v_dual_mov_b32 v92, v100
	v_dual_mov_b32 v93, v101 :: v_dual_mov_b32 v94, v102
	v_mov_b32_e32 v90, v19
	v_dual_mov_b32 v40, v71 :: v_dual_mov_b32 v45, v76
	v_mov_b32_e32 v41, v72
	v_dual_mov_b32 v43, v74 :: v_dual_mov_b32 v46, v77
	;; [unrolled: 2-line block ×3, first 2 shown]
	v_dual_mov_b32 v42, v73 :: v_dual_mov_b32 v47, v78
	v_dual_mov_b32 v44, v4 :: v_dual_mov_b32 v81, v89
	;; [unrolled: 1-line block ×5, first 2 shown]
	v_mov_b32_e32 v84, v92
	v_mov_b32_e32 v86, v94
	v_dual_mov_b32 v24, v40 :: v_dual_mov_b32 v29, v45
	v_dual_mov_b32 v30, v46 :: v_dual_mov_b32 v25, v41
	;; [unrolled: 1-line block ×6, first 2 shown]
	v_mov_b32_e32 v61, v22
	v_mov_b32_e32 v62, v86
	v_dual_mov_b32 v28, v44 :: v_dual_mov_b32 v29, v5
	v_dual_mov_b32 v31, v7 :: v_dual_mov_b32 v32, v33
	;; [unrolled: 1-line block ×3, first 2 shown]
	v_mov_b32_e32 v57, v81
	v_mov_b32_e32 v60, v21
	;; [unrolled: 1-line block ×5, first 2 shown]
.LBB39_21:
	s_or_b32 exec_lo, exec_lo, s2
	v_mov_b32_e32 v1, v11
	s_mov_b32 s2, exec_lo
	v_cmpx_lt_f32_e32 v32, v11
	s_cbranch_execz .LBB39_23
; %bb.22:
	v_mov_b32_e32 v97, v19
	v_mov_b32_e32 v65, v3
	v_dual_mov_b32 v87, v95 :: v_dual_mov_b32 v88, v96
	v_mov_b32_e32 v78, v70
	v_dual_mov_b32 v92, v100 :: v_dual_mov_b32 v71, v63
	v_dual_mov_b32 v90, v98 :: v_dual_mov_b32 v91, v99
	;; [unrolled: 1-line block ×8, first 2 shown]
	v_mov_b32_e32 v80, v88
	s_delay_alu instid0(VALU_DEP_3)
	v_dual_mov_b32 v40, v71 :: v_dual_mov_b32 v41, v72
	v_dual_mov_b32 v83, v91 :: v_dual_mov_b32 v84, v92
	;; [unrolled: 1-line block ×20, first 2 shown]
	v_mov_b32_e32 v1, v32
	v_mov_b32_e32 v19, v18
	;; [unrolled: 1-line block ×3, first 2 shown]
.LBB39_23:
	s_or_b32 exec_lo, exec_lo, s2
	v_mov_b32_e32 v2, v12
	s_mov_b32 s2, exec_lo
	v_cmpx_lt_f32_e32 v1, v12
	s_cbranch_execz .LBB39_25
; %bb.24:
	v_mov_b32_e32 v98, v20
	v_dual_mov_b32 v66, v4 :: v_dual_mov_b32 v79, v95
	v_dual_mov_b32 v40, v63 :: v_dual_mov_b32 v41, v64
	;; [unrolled: 1-line block ×3, first 2 shown]
	s_delay_alu instid0(VALU_DEP_3)
	v_dual_mov_b32 v43, v66 :: v_dual_mov_b32 v80, v96
	v_mov_b32_e32 v81, v97
	v_dual_mov_b32 v46, v69 :: v_dual_mov_b32 v83, v99
	v_dual_mov_b32 v42, v65 :: v_dual_mov_b32 v45, v68
	;; [unrolled: 1-line block ×5, first 2 shown]
	v_mov_b32_e32 v44, v3
	v_dual_mov_b32 v55, v79 :: v_dual_mov_b32 v56, v80
	v_dual_mov_b32 v57, v81 :: v_dual_mov_b32 v24, v40
	;; [unrolled: 1-line block ×10, first 2 shown]
	v_mov_b32_e32 v73, v65
	v_dual_mov_b32 v12, v1 :: v_dual_mov_b32 v27, v43
	v_dual_mov_b32 v60, v21 :: v_dual_mov_b32 v61, v22
	;; [unrolled: 1-line block ×8, first 2 shown]
	v_mov_b32_e32 v74, v66
	v_mov_b32_e32 v72, v64
	v_mov_b32_e32 v2, v1
	v_mov_b32_e32 v20, v19
	v_mov_b32_e32 v4, v3
.LBB39_25:
	s_or_b32 exec_lo, exec_lo, s2
	v_mov_b32_e32 v1, v13
	s_mov_b32 s2, exec_lo
	v_cmpx_lt_f32_e32 v2, v13
	s_cbranch_execz .LBB39_27
; %bb.26:
	v_mov_b32_e32 v75, v5
	v_dual_mov_b32 v91, v21 :: v_dual_mov_b32 v24, v71
	v_mov_b32_e32 v30, v77
	v_mov_b32_e32 v30, v6
	;; [unrolled: 1-line block ×4, first 2 shown]
	v_dual_mov_b32 v55, v87 :: v_dual_mov_b32 v60, v92
	v_dual_mov_b32 v79, v87 :: v_dual_mov_b32 v82, v90
	;; [unrolled: 1-line block ×17, first 2 shown]
	v_mov_b32_e32 v21, v20
	v_mov_b32_e32 v5, v4
	;; [unrolled: 1-line block ×4, first 2 shown]
.LBB39_27:
	s_or_b32 exec_lo, exec_lo, s2
	v_mov_b32_e32 v2, v14
	s_mov_b32 s2, exec_lo
	v_cmpx_lt_f32_e32 v1, v14
	s_cbranch_execz .LBB39_29
; %bb.28:
	v_dual_mov_b32 v45, v6 :: v_dual_mov_b32 v46, v5
	v_dual_mov_b32 v84, v22 :: v_dual_mov_b32 v85, v21
	;; [unrolled: 1-line block ×12, first 2 shown]
	v_mov_b32_e32 v2, v1
.LBB39_29:
	s_or_b32 exec_lo, exec_lo, s2
	s_delay_alu instid0(VALU_DEP_1)
	v_cmp_lt_f32_e32 vcc_lo, v2, v15
	v_dual_mov_b32 v40, v56 :: v_dual_mov_b32 v43, v59
	v_cmp_lt_f32_e64 s2, v8, v9
	v_dual_mov_b32 v41, v57 :: v_dual_mov_b32 v42, v58
	v_dual_cndmask_b32 v23, v15, v2 :: v_dual_cndmask_b32 v14, v14, v15
	v_dual_cndmask_b32 v46, v62, v61 :: v_dual_mov_b32 v39, v55
	s_delay_alu instid0(VALU_DEP_2) | instskip(SKIP_3) | instid1(VALU_DEP_4)
	v_dual_mov_b32 v44, v60 :: v_dual_mov_b32 v15, v23
	v_cndmask_b32_e32 v45, v61, v62, vcc_lo
	v_dual_cndmask_b32 v54, v31, v30 :: v_dual_cndmask_b32 v53, v30, v31
	v_dual_mov_b32 v47, v24 :: v_dual_mov_b32 v50, v27
	v_mov_b32_e32 v22, v15
	v_dual_mov_b32 v21, v14 :: v_dual_mov_b32 v20, v13
	v_dual_mov_b32 v19, v12 :: v_dual_mov_b32 v18, v11
	;; [unrolled: 1-line block ×5, first 2 shown]
	v_mov_b32_e32 v51, v28
	s_and_saveexec_b32 s3, s2
	s_delay_alu instid0(SALU_CYCLE_1)
	s_xor_b32 s2, exec_lo, s3
	s_cbranch_execz .LBB39_31
; %bb.30:
	v_dual_mov_b32 v16, v9 :: v_dual_mov_b32 v17, v8
	v_dual_mov_b32 v18, v10 :: v_dual_mov_b32 v19, v11
	;; [unrolled: 1-line block ×4, first 2 shown]
	s_delay_alu instid0(VALU_DEP_4)
	v_dual_mov_b32 v15, v16 :: v_dual_mov_b32 v40, v55
	v_dual_mov_b32 v16, v17 :: v_dual_mov_b32 v39, v56
	;; [unrolled: 1-line block ×10, first 2 shown]
.LBB39_31:
	s_or_b32 exec_lo, exec_lo, s2
	v_dual_mov_b32 v31, v39 :: v_dual_mov_b32 v32, v40
	v_dual_mov_b32 v78, v46 :: v_dual_mov_b32 v77, v45
	;; [unrolled: 1-line block ×22, first 2 shown]
	v_mov_b32_e32 v10, v17
	s_mov_b32 s2, exec_lo
	v_dual_mov_b32 v76, v44 :: v_dual_mov_b32 v75, v43
	v_dual_mov_b32 v68, v52 :: v_dual_mov_b32 v67, v51
	v_cmpx_lt_f32_e32 v9, v17
	s_cbranch_execz .LBB39_33
; %bb.32:
	v_dual_mov_b32 v1, v47 :: v_dual_mov_b32 v2, v48
	v_dual_mov_b32 v7, v53 :: v_dual_mov_b32 v8, v54
	v_mov_b32_e32 v2, v49
	v_dual_mov_b32 v3, v49 :: v_dual_mov_b32 v4, v50
	v_dual_mov_b32 v5, v51 :: v_dual_mov_b32 v6, v52
	;; [unrolled: 1-line block ×7, first 2 shown]
	v_mov_b32_e32 v57, v40
	v_dual_mov_b32 v70, v8 :: v_dual_mov_b32 v69, v7
	v_dual_mov_b32 v64, v2 :: v_dual_mov_b32 v63, v1
	;; [unrolled: 1-line block ×6, first 2 shown]
	v_mov_b32_e32 v66, v50
	v_dual_mov_b32 v16, v17 :: v_dual_mov_b32 v75, v59
	v_dual_mov_b32 v17, v9 :: v_dual_mov_b32 v76, v60
	;; [unrolled: 1-line block ×17, first 2 shown]
.LBB39_33:
	s_or_b32 exec_lo, exec_lo, s2
	v_mov_b32_e32 v9, v18
	s_mov_b32 s2, exec_lo
	s_delay_alu instid0(VALU_DEP_2)
	v_cmpx_lt_f32_e32 v10, v18
	s_cbranch_execz .LBB39_35
; %bb.34:
	v_mov_b32_e32 v3, v50
	v_dual_mov_b32 v57, v42 :: v_dual_mov_b32 v70, v8
	v_mov_b32_e32 v66, v4
	v_dual_mov_b32 v78, v62 :: v_dual_mov_b32 v77, v61
	v_mov_b32_e32 v66, v49
	v_mov_b32_e32 v63, v1
	;; [unrolled: 1-line block ×3, first 2 shown]
	v_dual_mov_b32 v69, v7 :: v_dual_mov_b32 v68, v6
	v_dual_mov_b32 v67, v5 :: v_dual_mov_b32 v64, v2
	;; [unrolled: 1-line block ×4, first 2 shown]
	v_mov_b32_e32 v65, v3
	v_dual_mov_b32 v73, v57 :: v_dual_mov_b32 v72, v56
	v_mov_b32_e32 v74, v41
	v_dual_mov_b32 v18, v10 :: v_dual_mov_b32 v23, v63
	v_dual_mov_b32 v24, v64 :: v_dual_mov_b32 v31, v71
	s_delay_alu instid0(VALU_DEP_4)
	v_dual_mov_b32 v32, v72 :: v_dual_mov_b32 v27, v67
	v_dual_mov_b32 v28, v68 :: v_dual_mov_b32 v29, v69
	;; [unrolled: 1-line block ×10, first 2 shown]
	v_mov_b32_e32 v38, v46
	v_dual_mov_b32 v9, v10 :: v_dual_mov_b32 v42, v41
	v_mov_b32_e32 v50, v49
.LBB39_35:
	s_or_b32 exec_lo, exec_lo, s2
	v_mov_b32_e32 v4, v19
	s_mov_b32 s2, exec_lo
	v_cmpx_lt_f32_e32 v9, v19
	s_cbranch_execz .LBB39_37
; %bb.36:
	v_mov_b32_e32 v4, v51
	v_dual_mov_b32 v18, v19 :: v_dual_mov_b32 v19, v9
	v_mov_b32_e32 v58, v43
	v_dual_mov_b32 v30, v8 :: v_dual_mov_b32 v29, v7
	v_dual_mov_b32 v28, v6 :: v_dual_mov_b32 v25, v3
	v_dual_mov_b32 v23, v1 :: v_dual_mov_b32 v28, v52
	v_mov_b32_e32 v31, v55
	v_dual_mov_b32 v27, v5 :: v_dual_mov_b32 v32, v56
	v_dual_mov_b32 v35, v59 :: v_dual_mov_b32 v34, v58
	;; [unrolled: 4-line block ×3, first 2 shown]
	v_dual_mov_b32 v70, v8 :: v_dual_mov_b32 v65, v3
	v_dual_mov_b32 v26, v4 :: v_dual_mov_b32 v27, v50
	;; [unrolled: 1-line block ×11, first 2 shown]
	v_mov_b32_e32 v64, v2
	v_dual_mov_b32 v4, v9 :: v_dual_mov_b32 v51, v50
.LBB39_37:
	s_or_b32 exec_lo, exec_lo, s2
	v_mov_b32_e32 v1, v20
	s_mov_b32 s2, exec_lo
	s_delay_alu instid0(VALU_DEP_2)
	v_cmpx_lt_f32_e32 v4, v20
	s_cbranch_execz .LBB39_39
; %bb.38:
	v_dual_mov_b32 v67, v52 :: v_dual_mov_b32 v68, v51
	v_dual_mov_b32 v69, v53 :: v_dual_mov_b32 v76, v43
	;; [unrolled: 1-line block ×4, first 2 shown]
	v_mov_b32_e32 v19, v20
	v_dual_mov_b32 v20, v4 :: v_dual_mov_b32 v31, v71
	v_dual_mov_b32 v23, v63 :: v_dual_mov_b32 v24, v64
	;; [unrolled: 1-line block ×9, first 2 shown]
.LBB39_39:
	s_or_b32 exec_lo, exec_lo, s2
	s_delay_alu instid0(VALU_DEP_1)
	v_cmp_lt_f32_e32 vcc_lo, v1, v21
	v_mov_b32_e32 v4, v18
	v_mov_b32_e32 v8, v22
	s_mov_b32 s2, exec_lo
	v_dual_mov_b32 v2, v16 :: v_dual_cndmask_b32 v9, v37, v36
	v_cndmask_b32_e32 v36, v36, v37, vcc_lo
	v_cndmask_b32_e32 v10, v29, v28, vcc_lo
	v_dual_cndmask_b32 v28, v28, v29 :: v_dual_mov_b32 v3, v17
	v_cndmask_b32_e32 v7, v21, v1, vcc_lo
	v_dual_cndmask_b32 v6, v20, v21 :: v_dual_mov_b32 v5, v19
	v_mov_b32_e32 v1, v15
	v_cmpx_lt_f32_e32 v15, v16
	s_cbranch_execz .LBB39_41
; %bb.40:
	s_delay_alu instid0(VALU_DEP_2)
	v_dual_mov_b32 v39, v2 :: v_dual_mov_b32 v40, v1
	v_dual_mov_b32 v41, v3 :: v_dual_mov_b32 v42, v4
	;; [unrolled: 1-line block ×4, first 2 shown]
	v_mov_b32_e32 v11, v31
	v_mov_b32_e32 v12, v23
	v_dual_mov_b32 v1, v39 :: v_dual_mov_b32 v4, v42
	v_swap_b32 v31, v32
	v_swap_b32 v23, v24
	v_dual_mov_b32 v2, v40 :: v_dual_mov_b32 v3, v41
	v_dual_mov_b32 v5, v43 :: v_dual_mov_b32 v6, v44
	;; [unrolled: 1-line block ×3, first 2 shown]
	v_mov_b32_e32 v16, v15
.LBB39_41:
	s_or_b32 exec_lo, exec_lo, s2
	v_mov_b32_e32 v29, v10
	v_dual_mov_b32 v37, v9 :: v_dual_mov_b32 v54, v30
	v_mov_b32_e32 v46, v38
	v_dual_mov_b32 v44, v36 :: v_dual_mov_b32 v39, v31
	v_dual_mov_b32 v70, v38 :: v_dual_mov_b32 v49, v25
	s_delay_alu instid0(VALU_DEP_4)
	v_dual_mov_b32 v62, v30 :: v_dual_mov_b32 v45, v37
	v_dual_mov_b32 v43, v35 :: v_dual_mov_b32 v42, v34
	;; [unrolled: 1-line block ×12, first 2 shown]
	v_mov_b32_e32 v57, v25
	v_mov_b32_e32 v55, v23
	;; [unrolled: 1-line block ×3, first 2 shown]
	s_mov_b32 s2, exec_lo
	v_cmpx_lt_f32_e32 v16, v3
	s_cbranch_execz .LBB39_43
; %bb.42:
	v_dual_mov_b32 v62, v30 :: v_dual_mov_b32 v61, v29
	v_dual_mov_b32 v58, v26 :: v_dual_mov_b32 v57, v25
	;; [unrolled: 1-line block ×7, first 2 shown]
	s_delay_alu instid0(VALU_DEP_4)
	v_dual_mov_b32 v47, v55 :: v_dual_mov_b32 v48, v56
	v_dual_mov_b32 v68, v36 :: v_dual_mov_b32 v67, v35
	;; [unrolled: 1-line block ×16, first 2 shown]
	v_mov_b32_e32 v44, v36
	v_dual_mov_b32 v46, v38 :: v_dual_mov_b32 v11, v16
	v_mov_b32_e32 v33, v32
	v_mov_b32_e32 v25, v24
.LBB39_43:
	s_or_b32 exec_lo, exec_lo, s2
	v_mov_b32_e32 v12, v4
	s_mov_b32 s2, exec_lo
	v_cmpx_lt_f32_e32 v11, v4
	s_cbranch_execz .LBB39_45
; %bb.44:
	v_mov_b32_e32 v57, v26
	v_dual_mov_b32 v3, v4 :: v_dual_mov_b32 v4, v11
	v_mov_b32_e32 v65, v34
	v_dual_mov_b32 v47, v55 :: v_dual_mov_b32 v52, v60
	v_dual_mov_b32 v48, v56 :: v_dual_mov_b32 v39, v63
	;; [unrolled: 1-line block ×3, first 2 shown]
	v_mov_b32_e32 v54, v62
	v_dual_mov_b32 v50, v58 :: v_dual_mov_b32 v51, v59
	v_mov_b32_e32 v50, v25
	v_dual_mov_b32 v53, v61 :: v_dual_mov_b32 v52, v28
	v_dual_mov_b32 v41, v65 :: v_dual_mov_b32 v44, v68
	;; [unrolled: 1-line block ×8, first 2 shown]
	v_mov_b32_e32 v12, v11
	v_mov_b32_e32 v34, v33
	;; [unrolled: 1-line block ×3, first 2 shown]
.LBB39_45:
	s_or_b32 exec_lo, exec_lo, s2
	v_mov_b32_e32 v11, v5
	s_mov_b32 s2, exec_lo
	v_cmpx_lt_f32_e32 v12, v5
	s_cbranch_execz .LBB39_47
; %bb.46:
	v_dual_mov_b32 v68, v36 :: v_dual_mov_b32 v69, v9
	v_dual_mov_b32 v58, v27 :: v_dual_mov_b32 v59, v26
	;; [unrolled: 1-line block ×4, first 2 shown]
	v_mov_b32_e32 v70, v38
	v_dual_mov_b32 v4, v5 :: v_dual_mov_b32 v5, v12
	v_dual_mov_b32 v62, v30 :: v_dual_mov_b32 v39, v63
	;; [unrolled: 1-line block ×10, first 2 shown]
.LBB39_47:
	s_or_b32 exec_lo, exec_lo, s2
	s_delay_alu instid0(VALU_DEP_1)
	v_cmp_lt_f32_e32 vcc_lo, v11, v6
	v_dual_mov_b32 v19, v1 :: v_dual_mov_b32 v26, v8
	v_mov_b32_e32 v21, v3
	v_mov_b32_e32 v25, v7
	v_dual_cndmask_b32 v27, v44, v43 :: v_dual_mov_b32 v20, v2
	v_dual_cndmask_b32 v43, v43, v44 :: v_dual_cndmask_b32 v28, v52, v51
	v_dual_cndmask_b32 v51, v51, v52 :: v_dual_cndmask_b32 v24, v6, v11
	v_dual_cndmask_b32 v23, v5, v6 :: v_dual_mov_b32 v22, v4
	s_mov_b32 s2, exec_lo
	v_cmpx_lt_f32_e32 v1, v2
	s_cbranch_execz .LBB39_49
; %bb.48:
	v_dual_mov_b32 v8, v25 :: v_dual_mov_b32 v9, v26
	v_dual_mov_b32 v2, v20 :: v_dual_mov_b32 v3, v19
	;; [unrolled: 1-line block ×4, first 2 shown]
	v_mov_b32_e32 v10, v39
	v_dual_mov_b32 v11, v47 :: v_dual_mov_b32 v26, v9
	v_swap_b32 v39, v40
	v_swap_b32 v47, v48
	v_dual_mov_b32 v25, v8 :: v_dual_mov_b32 v24, v7
	v_dual_mov_b32 v23, v6 :: v_dual_mov_b32 v22, v5
	;; [unrolled: 1-line block ×4, first 2 shown]
.LBB39_49:
	s_or_b32 exec_lo, exec_lo, s2
	v_mov_b32_e32 v52, v28
	v_mov_b32_e32 v44, v27
	;; [unrolled: 1-line block ×4, first 2 shown]
	v_dual_mov_b32 v11, v39 :: v_dual_mov_b32 v4, v48
	v_dual_mov_b32 v12, v40 :: v_dual_mov_b32 v13, v41
	;; [unrolled: 1-line block ×7, first 2 shown]
	v_mov_b32_e32 v10, v54
	s_mov_b32 s2, exec_lo
	v_cmpx_lt_f32_e32 v2, v21
	s_cbranch_execz .LBB39_51
; %bb.50:
	v_dual_mov_b32 v3, v47 :: v_dual_mov_b32 v4, v48
	v_dual_mov_b32 v9, v53 :: v_dual_mov_b32 v10, v54
	;; [unrolled: 1-line block ×17, first 2 shown]
	v_mov_b32_e32 v49, v48
.LBB39_51:
	s_or_b32 exec_lo, exec_lo, s2
	v_mov_b32_e32 v29, v22
	s_mov_b32 s2, exec_lo
	v_cmpx_lt_f32_e32 v1, v22
; %bb.52:
	v_dual_mov_b32 v21, v22 :: v_dual_mov_b32 v22, v1
	v_dual_mov_b32 v5, v50 :: v_dual_mov_b32 v6, v49
	;; [unrolled: 1-line block ×7, first 2 shown]
	v_mov_b32_e32 v29, v1
; %bb.53:
	s_or_b32 exec_lo, exec_lo, s2
	s_delay_alu instid0(VALU_DEP_1)
	v_cmp_lt_f32_e32 vcc_lo, v29, v23
	v_dual_mov_b32 v28, v20 :: v_dual_mov_b32 v33, v25
	v_mov_b32_e32 v32, v24
	v_dual_mov_b32 v34, v26 :: v_dual_cndmask_b32 v1, v15, v14
	v_cndmask_b32_e32 v14, v14, v15, vcc_lo
	v_cndmask_b32_e32 v2, v7, v6, vcc_lo
	v_dual_cndmask_b32 v6, v6, v7 :: v_dual_cndmask_b32 v31, v23, v29
	v_dual_cndmask_b32 v30, v22, v23 :: v_dual_mov_b32 v27, v19
	v_mov_b32_e32 v29, v21
	s_mov_b32 s2, exec_lo
	v_cmpx_lt_f32_e32 v19, v20
	s_cbranch_execz .LBB39_55
; %bb.54:
	v_dual_mov_b32 v20, v28 :: v_dual_mov_b32 v21, v27
	v_dual_mov_b32 v26, v33 :: v_dual_mov_b32 v27, v34
	;; [unrolled: 1-line block ×4, first 2 shown]
	s_delay_alu instid0(VALU_DEP_3)
	v_mov_b32_e32 v34, v27
	v_mov_b32_e32 v7, v11
	v_dual_mov_b32 v15, v3 :: v_dual_mov_b32 v28, v21
	v_swap_b32 v11, v12
	v_swap_b32 v3, v4
	v_dual_mov_b32 v33, v26 :: v_dual_mov_b32 v30, v23
	v_dual_mov_b32 v32, v25 :: v_dual_mov_b32 v31, v24
	v_mov_b32_e32 v29, v22
	v_dual_mov_b32 v27, v20 :: v_dual_mov_b32 v20, v19
.LBB39_55:
	s_or_b32 exec_lo, exec_lo, s2
	v_mov_b32_e32 v7, v2
	v_mov_b32_e32 v15, v1
	;; [unrolled: 1-line block ×3, first 2 shown]
	s_mov_b32 s2, exec_lo
	v_cmpx_lt_f32_e32 v20, v29
	s_cbranch_execz .LBB39_57
; %bb.56:
	v_dual_mov_b32 v42, v10 :: v_dual_mov_b32 v41, v9
	v_dual_mov_b32 v40, v8 :: v_dual_mov_b32 v39, v7
	;; [unrolled: 1-line block ×16, first 2 shown]
	v_mov_b32_e32 v18, v9
	s_delay_alu instid0(VALU_DEP_3) | instskip(NEXT) | instid1(VALU_DEP_4)
	v_dual_mov_b32 v16, v7 :: v_dual_mov_b32 v15, v6
	v_dual_mov_b32 v17, v8 :: v_dual_mov_b32 v14, v5
	;; [unrolled: 1-line block ×3, first 2 shown]
	v_mov_b32_e32 v11, v2
	v_dual_mov_b32 v3, v35 :: v_dual_mov_b32 v4, v36
	v_dual_mov_b32 v5, v37 :: v_dual_mov_b32 v6, v38
	;; [unrolled: 1-line block ×4, first 2 shown]
	v_mov_b32_e32 v19, v20
.LBB39_57:
	s_or_b32 exec_lo, exec_lo, s2
	s_delay_alu instid0(VALU_DEP_1)
	v_cmp_lt_f32_e32 vcc_lo, v19, v30
	v_dual_mov_b32 v20, v7 :: v_dual_mov_b32 v21, v8
	v_dual_mov_b32 v22, v9 :: v_dual_mov_b32 v23, v10
	v_dual_cndmask_b32 v1, v14, v13 :: v_dual_cndmask_b32 v36, v5, v6
	v_dual_cndmask_b32 v35, v13, v14 :: v_dual_cndmask_b32 v2, v6, v5
	;; [unrolled: 1-line block ×3, first 2 shown]
	v_dual_mov_b32 v6, v15 :: v_dual_mov_b32 v13, v16
	v_dual_mov_b32 v14, v17 :: v_dual_mov_b32 v19, v18
	;; [unrolled: 1-line block ×4, first 2 shown]
	v_mov_b32_e32 v29, v34
	s_mov_b32 s2, exec_lo
	v_cmpx_lt_f32_e32 v27, v28
	s_cbranch_execz .LBB39_59
; %bb.58:
	v_dual_mov_b32 v24, v28 :: v_dual_mov_b32 v37, v27
	v_dual_mov_b32 v6, v11 :: v_dual_mov_b32 v13, v16
	;; [unrolled: 1-line block ×3, first 2 shown]
	v_swap_b32 v11, v12
	v_swap_b32 v3, v4
	v_dual_mov_b32 v28, v27 :: v_dual_mov_b32 v21, v8
	v_dual_mov_b32 v6, v15 :: v_dual_mov_b32 v23, v10
	;; [unrolled: 1-line block ×5, first 2 shown]
	v_mov_b32_e32 v24, v31
	v_mov_b32_e32 v26, v33
.LBB39_59:
	s_or_b32 exec_lo, exec_lo, s2
	s_clause 0x1
	s_load_b32 s8, s[0:1], 0x28
	s_load_b128 s[4:7], s[0:1], 0x10
	v_mov_b32_e32 v8, 0
	s_waitcnt lgkmcnt(0)
	s_cmp_lt_i32 s8, 1
	s_cbranch_scc1 .LBB39_65
; %bb.60:
	v_cmp_lt_f32_e32 vcc_lo, v28, v30
	v_dual_mov_b32 v8, 0 :: v_dual_mov_b32 v9, 0
	s_mov_b32 s9, 0x76543210
	s_mov_b32 s10, s8
	v_dual_cndmask_b32 v7, v36, v4 :: v_dual_cndmask_b32 v18, v37, v30
	v_cndmask_b32_e32 v4, v4, v36, vcc_lo
	v_cndmask_b32_e32 v10, v30, v28, vcc_lo
	v_dual_cndmask_b32 v15, v35, v12 :: v_dual_cndmask_b32 v28, v12, v35
	s_delay_alu instid0(VALU_DEP_4) | instskip(NEXT) | instid1(VALU_DEP_1)
	v_cmp_lt_f32_e64 s2, v27, v18
	v_cndmask_b32_e64 v12, v4, v3, s2
	v_cndmask_b32_e64 v16, v3, v4, s2
	;; [unrolled: 1-line block ×6, first 2 shown]
	v_dual_mov_b32 v28, v0 :: v_dual_mov_b32 v3, 0
	v_mov_b32_e32 v4, 0
.LBB39_61:                              ; =>This Inner Loop Header: Depth=1
	v_cmp_eq_u32_e32 vcc_lo, 1, v9
	v_cmp_eq_u32_e64 s2, 2, v9
	v_dual_cndmask_b32 v30, v18, v17 :: v_dual_cndmask_b32 v31, v16, v12
	v_cndmask_b32_e32 v32, v11, v27, vcc_lo
	v_cmp_eq_u32_e32 vcc_lo, 3, v9
	s_delay_alu instid0(VALU_DEP_3) | instskip(NEXT) | instid1(VALU_DEP_4)
	v_cndmask_b32_e64 v30, v30, v10, s2
	v_cndmask_b32_e64 v31, v31, v7, s2
	s_delay_alu instid0(VALU_DEP_4) | instskip(SKIP_1) | instid1(VALU_DEP_3)
	v_cndmask_b32_e64 v32, v32, v15, s2
	v_cmp_eq_u32_e64 s2, 4, v9
	v_dual_cndmask_b32 v30, v30, v5 :: v_dual_cndmask_b32 v31, v31, v2
	s_delay_alu instid0(VALU_DEP_3) | instskip(SKIP_1) | instid1(VALU_DEP_3)
	v_cndmask_b32_e32 v32, v32, v1, vcc_lo
	v_cmp_eq_u32_e32 vcc_lo, 5, v9
	v_cndmask_b32_e64 v30, v30, v24, s2
	s_delay_alu instid0(VALU_DEP_4) | instskip(NEXT) | instid1(VALU_DEP_4)
	v_cndmask_b32_e64 v31, v31, v20, s2
	v_cndmask_b32_e64 v32, v32, v6, s2
	v_cmp_eq_u32_e64 s2, 6, v9
	s_delay_alu instid0(VALU_DEP_4) | instskip(NEXT) | instid1(VALU_DEP_4)
	v_cndmask_b32_e32 v30, v30, v25, vcc_lo
	v_cndmask_b32_e32 v31, v31, v21, vcc_lo
	s_delay_alu instid0(VALU_DEP_4) | instskip(SKIP_1) | instid1(VALU_DEP_4)
	v_cndmask_b32_e32 v32, v32, v13, vcc_lo
	v_cmp_eq_u32_e32 vcc_lo, 7, v9
	v_cndmask_b32_e64 v30, v30, v26, s2
	s_delay_alu instid0(VALU_DEP_4) | instskip(NEXT) | instid1(VALU_DEP_4)
	v_cndmask_b32_e64 v31, v31, v22, s2
	v_cndmask_b32_e64 v32, v32, v14, s2
	v_cmp_gt_u32_e64 s2, 8, v9
	s_delay_alu instid0(VALU_DEP_3) | instskip(NEXT) | instid1(VALU_DEP_1)
	v_dual_cndmask_b32 v30, v30, v29 :: v_dual_cndmask_b32 v31, v31, v23
	v_cndmask_b32_e64 v30, 0xff800000, v30, s2
	;;#ASMSTART
	v_max_f32 v34, v30, v30 quad_perm:[1,0,3,2] row_mask:0xf bank_mask:0xf bound_ctrl:1
	;;#ASMEND
	;;#ASMSTART
	v_max_f32 v35, v34, v34 quad_perm:[2,3,0,1] row_mask:0xf bank_mask:0xf bound_ctrl:1
	;;#ASMEND
	;;#ASMSTART
	v_max_f32 v34, v35, v35 row_half_mirror row_mask:0xf bank_mask:0xf bound_ctrl:1
	;;#ASMEND
	;;#ASMSTART
	v_max_f32 v35, v34, v34 row_mirror row_mask:0xf bank_mask:0xf bound_ctrl:1
	;;#ASMEND
	v_permlanex16_b32 v34, v35, s9, 0xfedcba98 op_sel:[1,1]
	v_max_f32_e32 v35, v35, v35
	v_cndmask_b32_e64 v33, 0, v31, s2
	s_delay_alu instid0(VALU_DEP_3) | instskip(NEXT) | instid1(VALU_DEP_1)
	v_max_f32_e32 v34, v34, v34
	v_max_f32_e32 v34, v35, v34
	s_delay_alu instid0(VALU_DEP_1) | instskip(SKIP_1) | instid1(VALU_DEP_2)
	v_cmp_eq_f32_e64 s3, v30, v34
	v_cndmask_b32_e32 v30, v32, v19, vcc_lo
	s_ctz_i32_b32 s11, s3
	s_cmp_lg_u32 s3, 0
	s_cselect_b32 s3, s11, 0
	s_add_i32 s10, s10, -1
	v_readlane_b32 s3, v33, s3
	s_delay_alu instid0(VALU_DEP_1)
	v_cmp_eq_u32_e32 vcc_lo, s3, v31
	s_and_b32 vcc_lo, s2, vcc_lo
	s_and_b32 s2, s3, 31
	v_cndmask_b32_e32 v30, 0, v30, vcc_lo
	v_add_co_ci_u32_e32 v9, vcc_lo, 0, v9, vcc_lo
	s_cmp_eq_u32 s10, 0
	s_delay_alu instid0(VALU_DEP_2) | instskip(SKIP_2) | instid1(VALU_DEP_3)
	v_readlane_b32 s11, v30, s2
	v_cmp_eq_u32_e64 s2, 0, v28
	v_add_nc_u32_e32 v28, -1, v28
	v_add_f32_e32 v8, s11, v8
	s_delay_alu instid0(VALU_DEP_3)
	v_cndmask_b32_e64 v4, v4, s11, s2
	v_cndmask_b32_e64 v3, v3, s3, s2
	s_cbranch_scc0 .LBB39_61
; %bb.62:
	s_mov_b32 s2, exec_lo
	v_cmpx_gt_i32_e64 s8, v0
	s_cbranch_execz .LBB39_64
.LBB39_63:
	s_load_b32 s2, s[0:1], 0x30
	v_max_f32_e32 v0, v8, v8
	s_load_b64 s[0:1], s[0:1], 0x20
	s_ashr_i32 s3, s15, 31
	s_delay_alu instid0(VALU_DEP_1) | instskip(SKIP_1) | instid1(VALU_DEP_1)
	v_max_f32_e32 v0, 0x1e3ce508, v0
	s_waitcnt lgkmcnt(0)
	v_div_scale_f32 v1, null, v0, v0, s2
	v_div_scale_f32 v6, vcc_lo, s2, v0, s2
	s_mul_i32 s1, s15, s1
	s_delay_alu instid0(VALU_DEP_2)
	v_rcp_f32_e32 v2, v1
	s_mul_hi_u32 s8, s15, s0
	s_mul_i32 s3, s3, s0
	s_add_i32 s1, s8, s1
	s_mul_i32 s0, s15, s0
	s_add_i32 s1, s1, s3
	s_delay_alu instid0(SALU_CYCLE_1) | instskip(SKIP_2) | instid1(VALU_DEP_1)
	s_lshl_b64 s[0:1], s[0:1], 2
	s_waitcnt_depctr 0xfff
	v_fma_f32 v5, -v1, v2, 1.0
	v_fmac_f32_e32 v2, v5, v2
	s_delay_alu instid0(VALU_DEP_1) | instskip(NEXT) | instid1(VALU_DEP_1)
	v_mul_f32_e32 v5, v6, v2
	v_fma_f32 v7, -v1, v5, v6
	s_delay_alu instid0(VALU_DEP_1) | instskip(NEXT) | instid1(VALU_DEP_1)
	v_fmac_f32_e32 v5, v7, v2
	v_fma_f32 v1, -v1, v5, v6
	s_delay_alu instid0(VALU_DEP_1) | instskip(NEXT) | instid1(VALU_DEP_1)
	v_div_fmas_f32 v1, v1, v2, v5
	v_div_fixup_f32 v0, v1, v0, s2
	s_add_u32 s2, s4, s0
	s_addc_u32 s3, s5, s1
	s_add_u32 s0, s6, s0
	s_addc_u32 s1, s7, s1
	v_mul_f32_e32 v0, v4, v0
	s_clause 0x1
	global_store_b32 v103, v0, s[2:3]
	global_store_b32 v103, v3, s[0:1]
.LBB39_64:
	s_nop 0
	s_sendmsg sendmsg(MSG_DEALLOC_VGPRS)
	s_endpgm
.LBB39_65:
	v_dual_mov_b32 v3, 0 :: v_dual_mov_b32 v4, 0
	s_mov_b32 s2, exec_lo
	v_cmpx_gt_i32_e64 s8, v0
	s_cbranch_execnz .LBB39_63
	s_branch .LBB39_64
	.section	.rodata,"a",@progbits
	.p2align	6, 0x0
	.amdhsa_kernel _ZN5aiter24topk_softplus_kernel_optIf6__halfLi256ELb1ELi1EEEvPKT_PKT0_PfPimiif
		.amdhsa_group_segment_fixed_size 0
		.amdhsa_private_segment_fixed_size 0
		.amdhsa_kernarg_size 52
		.amdhsa_user_sgpr_count 15
		.amdhsa_user_sgpr_dispatch_ptr 0
		.amdhsa_user_sgpr_queue_ptr 0
		.amdhsa_user_sgpr_kernarg_segment_ptr 1
		.amdhsa_user_sgpr_dispatch_id 0
		.amdhsa_user_sgpr_private_segment_size 0
		.amdhsa_wavefront_size32 1
		.amdhsa_uses_dynamic_stack 0
		.amdhsa_enable_private_segment 0
		.amdhsa_system_sgpr_workgroup_id_x 1
		.amdhsa_system_sgpr_workgroup_id_y 0
		.amdhsa_system_sgpr_workgroup_id_z 0
		.amdhsa_system_sgpr_workgroup_info 0
		.amdhsa_system_vgpr_workitem_id 0
		.amdhsa_next_free_vgpr 104
		.amdhsa_next_free_sgpr 16
		.amdhsa_reserve_vcc 1
		.amdhsa_float_round_mode_32 0
		.amdhsa_float_round_mode_16_64 0
		.amdhsa_float_denorm_mode_32 3
		.amdhsa_float_denorm_mode_16_64 3
		.amdhsa_dx10_clamp 1
		.amdhsa_ieee_mode 1
		.amdhsa_fp16_overflow 0
		.amdhsa_workgroup_processor_mode 1
		.amdhsa_memory_ordered 1
		.amdhsa_forward_progress 0
		.amdhsa_shared_vgpr_count 0
		.amdhsa_exception_fp_ieee_invalid_op 0
		.amdhsa_exception_fp_denorm_src 0
		.amdhsa_exception_fp_ieee_div_zero 0
		.amdhsa_exception_fp_ieee_overflow 0
		.amdhsa_exception_fp_ieee_underflow 0
		.amdhsa_exception_fp_ieee_inexact 0
		.amdhsa_exception_int_div_zero 0
	.end_amdhsa_kernel
	.section	.text._ZN5aiter24topk_softplus_kernel_optIf6__halfLi256ELb1ELi1EEEvPKT_PKT0_PfPimiif,"axG",@progbits,_ZN5aiter24topk_softplus_kernel_optIf6__halfLi256ELb1ELi1EEEvPKT_PKT0_PfPimiif,comdat
.Lfunc_end39:
	.size	_ZN5aiter24topk_softplus_kernel_optIf6__halfLi256ELb1ELi1EEEvPKT_PKT0_PfPimiif, .Lfunc_end39-_ZN5aiter24topk_softplus_kernel_optIf6__halfLi256ELb1ELi1EEEvPKT_PKT0_PfPimiif
                                        ; -- End function
	.section	.AMDGPU.csdata,"",@progbits
; Kernel info:
; codeLenInByte = 6916
; NumSgprs: 18
; NumVgprs: 104
; ScratchSize: 0
; MemoryBound: 0
; FloatMode: 240
; IeeeMode: 1
; LDSByteSize: 0 bytes/workgroup (compile time only)
; SGPRBlocks: 2
; VGPRBlocks: 12
; NumSGPRsForWavesPerEU: 18
; NumVGPRsForWavesPerEU: 104
; Occupancy: 12
; WaveLimiterHint : 0
; COMPUTE_PGM_RSRC2:SCRATCH_EN: 0
; COMPUTE_PGM_RSRC2:USER_SGPR: 15
; COMPUTE_PGM_RSRC2:TRAP_HANDLER: 0
; COMPUTE_PGM_RSRC2:TGID_X_EN: 1
; COMPUTE_PGM_RSRC2:TGID_Y_EN: 0
; COMPUTE_PGM_RSRC2:TGID_Z_EN: 0
; COMPUTE_PGM_RSRC2:TIDIG_COMP_CNT: 0
	.section	.text._ZN5aiter24topk_softplus_kernel_optIf6__halfLi256ELb0ELi1EEEvPKT_PKT0_PfPimiif,"axG",@progbits,_ZN5aiter24topk_softplus_kernel_optIf6__halfLi256ELb0ELi1EEEvPKT_PKT0_PfPimiif,comdat
	.protected	_ZN5aiter24topk_softplus_kernel_optIf6__halfLi256ELb0ELi1EEEvPKT_PKT0_PfPimiif ; -- Begin function _ZN5aiter24topk_softplus_kernel_optIf6__halfLi256ELb0ELi1EEEvPKT_PKT0_PfPimiif
	.globl	_ZN5aiter24topk_softplus_kernel_optIf6__halfLi256ELb0ELi1EEEvPKT_PKT0_PfPimiif
	.p2align	8
	.type	_ZN5aiter24topk_softplus_kernel_optIf6__halfLi256ELb0ELi1EEEvPKT_PKT0_PfPimiif,@function
_ZN5aiter24topk_softplus_kernel_optIf6__halfLi256ELb0ELi1EEEvPKT_PKT0_PfPimiif: ; @_ZN5aiter24topk_softplus_kernel_optIf6__halfLi256ELb0ELi1EEEvPKT_PKT0_PfPimiif
; %bb.0:
	s_load_b128 s[4:7], s[0:1], 0x0
	s_lshl_b32 s2, s15, 8
	v_lshlrev_b32_e32 v103, 2, v0
	s_ashr_i32 s3, s2, 31
	v_lshlrev_b32_e32 v3, 1, v0
	s_lshl_b64 s[2:3], s[2:3], 2
	s_waitcnt lgkmcnt(0)
	s_add_u32 s4, s4, s2
	s_addc_u32 s5, s5, s3
	s_cmp_lg_u64 s[6:7], 0
	global_load_b32 v1, v103, s[4:5]
	s_cselect_b32 s2, -1, 0
	s_waitcnt vmcnt(0)
	v_mul_f32_e32 v2, 0xbfb8aa3b, v1
	s_delay_alu instid0(VALU_DEP_1) | instskip(SKIP_1) | instid1(VALU_DEP_1)
	v_cmp_gt_f32_e32 vcc_lo, 0xc2fc0000, v2
	v_cndmask_b32_e64 v2, 0, 0x42800000, vcc_lo
	v_fmac_f32_e32 v2, 0xbfb8aa3b, v1
	s_delay_alu instid0(VALU_DEP_1) | instskip(SKIP_4) | instid1(VALU_DEP_1)
	v_exp_f32_e32 v1, v2
	v_cndmask_b32_e64 v2, 1.0, 0x1f800000, vcc_lo
	s_and_b32 vcc_lo, exec_lo, s2
	s_waitcnt_depctr 0xfff
	v_fma_f32 v1, v1, v2, 1.0
	v_rcp_f32_e32 v48, v1
	v_add_co_u32 v1, s3, s4, v103
	s_delay_alu instid0(VALU_DEP_1)
	v_add_co_ci_u32_e64 v2, null, s5, 0, s3
	s_waitcnt_depctr 0xfff
	v_mov_b32_e32 v32, v48
	s_cbranch_vccz .LBB40_2
; %bb.1:
	global_load_u16 v4, v3, s[6:7]
	s_waitcnt vmcnt(0)
	v_cvt_f32_f16_e32 v4, v4
	s_delay_alu instid0(VALU_DEP_1)
	v_add_f32_e32 v32, v48, v4
.LBB40_2:
	global_load_b32 v4, v[1:2], off offset:128
	s_waitcnt vmcnt(0)
	v_mul_f32_e32 v5, 0xbfb8aa3b, v4
	s_delay_alu instid0(VALU_DEP_1) | instskip(SKIP_3) | instid1(VALU_DEP_2)
	v_cmp_gt_f32_e32 vcc_lo, 0xc2fc0000, v5
	v_cndmask_b32_e64 v6, 0, 0x42800000, vcc_lo
	v_cndmask_b32_e64 v5, 1.0, 0x1f800000, vcc_lo
	s_and_not1_b32 vcc_lo, exec_lo, s2
	v_fmac_f32_e32 v6, 0xbfb8aa3b, v4
	s_delay_alu instid0(VALU_DEP_1) | instskip(SKIP_2) | instid1(VALU_DEP_1)
	v_exp_f32_e32 v4, v6
	s_waitcnt_depctr 0xfff
	v_fma_f32 v4, v4, v5, 1.0
	v_rcp_f32_e32 v17, v4
	v_cndmask_b32_e64 v4, 0, 1, s2
	s_waitcnt_depctr 0xfff
	v_mov_b32_e32 v33, v17
	s_cbranch_vccnz .LBB40_4
; %bb.3:
	global_load_u16 v5, v3, s[6:7] offset:64
	s_waitcnt vmcnt(0)
	v_cvt_f32_f16_e32 v5, v5
	s_delay_alu instid0(VALU_DEP_1)
	v_add_f32_e32 v33, v17, v5
.LBB40_4:
	global_load_b32 v5, v[1:2], off offset:256
	s_waitcnt vmcnt(0)
	v_mul_f32_e32 v6, 0xbfb8aa3b, v5
	s_delay_alu instid0(VALU_DEP_1) | instskip(SKIP_3) | instid1(VALU_DEP_3)
	v_cmp_gt_f32_e32 vcc_lo, 0xc2fc0000, v6
	v_cndmask_b32_e64 v7, 0, 0x42800000, vcc_lo
	v_cndmask_b32_e64 v6, 1.0, 0x1f800000, vcc_lo
	v_cmp_ne_u32_e32 vcc_lo, 1, v4
	v_fmac_f32_e32 v7, 0xbfb8aa3b, v5
	s_and_b32 vcc_lo, exec_lo, vcc_lo
	s_delay_alu instid0(VALU_DEP_1) | instskip(SKIP_2) | instid1(VALU_DEP_1)
	v_exp_f32_e32 v5, v7
	s_waitcnt_depctr 0xfff
	v_fma_f32 v5, v5, v6, 1.0
	v_rcp_f32_e32 v18, v5
	s_waitcnt_depctr 0xfff
	v_mov_b32_e32 v34, v18
	s_cbranch_vccnz .LBB40_6
; %bb.5:
	global_load_u16 v5, v3, s[6:7] offset:128
	s_waitcnt vmcnt(0)
	v_cvt_f32_f16_e32 v5, v5
	s_delay_alu instid0(VALU_DEP_1)
	v_add_f32_e32 v34, v18, v5
.LBB40_6:
	global_load_b32 v5, v[1:2], off offset:384
	s_waitcnt vmcnt(0)
	v_mul_f32_e32 v6, 0xbfb8aa3b, v5
	s_delay_alu instid0(VALU_DEP_1) | instskip(SKIP_3) | instid1(VALU_DEP_3)
	v_cmp_gt_f32_e32 vcc_lo, 0xc2fc0000, v6
	v_cndmask_b32_e64 v7, 0, 0x42800000, vcc_lo
	v_cndmask_b32_e64 v6, 1.0, 0x1f800000, vcc_lo
	v_cmp_ne_u32_e32 vcc_lo, 1, v4
	v_fmac_f32_e32 v7, 0xbfb8aa3b, v5
	s_and_b32 vcc_lo, exec_lo, vcc_lo
	s_delay_alu instid0(VALU_DEP_1) | instskip(SKIP_2) | instid1(VALU_DEP_1)
	v_exp_f32_e32 v5, v7
	s_waitcnt_depctr 0xfff
	v_fma_f32 v5, v5, v6, 1.0
	v_rcp_f32_e32 v19, v5
	;; [unrolled: 25-line block ×5, first 2 shown]
	s_waitcnt_depctr 0xfff
	v_mov_b32_e32 v38, v22
	s_cbranch_vccnz .LBB40_14
; %bb.13:
	global_load_u16 v5, v3, s[6:7] offset:384
	s_waitcnt vmcnt(0)
	v_cvt_f32_f16_e32 v5, v5
	s_delay_alu instid0(VALU_DEP_1)
	v_add_f32_e32 v38, v22, v5
.LBB40_14:
	global_load_b32 v1, v[1:2], off offset:896
	s_waitcnt vmcnt(0)
	v_mul_f32_e32 v2, 0xbfb8aa3b, v1
	s_delay_alu instid0(VALU_DEP_1) | instskip(SKIP_3) | instid1(VALU_DEP_3)
	v_cmp_gt_f32_e32 vcc_lo, 0xc2fc0000, v2
	v_cndmask_b32_e64 v5, 0, 0x42800000, vcc_lo
	v_cndmask_b32_e64 v2, 1.0, 0x1f800000, vcc_lo
	v_cmp_ne_u32_e32 vcc_lo, 1, v4
	v_fmac_f32_e32 v5, 0xbfb8aa3b, v1
	s_delay_alu instid0(VALU_DEP_1) | instskip(SKIP_2) | instid1(VALU_DEP_1)
	v_exp_f32_e32 v1, v5
	s_waitcnt_depctr 0xfff
	v_fma_f32 v1, v1, v2, 1.0
	v_rcp_f32_e32 v23, v1
	s_cbranch_vccnz .LBB40_16
; %bb.15:
	global_load_u16 v1, v3, s[6:7] offset:448
	s_waitcnt vmcnt(0)
	v_cvt_f32_f16_e32 v1, v1
	s_delay_alu instid0(VALU_DEP_1)
	v_add_f32_e32 v39, v23, v1
	s_branch .LBB40_17
.LBB40_16:
	s_waitcnt_depctr 0xfff
	v_mov_b32_e32 v39, v23
.LBB40_17:
	v_add_nc_u32_e32 v7, 0xe0, v0
	v_dual_mov_b32 v8, v32 :: v_dual_add_nc_u32 v1, 32, v0
	v_dual_mov_b32 v9, v33 :: v_dual_add_nc_u32 v2, 64, v0
	;; [unrolled: 1-line block ×6, first 2 shown]
	v_dual_mov_b32 v14, v38 :: v_dual_mov_b32 v31, v7
	s_delay_alu instid0(VALU_DEP_2)
	v_dual_mov_b32 v47, v7 :: v_dual_mov_b32 v46, v6
	v_dual_mov_b32 v78, v7 :: v_dual_mov_b32 v77, v6
	v_dual_mov_b32 v70, v7 :: v_dual_mov_b32 v69, v6
	v_dual_mov_b32 v30, v6 :: v_dual_mov_b32 v29, v5
	v_dual_mov_b32 v28, v4 :: v_dual_mov_b32 v27, v3
	v_dual_mov_b32 v26, v2 :: v_dual_mov_b32 v25, v1
	v_dual_mov_b32 v24, v0 :: v_dual_mov_b32 v45, v5
	v_dual_mov_b32 v44, v4 :: v_dual_mov_b32 v43, v3
	v_dual_mov_b32 v42, v2 :: v_dual_mov_b32 v41, v1
	v_mov_b32_e32 v40, v0
	v_dual_mov_b32 v76, v5 :: v_dual_mov_b32 v75, v4
	v_dual_mov_b32 v74, v3 :: v_dual_mov_b32 v73, v2
	;; [unrolled: 1-line block ×7, first 2 shown]
	s_mov_b32 s2, exec_lo
	v_cmpx_lt_f32_e32 v32, v33
	s_xor_b32 s2, exec_lo, s2
	s_cbranch_execz .LBB40_19
; %bb.18:
	v_dual_mov_b32 v30, v6 :: v_dual_mov_b32 v31, v7
	v_dual_mov_b32 v24, v1 :: v_dual_mov_b32 v25, v0
	;; [unrolled: 1-line block ×4, first 2 shown]
	s_delay_alu instid0(VALU_DEP_4)
	v_dual_mov_b32 v47, v31 :: v_dual_mov_b32 v46, v30
	v_dual_mov_b32 v78, v31 :: v_dual_mov_b32 v77, v30
	;; [unrolled: 1-line block ×17, first 2 shown]
	v_mov_b32_e32 v17, v48
	v_mov_b32_e32 v1, v0
.LBB40_19:
	s_or_b32 exec_lo, exec_lo, s2
	v_dual_mov_b32 v62, v23 :: v_dual_mov_b32 v61, v22
	v_dual_mov_b32 v86, v23 :: v_dual_mov_b32 v85, v22
	;; [unrolled: 1-line block ×16, first 2 shown]
	v_mov_b32_e32 v32, v10
	s_mov_b32 s2, exec_lo
	v_cmpx_lt_f32_e32 v33, v10
	s_cbranch_execz .LBB40_21
; %bb.20:
	v_dual_mov_b32 v70, v31 :: v_dual_mov_b32 v69, v30
	v_dual_mov_b32 v64, v25 :: v_dual_mov_b32 v63, v24
	;; [unrolled: 1-line block ×13, first 2 shown]
	v_mov_b32_e32 v74, v3
	v_dual_mov_b32 v87, v95 :: v_dual_mov_b32 v88, v96
	v_dual_mov_b32 v76, v68 :: v_dual_mov_b32 v75, v67
	;; [unrolled: 1-line block ×5, first 2 shown]
	v_mov_b32_e32 v90, v19
	v_dual_mov_b32 v40, v71 :: v_dual_mov_b32 v45, v76
	v_mov_b32_e32 v41, v72
	v_dual_mov_b32 v43, v74 :: v_dual_mov_b32 v46, v77
	;; [unrolled: 2-line block ×3, first 2 shown]
	v_dual_mov_b32 v42, v73 :: v_dual_mov_b32 v47, v78
	v_dual_mov_b32 v44, v4 :: v_dual_mov_b32 v81, v89
	;; [unrolled: 1-line block ×5, first 2 shown]
	v_mov_b32_e32 v84, v92
	v_mov_b32_e32 v86, v94
	v_dual_mov_b32 v24, v40 :: v_dual_mov_b32 v29, v45
	v_dual_mov_b32 v30, v46 :: v_dual_mov_b32 v25, v41
	;; [unrolled: 1-line block ×6, first 2 shown]
	v_mov_b32_e32 v61, v22
	v_mov_b32_e32 v62, v86
	v_dual_mov_b32 v28, v44 :: v_dual_mov_b32 v29, v5
	v_dual_mov_b32 v31, v7 :: v_dual_mov_b32 v32, v33
	;; [unrolled: 1-line block ×3, first 2 shown]
	v_mov_b32_e32 v57, v81
	v_mov_b32_e32 v60, v21
	;; [unrolled: 1-line block ×5, first 2 shown]
.LBB40_21:
	s_or_b32 exec_lo, exec_lo, s2
	v_mov_b32_e32 v1, v11
	s_mov_b32 s2, exec_lo
	v_cmpx_lt_f32_e32 v32, v11
	s_cbranch_execz .LBB40_23
; %bb.22:
	v_mov_b32_e32 v97, v19
	v_mov_b32_e32 v65, v3
	v_dual_mov_b32 v87, v95 :: v_dual_mov_b32 v88, v96
	v_mov_b32_e32 v78, v70
	v_dual_mov_b32 v92, v100 :: v_dual_mov_b32 v71, v63
	v_dual_mov_b32 v90, v98 :: v_dual_mov_b32 v91, v99
	;; [unrolled: 1-line block ×8, first 2 shown]
	v_mov_b32_e32 v80, v88
	s_delay_alu instid0(VALU_DEP_3)
	v_dual_mov_b32 v40, v71 :: v_dual_mov_b32 v41, v72
	v_dual_mov_b32 v83, v91 :: v_dual_mov_b32 v84, v92
	;; [unrolled: 1-line block ×20, first 2 shown]
	v_mov_b32_e32 v1, v32
	v_mov_b32_e32 v19, v18
	;; [unrolled: 1-line block ×3, first 2 shown]
.LBB40_23:
	s_or_b32 exec_lo, exec_lo, s2
	v_mov_b32_e32 v2, v12
	s_mov_b32 s2, exec_lo
	v_cmpx_lt_f32_e32 v1, v12
	s_cbranch_execz .LBB40_25
; %bb.24:
	v_mov_b32_e32 v98, v20
	v_dual_mov_b32 v66, v4 :: v_dual_mov_b32 v79, v95
	v_dual_mov_b32 v40, v63 :: v_dual_mov_b32 v41, v64
	;; [unrolled: 1-line block ×3, first 2 shown]
	s_delay_alu instid0(VALU_DEP_3)
	v_dual_mov_b32 v43, v66 :: v_dual_mov_b32 v80, v96
	v_mov_b32_e32 v81, v97
	v_dual_mov_b32 v46, v69 :: v_dual_mov_b32 v83, v99
	v_dual_mov_b32 v42, v65 :: v_dual_mov_b32 v45, v68
	;; [unrolled: 1-line block ×5, first 2 shown]
	v_mov_b32_e32 v44, v3
	v_dual_mov_b32 v55, v79 :: v_dual_mov_b32 v56, v80
	v_dual_mov_b32 v57, v81 :: v_dual_mov_b32 v24, v40
	;; [unrolled: 1-line block ×10, first 2 shown]
	v_mov_b32_e32 v73, v65
	v_dual_mov_b32 v12, v1 :: v_dual_mov_b32 v27, v43
	v_dual_mov_b32 v60, v21 :: v_dual_mov_b32 v61, v22
	;; [unrolled: 1-line block ×8, first 2 shown]
	v_mov_b32_e32 v74, v66
	v_mov_b32_e32 v72, v64
	;; [unrolled: 1-line block ×5, first 2 shown]
.LBB40_25:
	s_or_b32 exec_lo, exec_lo, s2
	v_mov_b32_e32 v1, v13
	s_mov_b32 s2, exec_lo
	v_cmpx_lt_f32_e32 v2, v13
	s_cbranch_execz .LBB40_27
; %bb.26:
	v_mov_b32_e32 v75, v5
	v_dual_mov_b32 v91, v21 :: v_dual_mov_b32 v24, v71
	v_mov_b32_e32 v30, v77
	v_mov_b32_e32 v30, v6
	;; [unrolled: 1-line block ×4, first 2 shown]
	v_dual_mov_b32 v55, v87 :: v_dual_mov_b32 v60, v92
	v_dual_mov_b32 v79, v87 :: v_dual_mov_b32 v82, v90
	v_dual_mov_b32 v29, v4 :: v_dual_mov_b32 v62, v94
	v_dual_mov_b32 v61, v93 :: v_dual_mov_b32 v62, v23
	v_dual_mov_b32 v85, v93 :: v_dual_mov_b32 v40, v71
	v_dual_mov_b32 v12, v13 :: v_dual_mov_b32 v13, v2
	v_dual_mov_b32 v25, v72 :: v_dual_mov_b32 v26, v73
	v_dual_mov_b32 v27, v74 :: v_dual_mov_b32 v28, v75
	v_dual_mov_b32 v31, v7 :: v_dual_mov_b32 v56, v88
	v_dual_mov_b32 v57, v89 :: v_dual_mov_b32 v60, v20
	v_dual_mov_b32 v58, v90 :: v_dual_mov_b32 v59, v91
	v_dual_mov_b32 v80, v88 :: v_dual_mov_b32 v61, v22
	v_dual_mov_b32 v84, v92 :: v_dual_mov_b32 v81, v89
	v_dual_mov_b32 v86, v94 :: v_dual_mov_b32 v83, v91
	v_dual_mov_b32 v42, v73 :: v_dual_mov_b32 v41, v72
	v_dual_mov_b32 v44, v75 :: v_dual_mov_b32 v43, v74
	v_dual_mov_b32 v46, v77 :: v_dual_mov_b32 v1, v2
	v_mov_b32_e32 v21, v20
	v_mov_b32_e32 v5, v4
	;; [unrolled: 1-line block ×4, first 2 shown]
.LBB40_27:
	s_or_b32 exec_lo, exec_lo, s2
	v_mov_b32_e32 v2, v14
	s_mov_b32 s2, exec_lo
	v_cmpx_lt_f32_e32 v1, v14
	s_cbranch_execz .LBB40_29
; %bb.28:
	v_dual_mov_b32 v45, v6 :: v_dual_mov_b32 v46, v5
	v_dual_mov_b32 v84, v22 :: v_dual_mov_b32 v85, v21
	;; [unrolled: 1-line block ×12, first 2 shown]
	v_mov_b32_e32 v2, v1
.LBB40_29:
	s_or_b32 exec_lo, exec_lo, s2
	s_delay_alu instid0(VALU_DEP_1)
	v_cmp_lt_f32_e32 vcc_lo, v2, v15
	v_dual_mov_b32 v40, v56 :: v_dual_mov_b32 v43, v59
	v_cmp_lt_f32_e64 s2, v8, v9
	v_dual_mov_b32 v41, v57 :: v_dual_mov_b32 v42, v58
	v_dual_cndmask_b32 v23, v15, v2 :: v_dual_cndmask_b32 v14, v14, v15
	v_dual_cndmask_b32 v46, v62, v61 :: v_dual_mov_b32 v39, v55
	s_delay_alu instid0(VALU_DEP_2) | instskip(SKIP_3) | instid1(VALU_DEP_4)
	v_dual_mov_b32 v44, v60 :: v_dual_mov_b32 v15, v23
	v_cndmask_b32_e32 v45, v61, v62, vcc_lo
	v_dual_cndmask_b32 v54, v31, v30 :: v_dual_cndmask_b32 v53, v30, v31
	v_dual_mov_b32 v47, v24 :: v_dual_mov_b32 v50, v27
	v_mov_b32_e32 v22, v15
	v_dual_mov_b32 v21, v14 :: v_dual_mov_b32 v20, v13
	v_dual_mov_b32 v19, v12 :: v_dual_mov_b32 v18, v11
	;; [unrolled: 1-line block ×5, first 2 shown]
	v_mov_b32_e32 v51, v28
	s_and_saveexec_b32 s3, s2
	s_delay_alu instid0(SALU_CYCLE_1)
	s_xor_b32 s2, exec_lo, s3
	s_cbranch_execz .LBB40_31
; %bb.30:
	v_dual_mov_b32 v16, v9 :: v_dual_mov_b32 v17, v8
	v_dual_mov_b32 v18, v10 :: v_dual_mov_b32 v19, v11
	;; [unrolled: 1-line block ×4, first 2 shown]
	s_delay_alu instid0(VALU_DEP_4)
	v_dual_mov_b32 v15, v16 :: v_dual_mov_b32 v40, v55
	v_dual_mov_b32 v16, v17 :: v_dual_mov_b32 v39, v56
	;; [unrolled: 1-line block ×10, first 2 shown]
.LBB40_31:
	s_or_b32 exec_lo, exec_lo, s2
	v_dual_mov_b32 v31, v39 :: v_dual_mov_b32 v32, v40
	v_dual_mov_b32 v78, v46 :: v_dual_mov_b32 v77, v45
	;; [unrolled: 1-line block ×22, first 2 shown]
	v_mov_b32_e32 v10, v17
	s_mov_b32 s2, exec_lo
	v_dual_mov_b32 v76, v44 :: v_dual_mov_b32 v75, v43
	v_dual_mov_b32 v68, v52 :: v_dual_mov_b32 v67, v51
	v_cmpx_lt_f32_e32 v9, v17
	s_cbranch_execz .LBB40_33
; %bb.32:
	v_dual_mov_b32 v1, v47 :: v_dual_mov_b32 v2, v48
	v_dual_mov_b32 v7, v53 :: v_dual_mov_b32 v8, v54
	v_mov_b32_e32 v2, v49
	v_dual_mov_b32 v3, v49 :: v_dual_mov_b32 v4, v50
	v_dual_mov_b32 v5, v51 :: v_dual_mov_b32 v6, v52
	;; [unrolled: 1-line block ×7, first 2 shown]
	v_mov_b32_e32 v57, v40
	v_dual_mov_b32 v70, v8 :: v_dual_mov_b32 v69, v7
	v_dual_mov_b32 v64, v2 :: v_dual_mov_b32 v63, v1
	;; [unrolled: 1-line block ×6, first 2 shown]
	v_mov_b32_e32 v66, v50
	v_dual_mov_b32 v16, v17 :: v_dual_mov_b32 v75, v59
	v_dual_mov_b32 v17, v9 :: v_dual_mov_b32 v76, v60
	;; [unrolled: 1-line block ×17, first 2 shown]
.LBB40_33:
	s_or_b32 exec_lo, exec_lo, s2
	v_mov_b32_e32 v9, v18
	s_mov_b32 s2, exec_lo
	s_delay_alu instid0(VALU_DEP_2)
	v_cmpx_lt_f32_e32 v10, v18
	s_cbranch_execz .LBB40_35
; %bb.34:
	v_mov_b32_e32 v3, v50
	v_dual_mov_b32 v57, v42 :: v_dual_mov_b32 v70, v8
	v_mov_b32_e32 v66, v4
	v_dual_mov_b32 v78, v62 :: v_dual_mov_b32 v77, v61
	v_mov_b32_e32 v66, v49
	v_mov_b32_e32 v63, v1
	;; [unrolled: 1-line block ×3, first 2 shown]
	v_dual_mov_b32 v69, v7 :: v_dual_mov_b32 v68, v6
	v_dual_mov_b32 v67, v5 :: v_dual_mov_b32 v64, v2
	;; [unrolled: 1-line block ×4, first 2 shown]
	v_mov_b32_e32 v65, v3
	v_dual_mov_b32 v73, v57 :: v_dual_mov_b32 v72, v56
	v_mov_b32_e32 v74, v41
	v_dual_mov_b32 v18, v10 :: v_dual_mov_b32 v23, v63
	v_dual_mov_b32 v24, v64 :: v_dual_mov_b32 v31, v71
	s_delay_alu instid0(VALU_DEP_4)
	v_dual_mov_b32 v32, v72 :: v_dual_mov_b32 v27, v67
	v_dual_mov_b32 v28, v68 :: v_dual_mov_b32 v29, v69
	;; [unrolled: 1-line block ×10, first 2 shown]
	v_mov_b32_e32 v38, v46
	v_dual_mov_b32 v9, v10 :: v_dual_mov_b32 v42, v41
	v_mov_b32_e32 v50, v49
.LBB40_35:
	s_or_b32 exec_lo, exec_lo, s2
	v_mov_b32_e32 v4, v19
	s_mov_b32 s2, exec_lo
	v_cmpx_lt_f32_e32 v9, v19
	s_cbranch_execz .LBB40_37
; %bb.36:
	v_mov_b32_e32 v4, v51
	v_dual_mov_b32 v18, v19 :: v_dual_mov_b32 v19, v9
	v_mov_b32_e32 v58, v43
	v_dual_mov_b32 v30, v8 :: v_dual_mov_b32 v29, v7
	v_dual_mov_b32 v28, v6 :: v_dual_mov_b32 v25, v3
	v_dual_mov_b32 v23, v1 :: v_dual_mov_b32 v28, v52
	v_mov_b32_e32 v31, v55
	v_dual_mov_b32 v27, v5 :: v_dual_mov_b32 v32, v56
	v_dual_mov_b32 v35, v59 :: v_dual_mov_b32 v34, v58
	;; [unrolled: 4-line block ×3, first 2 shown]
	v_dual_mov_b32 v70, v8 :: v_dual_mov_b32 v65, v3
	v_dual_mov_b32 v26, v4 :: v_dual_mov_b32 v27, v50
	;; [unrolled: 1-line block ×11, first 2 shown]
	v_mov_b32_e32 v64, v2
	v_dual_mov_b32 v4, v9 :: v_dual_mov_b32 v51, v50
.LBB40_37:
	s_or_b32 exec_lo, exec_lo, s2
	v_mov_b32_e32 v1, v20
	s_mov_b32 s2, exec_lo
	s_delay_alu instid0(VALU_DEP_2)
	v_cmpx_lt_f32_e32 v4, v20
	s_cbranch_execz .LBB40_39
; %bb.38:
	v_dual_mov_b32 v67, v52 :: v_dual_mov_b32 v68, v51
	v_dual_mov_b32 v69, v53 :: v_dual_mov_b32 v76, v43
	;; [unrolled: 1-line block ×4, first 2 shown]
	v_mov_b32_e32 v19, v20
	v_dual_mov_b32 v20, v4 :: v_dual_mov_b32 v31, v71
	v_dual_mov_b32 v23, v63 :: v_dual_mov_b32 v24, v64
	;; [unrolled: 1-line block ×9, first 2 shown]
.LBB40_39:
	s_or_b32 exec_lo, exec_lo, s2
	s_delay_alu instid0(VALU_DEP_1)
	v_cmp_lt_f32_e32 vcc_lo, v1, v21
	v_mov_b32_e32 v4, v18
	v_mov_b32_e32 v8, v22
	s_mov_b32 s2, exec_lo
	v_dual_mov_b32 v2, v16 :: v_dual_cndmask_b32 v9, v37, v36
	v_cndmask_b32_e32 v36, v36, v37, vcc_lo
	v_cndmask_b32_e32 v10, v29, v28, vcc_lo
	v_dual_cndmask_b32 v28, v28, v29 :: v_dual_mov_b32 v3, v17
	v_cndmask_b32_e32 v7, v21, v1, vcc_lo
	v_dual_cndmask_b32 v6, v20, v21 :: v_dual_mov_b32 v5, v19
	v_mov_b32_e32 v1, v15
	v_cmpx_lt_f32_e32 v15, v16
	s_cbranch_execz .LBB40_41
; %bb.40:
	s_delay_alu instid0(VALU_DEP_2)
	v_dual_mov_b32 v39, v2 :: v_dual_mov_b32 v40, v1
	v_dual_mov_b32 v41, v3 :: v_dual_mov_b32 v42, v4
	;; [unrolled: 1-line block ×4, first 2 shown]
	v_mov_b32_e32 v11, v31
	v_mov_b32_e32 v12, v23
	v_dual_mov_b32 v1, v39 :: v_dual_mov_b32 v4, v42
	v_swap_b32 v31, v32
	v_swap_b32 v23, v24
	v_dual_mov_b32 v2, v40 :: v_dual_mov_b32 v3, v41
	v_dual_mov_b32 v5, v43 :: v_dual_mov_b32 v6, v44
	;; [unrolled: 1-line block ×3, first 2 shown]
	v_mov_b32_e32 v16, v15
.LBB40_41:
	s_or_b32 exec_lo, exec_lo, s2
	v_mov_b32_e32 v29, v10
	v_dual_mov_b32 v37, v9 :: v_dual_mov_b32 v54, v30
	v_mov_b32_e32 v46, v38
	v_dual_mov_b32 v44, v36 :: v_dual_mov_b32 v39, v31
	v_dual_mov_b32 v70, v38 :: v_dual_mov_b32 v49, v25
	s_delay_alu instid0(VALU_DEP_4)
	v_dual_mov_b32 v62, v30 :: v_dual_mov_b32 v45, v37
	v_dual_mov_b32 v43, v35 :: v_dual_mov_b32 v42, v34
	;; [unrolled: 1-line block ×12, first 2 shown]
	v_mov_b32_e32 v57, v25
	v_mov_b32_e32 v55, v23
	;; [unrolled: 1-line block ×3, first 2 shown]
	s_mov_b32 s2, exec_lo
	v_cmpx_lt_f32_e32 v16, v3
	s_cbranch_execz .LBB40_43
; %bb.42:
	v_dual_mov_b32 v62, v30 :: v_dual_mov_b32 v61, v29
	v_dual_mov_b32 v58, v26 :: v_dual_mov_b32 v57, v25
	v_dual_mov_b32 v56, v24 :: v_dual_mov_b32 v55, v23
	v_dual_mov_b32 v56, v25 :: v_dual_mov_b32 v57, v24
	v_dual_mov_b32 v60, v28 :: v_dual_mov_b32 v59, v27
	v_dual_mov_b32 v70, v38 :: v_dual_mov_b32 v69, v37
	v_dual_mov_b32 v64, v32 :: v_dual_mov_b32 v63, v31
	s_delay_alu instid0(VALU_DEP_4)
	v_dual_mov_b32 v47, v55 :: v_dual_mov_b32 v48, v56
	v_dual_mov_b32 v68, v36 :: v_dual_mov_b32 v67, v35
	;; [unrolled: 1-line block ×16, first 2 shown]
	v_mov_b32_e32 v44, v36
	v_dual_mov_b32 v46, v38 :: v_dual_mov_b32 v11, v16
	v_mov_b32_e32 v33, v32
	v_mov_b32_e32 v25, v24
.LBB40_43:
	s_or_b32 exec_lo, exec_lo, s2
	v_mov_b32_e32 v12, v4
	s_mov_b32 s2, exec_lo
	v_cmpx_lt_f32_e32 v11, v4
	s_cbranch_execz .LBB40_45
; %bb.44:
	v_mov_b32_e32 v57, v26
	v_dual_mov_b32 v3, v4 :: v_dual_mov_b32 v4, v11
	v_mov_b32_e32 v65, v34
	v_dual_mov_b32 v47, v55 :: v_dual_mov_b32 v52, v60
	v_dual_mov_b32 v48, v56 :: v_dual_mov_b32 v39, v63
	;; [unrolled: 1-line block ×3, first 2 shown]
	v_mov_b32_e32 v54, v62
	v_dual_mov_b32 v50, v58 :: v_dual_mov_b32 v51, v59
	v_mov_b32_e32 v50, v25
	v_dual_mov_b32 v53, v61 :: v_dual_mov_b32 v52, v28
	v_dual_mov_b32 v41, v65 :: v_dual_mov_b32 v44, v68
	;; [unrolled: 1-line block ×8, first 2 shown]
	v_mov_b32_e32 v12, v11
	v_mov_b32_e32 v34, v33
	;; [unrolled: 1-line block ×3, first 2 shown]
.LBB40_45:
	s_or_b32 exec_lo, exec_lo, s2
	v_mov_b32_e32 v11, v5
	s_mov_b32 s2, exec_lo
	v_cmpx_lt_f32_e32 v12, v5
	s_cbranch_execz .LBB40_47
; %bb.46:
	v_dual_mov_b32 v68, v36 :: v_dual_mov_b32 v69, v9
	v_dual_mov_b32 v58, v27 :: v_dual_mov_b32 v59, v26
	;; [unrolled: 1-line block ×4, first 2 shown]
	v_mov_b32_e32 v70, v38
	v_dual_mov_b32 v4, v5 :: v_dual_mov_b32 v5, v12
	v_dual_mov_b32 v62, v30 :: v_dual_mov_b32 v39, v63
	;; [unrolled: 1-line block ×10, first 2 shown]
.LBB40_47:
	s_or_b32 exec_lo, exec_lo, s2
	s_delay_alu instid0(VALU_DEP_1)
	v_cmp_lt_f32_e32 vcc_lo, v11, v6
	v_dual_mov_b32 v19, v1 :: v_dual_mov_b32 v26, v8
	v_mov_b32_e32 v21, v3
	v_mov_b32_e32 v25, v7
	v_dual_cndmask_b32 v27, v44, v43 :: v_dual_mov_b32 v20, v2
	v_dual_cndmask_b32 v43, v43, v44 :: v_dual_cndmask_b32 v28, v52, v51
	v_dual_cndmask_b32 v51, v51, v52 :: v_dual_cndmask_b32 v24, v6, v11
	v_dual_cndmask_b32 v23, v5, v6 :: v_dual_mov_b32 v22, v4
	s_mov_b32 s2, exec_lo
	v_cmpx_lt_f32_e32 v1, v2
	s_cbranch_execz .LBB40_49
; %bb.48:
	v_dual_mov_b32 v8, v25 :: v_dual_mov_b32 v9, v26
	v_dual_mov_b32 v2, v20 :: v_dual_mov_b32 v3, v19
	;; [unrolled: 1-line block ×4, first 2 shown]
	v_mov_b32_e32 v10, v39
	v_dual_mov_b32 v11, v47 :: v_dual_mov_b32 v26, v9
	v_swap_b32 v39, v40
	v_swap_b32 v47, v48
	v_dual_mov_b32 v25, v8 :: v_dual_mov_b32 v24, v7
	v_dual_mov_b32 v23, v6 :: v_dual_mov_b32 v22, v5
	;; [unrolled: 1-line block ×4, first 2 shown]
.LBB40_49:
	s_or_b32 exec_lo, exec_lo, s2
	v_mov_b32_e32 v52, v28
	v_mov_b32_e32 v44, v27
	;; [unrolled: 1-line block ×4, first 2 shown]
	v_dual_mov_b32 v11, v39 :: v_dual_mov_b32 v4, v48
	v_dual_mov_b32 v12, v40 :: v_dual_mov_b32 v13, v41
	v_dual_mov_b32 v14, v42 :: v_dual_mov_b32 v15, v43
	v_dual_mov_b32 v16, v44 :: v_dual_mov_b32 v17, v45
	v_dual_mov_b32 v18, v46 :: v_dual_mov_b32 v7, v51
	v_dual_mov_b32 v6, v50 :: v_dual_mov_b32 v9, v53
	v_dual_mov_b32 v8, v52 :: v_dual_mov_b32 v1, v21
	v_mov_b32_e32 v10, v54
	s_mov_b32 s2, exec_lo
	v_cmpx_lt_f32_e32 v2, v21
	s_cbranch_execz .LBB40_51
; %bb.50:
	v_dual_mov_b32 v3, v47 :: v_dual_mov_b32 v4, v48
	v_dual_mov_b32 v9, v53 :: v_dual_mov_b32 v10, v54
	;; [unrolled: 1-line block ×17, first 2 shown]
	v_mov_b32_e32 v49, v48
.LBB40_51:
	s_or_b32 exec_lo, exec_lo, s2
	v_mov_b32_e32 v29, v22
	s_mov_b32 s2, exec_lo
	v_cmpx_lt_f32_e32 v1, v22
; %bb.52:
	v_dual_mov_b32 v21, v22 :: v_dual_mov_b32 v22, v1
	v_dual_mov_b32 v5, v50 :: v_dual_mov_b32 v6, v49
	;; [unrolled: 1-line block ×7, first 2 shown]
	v_mov_b32_e32 v29, v1
; %bb.53:
	s_or_b32 exec_lo, exec_lo, s2
	s_delay_alu instid0(VALU_DEP_1)
	v_cmp_lt_f32_e32 vcc_lo, v29, v23
	v_dual_mov_b32 v28, v20 :: v_dual_mov_b32 v33, v25
	v_mov_b32_e32 v32, v24
	v_dual_mov_b32 v34, v26 :: v_dual_cndmask_b32 v1, v15, v14
	v_cndmask_b32_e32 v14, v14, v15, vcc_lo
	v_cndmask_b32_e32 v2, v7, v6, vcc_lo
	v_dual_cndmask_b32 v6, v6, v7 :: v_dual_cndmask_b32 v31, v23, v29
	v_dual_cndmask_b32 v30, v22, v23 :: v_dual_mov_b32 v27, v19
	v_mov_b32_e32 v29, v21
	s_mov_b32 s2, exec_lo
	v_cmpx_lt_f32_e32 v19, v20
	s_cbranch_execz .LBB40_55
; %bb.54:
	v_dual_mov_b32 v20, v28 :: v_dual_mov_b32 v21, v27
	v_dual_mov_b32 v26, v33 :: v_dual_mov_b32 v27, v34
	;; [unrolled: 1-line block ×4, first 2 shown]
	s_delay_alu instid0(VALU_DEP_3)
	v_mov_b32_e32 v34, v27
	v_mov_b32_e32 v7, v11
	v_dual_mov_b32 v15, v3 :: v_dual_mov_b32 v28, v21
	v_swap_b32 v11, v12
	v_swap_b32 v3, v4
	v_dual_mov_b32 v33, v26 :: v_dual_mov_b32 v30, v23
	v_dual_mov_b32 v32, v25 :: v_dual_mov_b32 v31, v24
	v_mov_b32_e32 v29, v22
	v_dual_mov_b32 v27, v20 :: v_dual_mov_b32 v20, v19
.LBB40_55:
	s_or_b32 exec_lo, exec_lo, s2
	v_mov_b32_e32 v7, v2
	v_mov_b32_e32 v15, v1
	;; [unrolled: 1-line block ×3, first 2 shown]
	s_mov_b32 s2, exec_lo
	v_cmpx_lt_f32_e32 v20, v29
	s_cbranch_execz .LBB40_57
; %bb.56:
	v_dual_mov_b32 v42, v10 :: v_dual_mov_b32 v41, v9
	v_dual_mov_b32 v40, v8 :: v_dual_mov_b32 v39, v7
	;; [unrolled: 1-line block ×16, first 2 shown]
	v_mov_b32_e32 v18, v9
	s_delay_alu instid0(VALU_DEP_3) | instskip(NEXT) | instid1(VALU_DEP_4)
	v_dual_mov_b32 v16, v7 :: v_dual_mov_b32 v15, v6
	v_dual_mov_b32 v17, v8 :: v_dual_mov_b32 v14, v5
	;; [unrolled: 1-line block ×3, first 2 shown]
	v_mov_b32_e32 v11, v2
	v_dual_mov_b32 v3, v35 :: v_dual_mov_b32 v4, v36
	v_dual_mov_b32 v5, v37 :: v_dual_mov_b32 v6, v38
	;; [unrolled: 1-line block ×4, first 2 shown]
	v_mov_b32_e32 v19, v20
.LBB40_57:
	s_or_b32 exec_lo, exec_lo, s2
	s_delay_alu instid0(VALU_DEP_1)
	v_cmp_lt_f32_e32 vcc_lo, v19, v30
	v_dual_mov_b32 v20, v7 :: v_dual_mov_b32 v21, v8
	v_dual_mov_b32 v22, v9 :: v_dual_mov_b32 v23, v10
	v_dual_cndmask_b32 v1, v14, v13 :: v_dual_cndmask_b32 v36, v5, v6
	v_dual_cndmask_b32 v35, v13, v14 :: v_dual_cndmask_b32 v2, v6, v5
	;; [unrolled: 1-line block ×3, first 2 shown]
	v_dual_mov_b32 v6, v15 :: v_dual_mov_b32 v13, v16
	v_dual_mov_b32 v14, v17 :: v_dual_mov_b32 v19, v18
	;; [unrolled: 1-line block ×4, first 2 shown]
	v_mov_b32_e32 v29, v34
	s_mov_b32 s2, exec_lo
	v_cmpx_lt_f32_e32 v27, v28
	s_cbranch_execz .LBB40_59
; %bb.58:
	v_dual_mov_b32 v24, v28 :: v_dual_mov_b32 v37, v27
	v_dual_mov_b32 v6, v11 :: v_dual_mov_b32 v13, v16
	;; [unrolled: 1-line block ×3, first 2 shown]
	v_swap_b32 v11, v12
	v_swap_b32 v3, v4
	v_dual_mov_b32 v28, v27 :: v_dual_mov_b32 v21, v8
	v_dual_mov_b32 v6, v15 :: v_dual_mov_b32 v23, v10
	;; [unrolled: 1-line block ×5, first 2 shown]
	v_mov_b32_e32 v24, v31
	v_mov_b32_e32 v26, v33
.LBB40_59:
	s_or_b32 exec_lo, exec_lo, s2
	s_clause 0x1
	s_load_b32 s8, s[0:1], 0x28
	s_load_b128 s[4:7], s[0:1], 0x10
	s_waitcnt lgkmcnt(0)
	s_cmp_lt_i32 s8, 1
	s_cbranch_scc1 .LBB40_65
; %bb.60:
	v_cmp_lt_f32_e32 vcc_lo, v28, v30
	v_mov_b32_e32 v9, 0
	s_mov_b32 s9, 0x76543210
	s_mov_b32 s10, s8
	v_mov_b32_e32 v8, 0
	v_dual_cndmask_b32 v10, v35, v12 :: v_dual_cndmask_b32 v17, v37, v30
	v_cndmask_b32_e32 v7, v36, v4, vcc_lo
	v_cndmask_b32_e32 v15, v4, v36, vcc_lo
	;; [unrolled: 1-line block ×4, first 2 shown]
	v_cmp_lt_f32_e64 s2, v27, v17
	s_delay_alu instid0(VALU_DEP_1)
	v_cndmask_b32_e64 v12, v15, v3, s2
	v_cndmask_b32_e64 v15, v3, v15, s2
	v_mov_b32_e32 v3, 0
	v_cndmask_b32_e64 v16, v17, v27, s2
	v_cndmask_b32_e64 v17, v27, v17, s2
	;; [unrolled: 1-line block ×4, first 2 shown]
	v_mov_b32_e32 v27, v0
.LBB40_61:                              ; =>This Inner Loop Header: Depth=1
	v_cmp_eq_u32_e32 vcc_lo, 1, v9
	v_cmp_eq_u32_e64 s2, 2, v9
	v_cmp_gt_u32_e64 s3, 8, v9
	v_dual_cndmask_b32 v28, v17, v16 :: v_dual_cndmask_b32 v31, v11, v18
	v_cndmask_b32_e32 v30, v15, v12, vcc_lo
	v_cmp_eq_u32_e32 vcc_lo, 3, v9
	s_delay_alu instid0(VALU_DEP_3) | instskip(NEXT) | instid1(VALU_DEP_4)
	v_cndmask_b32_e64 v28, v28, v4, s2
	v_cndmask_b32_e64 v31, v31, v10, s2
	s_delay_alu instid0(VALU_DEP_4) | instskip(SKIP_1) | instid1(VALU_DEP_4)
	v_cndmask_b32_e64 v30, v30, v7, s2
	v_cmp_eq_u32_e64 s2, 4, v9
	v_cndmask_b32_e32 v28, v28, v5, vcc_lo
	s_delay_alu instid0(VALU_DEP_3) | instskip(SKIP_1) | instid1(VALU_DEP_3)
	v_dual_cndmask_b32 v31, v31, v1 :: v_dual_cndmask_b32 v30, v30, v2
	v_cmp_eq_u32_e32 vcc_lo, 5, v9
	v_cndmask_b32_e64 v28, v28, v24, s2
	s_delay_alu instid0(VALU_DEP_3) | instskip(NEXT) | instid1(VALU_DEP_4)
	v_cndmask_b32_e64 v31, v31, v6, s2
	v_cndmask_b32_e64 v30, v30, v20, s2
	v_cmp_eq_u32_e64 s2, 6, v9
	s_delay_alu instid0(VALU_DEP_4) | instskip(NEXT) | instid1(VALU_DEP_4)
	v_cndmask_b32_e32 v28, v28, v25, vcc_lo
	v_cndmask_b32_e32 v31, v31, v13, vcc_lo
	s_delay_alu instid0(VALU_DEP_4) | instskip(SKIP_1) | instid1(VALU_DEP_4)
	v_cndmask_b32_e32 v30, v30, v21, vcc_lo
	v_cmp_eq_u32_e32 vcc_lo, 7, v9
	v_cndmask_b32_e64 v28, v28, v26, s2
	s_delay_alu instid0(VALU_DEP_3) | instskip(NEXT) | instid1(VALU_DEP_2)
	v_cndmask_b32_e64 v30, v30, v22, s2
	v_cndmask_b32_e32 v28, v28, v29, vcc_lo
	s_delay_alu instid0(VALU_DEP_2) | instskip(NEXT) | instid1(VALU_DEP_2)
	v_cndmask_b32_e32 v30, v30, v23, vcc_lo
	v_cndmask_b32_e64 v28, 0xff800000, v28, s3
	;;#ASMSTART
	v_max_f32 v32, v28, v28 quad_perm:[1,0,3,2] row_mask:0xf bank_mask:0xf bound_ctrl:1
	;;#ASMEND
	;;#ASMSTART
	v_max_f32 v33, v32, v32 quad_perm:[2,3,0,1] row_mask:0xf bank_mask:0xf bound_ctrl:1
	;;#ASMEND
	;;#ASMSTART
	v_max_f32 v32, v33, v33 row_half_mirror row_mask:0xf bank_mask:0xf bound_ctrl:1
	;;#ASMEND
	;;#ASMSTART
	v_max_f32 v33, v32, v32 row_mirror row_mask:0xf bank_mask:0xf bound_ctrl:1
	;;#ASMEND
	v_permlanex16_b32 v32, v33, s9, 0xfedcba98 op_sel:[1,1]
	s_delay_alu instid0(VALU_DEP_1) | instskip(SKIP_1) | instid1(VALU_DEP_2)
	v_dual_max_f32 v33, v33, v33 :: v_dual_max_f32 v32, v32, v32
	v_cndmask_b32_e64 v31, v31, v14, s2
	v_max_f32_e32 v32, v33, v32
	s_delay_alu instid0(VALU_DEP_1) | instskip(SKIP_1) | instid1(VALU_DEP_2)
	v_cmp_eq_f32_e64 s2, v28, v32
	v_cndmask_b32_e64 v28, 0, v30, s3
	s_ctz_i32_b32 s11, s2
	s_cmp_lg_u32 s2, 0
	s_cselect_b32 s2, s11, 0
	s_add_i32 s10, s10, -1
	v_readlane_b32 s11, v28, s2
	v_cndmask_b32_e32 v28, v31, v19, vcc_lo
	s_delay_alu instid0(VALU_DEP_2)
	v_cmp_eq_u32_e32 vcc_lo, s11, v30
	s_and_b32 s2, s11, 31
	s_and_b32 vcc_lo, s3, vcc_lo
	s_cmp_eq_u32 s10, 0
	v_cndmask_b32_e32 v28, 0, v28, vcc_lo
	v_add_co_ci_u32_e32 v9, vcc_lo, 0, v9, vcc_lo
	s_delay_alu instid0(VALU_DEP_2) | instskip(SKIP_2) | instid1(VALU_DEP_2)
	v_readlane_b32 s3, v28, s2
	v_cmp_eq_u32_e64 s2, 0, v27
	v_add_nc_u32_e32 v27, -1, v27
	v_cndmask_b32_e64 v8, v8, s3, s2
	v_cndmask_b32_e64 v3, v3, s11, s2
	s_cbranch_scc0 .LBB40_61
; %bb.62:
	s_mov_b32 s2, exec_lo
	v_cmpx_gt_i32_e64 s8, v0
	s_cbranch_execz .LBB40_64
.LBB40_63:
	s_clause 0x1
	s_load_b64 s[2:3], s[0:1], 0x20
	s_load_b32 s8, s[0:1], 0x30
	s_ashr_i32 s0, s15, 31
	s_waitcnt lgkmcnt(0)
	s_mul_i32 s1, s15, s3
	s_mul_hi_u32 s3, s15, s2
	s_mul_i32 s0, s0, s2
	s_add_i32 s1, s3, s1
	v_mul_f32_e32 v0, s8, v8
	s_add_i32 s1, s1, s0
	s_mul_i32 s0, s15, s2
	s_delay_alu instid0(SALU_CYCLE_1) | instskip(NEXT) | instid1(SALU_CYCLE_1)
	s_lshl_b64 s[0:1], s[0:1], 2
	s_add_u32 s2, s4, s0
	s_addc_u32 s3, s5, s1
	s_add_u32 s0, s6, s0
	s_addc_u32 s1, s7, s1
	s_clause 0x1
	global_store_b32 v103, v0, s[2:3]
	global_store_b32 v103, v3, s[0:1]
.LBB40_64:
	s_nop 0
	s_sendmsg sendmsg(MSG_DEALLOC_VGPRS)
	s_endpgm
.LBB40_65:
	v_dual_mov_b32 v3, 0 :: v_dual_mov_b32 v8, 0
	s_mov_b32 s2, exec_lo
	v_cmpx_gt_i32_e64 s8, v0
	s_cbranch_execnz .LBB40_63
	s_branch .LBB40_64
	.section	.rodata,"a",@progbits
	.p2align	6, 0x0
	.amdhsa_kernel _ZN5aiter24topk_softplus_kernel_optIf6__halfLi256ELb0ELi1EEEvPKT_PKT0_PfPimiif
		.amdhsa_group_segment_fixed_size 0
		.amdhsa_private_segment_fixed_size 0
		.amdhsa_kernarg_size 52
		.amdhsa_user_sgpr_count 15
		.amdhsa_user_sgpr_dispatch_ptr 0
		.amdhsa_user_sgpr_queue_ptr 0
		.amdhsa_user_sgpr_kernarg_segment_ptr 1
		.amdhsa_user_sgpr_dispatch_id 0
		.amdhsa_user_sgpr_private_segment_size 0
		.amdhsa_wavefront_size32 1
		.amdhsa_uses_dynamic_stack 0
		.amdhsa_enable_private_segment 0
		.amdhsa_system_sgpr_workgroup_id_x 1
		.amdhsa_system_sgpr_workgroup_id_y 0
		.amdhsa_system_sgpr_workgroup_id_z 0
		.amdhsa_system_sgpr_workgroup_info 0
		.amdhsa_system_vgpr_workitem_id 0
		.amdhsa_next_free_vgpr 104
		.amdhsa_next_free_sgpr 16
		.amdhsa_reserve_vcc 1
		.amdhsa_float_round_mode_32 0
		.amdhsa_float_round_mode_16_64 0
		.amdhsa_float_denorm_mode_32 3
		.amdhsa_float_denorm_mode_16_64 3
		.amdhsa_dx10_clamp 1
		.amdhsa_ieee_mode 1
		.amdhsa_fp16_overflow 0
		.amdhsa_workgroup_processor_mode 1
		.amdhsa_memory_ordered 1
		.amdhsa_forward_progress 0
		.amdhsa_shared_vgpr_count 0
		.amdhsa_exception_fp_ieee_invalid_op 0
		.amdhsa_exception_fp_denorm_src 0
		.amdhsa_exception_fp_ieee_div_zero 0
		.amdhsa_exception_fp_ieee_overflow 0
		.amdhsa_exception_fp_ieee_underflow 0
		.amdhsa_exception_fp_ieee_inexact 0
		.amdhsa_exception_int_div_zero 0
	.end_amdhsa_kernel
	.section	.text._ZN5aiter24topk_softplus_kernel_optIf6__halfLi256ELb0ELi1EEEvPKT_PKT0_PfPimiif,"axG",@progbits,_ZN5aiter24topk_softplus_kernel_optIf6__halfLi256ELb0ELi1EEEvPKT_PKT0_PfPimiif,comdat
.Lfunc_end40:
	.size	_ZN5aiter24topk_softplus_kernel_optIf6__halfLi256ELb0ELi1EEEvPKT_PKT0_PfPimiif, .Lfunc_end40-_ZN5aiter24topk_softplus_kernel_optIf6__halfLi256ELb0ELi1EEEvPKT_PKT0_PfPimiif
                                        ; -- End function
	.section	.AMDGPU.csdata,"",@progbits
; Kernel info:
; codeLenInByte = 6796
; NumSgprs: 18
; NumVgprs: 104
; ScratchSize: 0
; MemoryBound: 0
; FloatMode: 240
; IeeeMode: 1
; LDSByteSize: 0 bytes/workgroup (compile time only)
; SGPRBlocks: 2
; VGPRBlocks: 12
; NumSGPRsForWavesPerEU: 18
; NumVGPRsForWavesPerEU: 104
; Occupancy: 12
; WaveLimiterHint : 0
; COMPUTE_PGM_RSRC2:SCRATCH_EN: 0
; COMPUTE_PGM_RSRC2:USER_SGPR: 15
; COMPUTE_PGM_RSRC2:TRAP_HANDLER: 0
; COMPUTE_PGM_RSRC2:TGID_X_EN: 1
; COMPUTE_PGM_RSRC2:TGID_Y_EN: 0
; COMPUTE_PGM_RSRC2:TGID_Z_EN: 0
; COMPUTE_PGM_RSRC2:TIDIG_COMP_CNT: 0
	.section	.text._ZN5aiter24topk_softplus_kernel_optIf6__halfLi384ELb1ELi1EEEvPKT_PKT0_PfPimiif,"axG",@progbits,_ZN5aiter24topk_softplus_kernel_optIf6__halfLi384ELb1ELi1EEEvPKT_PKT0_PfPimiif,comdat
	.protected	_ZN5aiter24topk_softplus_kernel_optIf6__halfLi384ELb1ELi1EEEvPKT_PKT0_PfPimiif ; -- Begin function _ZN5aiter24topk_softplus_kernel_optIf6__halfLi384ELb1ELi1EEEvPKT_PKT0_PfPimiif
	.globl	_ZN5aiter24topk_softplus_kernel_optIf6__halfLi384ELb1ELi1EEEvPKT_PKT0_PfPimiif
	.p2align	8
	.type	_ZN5aiter24topk_softplus_kernel_optIf6__halfLi384ELb1ELi1EEEvPKT_PKT0_PfPimiif,@function
_ZN5aiter24topk_softplus_kernel_optIf6__halfLi384ELb1ELi1EEEvPKT_PKT0_PfPimiif: ; @_ZN5aiter24topk_softplus_kernel_optIf6__halfLi384ELb1ELi1EEEvPKT_PKT0_PfPimiif
; %bb.0:
	s_load_b128 s[4:7], s[0:1], 0x0
	s_mul_i32 s2, s15, 0x180
	v_lshlrev_b32_e32 v183, 2, v0
	s_ashr_i32 s3, s2, 31
	v_lshlrev_b32_e32 v3, 1, v0
	s_lshl_b64 s[2:3], s[2:3], 2
	s_waitcnt lgkmcnt(0)
	s_add_u32 s4, s4, s2
	s_addc_u32 s5, s5, s3
	s_cmp_lg_u64 s[6:7], 0
	global_load_b32 v1, v183, s[4:5]
	s_cselect_b32 s2, -1, 0
	s_waitcnt vmcnt(0)
	v_mul_f32_e32 v2, 0xbfb8aa3b, v1
	s_delay_alu instid0(VALU_DEP_1) | instskip(SKIP_1) | instid1(VALU_DEP_1)
	v_cmp_gt_f32_e32 vcc_lo, 0xc2fc0000, v2
	v_cndmask_b32_e64 v2, 0, 0x42800000, vcc_lo
	v_fmac_f32_e32 v2, 0xbfb8aa3b, v1
	s_delay_alu instid0(VALU_DEP_1) | instskip(SKIP_4) | instid1(VALU_DEP_1)
	v_exp_f32_e32 v1, v2
	v_cndmask_b32_e64 v2, 1.0, 0x1f800000, vcc_lo
	s_and_b32 vcc_lo, exec_lo, s2
	s_waitcnt_depctr 0xfff
	v_fma_f32 v1, v1, v2, 1.0
	v_rcp_f32_e32 v37, v1
	v_add_co_u32 v1, s3, s4, v183
	s_delay_alu instid0(VALU_DEP_1)
	v_add_co_ci_u32_e64 v2, null, s5, 0, s3
	s_waitcnt_depctr 0xfff
	v_mov_b32_e32 v48, v37
	s_cbranch_vccz .LBB41_2
; %bb.1:
	global_load_u16 v4, v3, s[6:7]
	s_waitcnt vmcnt(0)
	v_cvt_f32_f16_e32 v4, v4
	s_delay_alu instid0(VALU_DEP_1)
	v_add_f32_e32 v48, v37, v4
.LBB41_2:
	global_load_b32 v4, v[1:2], off offset:128
	s_waitcnt vmcnt(0)
	v_mul_f32_e32 v5, 0xbfb8aa3b, v4
	s_delay_alu instid0(VALU_DEP_1) | instskip(SKIP_3) | instid1(VALU_DEP_2)
	v_cmp_gt_f32_e32 vcc_lo, 0xc2fc0000, v5
	v_cndmask_b32_e64 v6, 0, 0x42800000, vcc_lo
	v_cndmask_b32_e64 v5, 1.0, 0x1f800000, vcc_lo
	s_and_not1_b32 vcc_lo, exec_lo, s2
	v_fmac_f32_e32 v6, 0xbfb8aa3b, v4
	s_delay_alu instid0(VALU_DEP_1) | instskip(SKIP_2) | instid1(VALU_DEP_1)
	v_exp_f32_e32 v4, v6
	s_waitcnt_depctr 0xfff
	v_fma_f32 v4, v4, v5, 1.0
	v_rcp_f32_e32 v14, v4
	v_cndmask_b32_e64 v4, 0, 1, s2
	s_waitcnt_depctr 0xfff
	v_mov_b32_e32 v49, v14
	s_cbranch_vccnz .LBB41_4
; %bb.3:
	global_load_u16 v5, v3, s[6:7] offset:64
	s_waitcnt vmcnt(0)
	v_cvt_f32_f16_e32 v5, v5
	s_delay_alu instid0(VALU_DEP_1)
	v_add_f32_e32 v49, v14, v5
.LBB41_4:
	global_load_b32 v5, v[1:2], off offset:256
	s_waitcnt vmcnt(0)
	v_mul_f32_e32 v6, 0xbfb8aa3b, v5
	s_delay_alu instid0(VALU_DEP_1) | instskip(SKIP_3) | instid1(VALU_DEP_3)
	v_cmp_gt_f32_e32 vcc_lo, 0xc2fc0000, v6
	v_cndmask_b32_e64 v7, 0, 0x42800000, vcc_lo
	v_cndmask_b32_e64 v6, 1.0, 0x1f800000, vcc_lo
	v_cmp_ne_u32_e32 vcc_lo, 1, v4
	v_fmac_f32_e32 v7, 0xbfb8aa3b, v5
	s_and_b32 vcc_lo, exec_lo, vcc_lo
	s_delay_alu instid0(VALU_DEP_1) | instskip(SKIP_2) | instid1(VALU_DEP_1)
	v_exp_f32_e32 v5, v7
	s_waitcnt_depctr 0xfff
	v_fma_f32 v5, v5, v6, 1.0
	v_rcp_f32_e32 v15, v5
	s_waitcnt_depctr 0xfff
	v_mov_b32_e32 v50, v15
	s_cbranch_vccnz .LBB41_6
; %bb.5:
	global_load_u16 v5, v3, s[6:7] offset:128
	s_waitcnt vmcnt(0)
	v_cvt_f32_f16_e32 v5, v5
	s_delay_alu instid0(VALU_DEP_1)
	v_add_f32_e32 v50, v15, v5
.LBB41_6:
	global_load_b32 v5, v[1:2], off offset:384
	s_waitcnt vmcnt(0)
	v_mul_f32_e32 v6, 0xbfb8aa3b, v5
	s_delay_alu instid0(VALU_DEP_1) | instskip(SKIP_3) | instid1(VALU_DEP_3)
	v_cmp_gt_f32_e32 vcc_lo, 0xc2fc0000, v6
	v_cndmask_b32_e64 v7, 0, 0x42800000, vcc_lo
	v_cndmask_b32_e64 v6, 1.0, 0x1f800000, vcc_lo
	v_cmp_ne_u32_e32 vcc_lo, 1, v4
	v_fmac_f32_e32 v7, 0xbfb8aa3b, v5
	s_and_b32 vcc_lo, exec_lo, vcc_lo
	s_delay_alu instid0(VALU_DEP_1) | instskip(SKIP_2) | instid1(VALU_DEP_1)
	v_exp_f32_e32 v5, v7
	s_waitcnt_depctr 0xfff
	v_fma_f32 v5, v5, v6, 1.0
	v_rcp_f32_e32 v16, v5
	s_waitcnt_depctr 0xfff
	v_mov_b32_e32 v51, v16
	s_cbranch_vccnz .LBB41_8
; %bb.7:
	global_load_u16 v5, v3, s[6:7] offset:192
	s_waitcnt vmcnt(0)
	v_cvt_f32_f16_e32 v5, v5
	s_delay_alu instid0(VALU_DEP_1)
	v_add_f32_e32 v51, v16, v5
.LBB41_8:
	global_load_b32 v5, v[1:2], off offset:512
	s_waitcnt vmcnt(0)
	v_mul_f32_e32 v6, 0xbfb8aa3b, v5
	s_delay_alu instid0(VALU_DEP_1) | instskip(SKIP_3) | instid1(VALU_DEP_3)
	v_cmp_gt_f32_e32 vcc_lo, 0xc2fc0000, v6
	v_cndmask_b32_e64 v7, 0, 0x42800000, vcc_lo
	v_cndmask_b32_e64 v6, 1.0, 0x1f800000, vcc_lo
	v_cmp_ne_u32_e32 vcc_lo, 1, v4
	v_fmac_f32_e32 v7, 0xbfb8aa3b, v5
	s_and_b32 vcc_lo, exec_lo, vcc_lo
	s_delay_alu instid0(VALU_DEP_1) | instskip(SKIP_2) | instid1(VALU_DEP_1)
	v_exp_f32_e32 v5, v7
	s_waitcnt_depctr 0xfff
	v_fma_f32 v5, v5, v6, 1.0
	v_rcp_f32_e32 v17, v5
	s_waitcnt_depctr 0xfff
	v_mov_b32_e32 v52, v17
	s_cbranch_vccnz .LBB41_10
; %bb.9:
	global_load_u16 v5, v3, s[6:7] offset:256
	s_waitcnt vmcnt(0)
	v_cvt_f32_f16_e32 v5, v5
	s_delay_alu instid0(VALU_DEP_1)
	v_add_f32_e32 v52, v17, v5
.LBB41_10:
	global_load_b32 v5, v[1:2], off offset:640
	s_waitcnt vmcnt(0)
	v_mul_f32_e32 v6, 0xbfb8aa3b, v5
	s_delay_alu instid0(VALU_DEP_1) | instskip(SKIP_3) | instid1(VALU_DEP_3)
	v_cmp_gt_f32_e32 vcc_lo, 0xc2fc0000, v6
	v_cndmask_b32_e64 v7, 0, 0x42800000, vcc_lo
	v_cndmask_b32_e64 v6, 1.0, 0x1f800000, vcc_lo
	v_cmp_ne_u32_e32 vcc_lo, 1, v4
	v_fmac_f32_e32 v7, 0xbfb8aa3b, v5
	s_and_b32 vcc_lo, exec_lo, vcc_lo
	s_delay_alu instid0(VALU_DEP_1) | instskip(SKIP_2) | instid1(VALU_DEP_1)
	v_exp_f32_e32 v5, v7
	s_waitcnt_depctr 0xfff
	v_fma_f32 v5, v5, v6, 1.0
	v_rcp_f32_e32 v18, v5
	s_waitcnt_depctr 0xfff
	v_mov_b32_e32 v53, v18
	s_cbranch_vccnz .LBB41_12
; %bb.11:
	global_load_u16 v5, v3, s[6:7] offset:320
	s_waitcnt vmcnt(0)
	v_cvt_f32_f16_e32 v5, v5
	s_delay_alu instid0(VALU_DEP_1)
	v_add_f32_e32 v53, v18, v5
.LBB41_12:
	global_load_b32 v5, v[1:2], off offset:768
	s_waitcnt vmcnt(0)
	v_mul_f32_e32 v6, 0xbfb8aa3b, v5
	s_delay_alu instid0(VALU_DEP_1) | instskip(SKIP_3) | instid1(VALU_DEP_3)
	v_cmp_gt_f32_e32 vcc_lo, 0xc2fc0000, v6
	v_cndmask_b32_e64 v7, 0, 0x42800000, vcc_lo
	v_cndmask_b32_e64 v6, 1.0, 0x1f800000, vcc_lo
	v_cmp_ne_u32_e32 vcc_lo, 1, v4
	v_fmac_f32_e32 v7, 0xbfb8aa3b, v5
	s_and_b32 vcc_lo, exec_lo, vcc_lo
	s_delay_alu instid0(VALU_DEP_1) | instskip(SKIP_2) | instid1(VALU_DEP_1)
	v_exp_f32_e32 v5, v7
	s_waitcnt_depctr 0xfff
	v_fma_f32 v5, v5, v6, 1.0
	v_rcp_f32_e32 v19, v5
	s_waitcnt_depctr 0xfff
	v_mov_b32_e32 v54, v19
	s_cbranch_vccnz .LBB41_14
; %bb.13:
	global_load_u16 v5, v3, s[6:7] offset:384
	s_waitcnt vmcnt(0)
	v_cvt_f32_f16_e32 v5, v5
	s_delay_alu instid0(VALU_DEP_1)
	v_add_f32_e32 v54, v19, v5
.LBB41_14:
	global_load_b32 v5, v[1:2], off offset:896
	s_waitcnt vmcnt(0)
	v_mul_f32_e32 v6, 0xbfb8aa3b, v5
	s_delay_alu instid0(VALU_DEP_1) | instskip(SKIP_3) | instid1(VALU_DEP_3)
	v_cmp_gt_f32_e32 vcc_lo, 0xc2fc0000, v6
	v_cndmask_b32_e64 v7, 0, 0x42800000, vcc_lo
	v_cndmask_b32_e64 v6, 1.0, 0x1f800000, vcc_lo
	v_cmp_ne_u32_e32 vcc_lo, 1, v4
	v_fmac_f32_e32 v7, 0xbfb8aa3b, v5
	s_and_b32 vcc_lo, exec_lo, vcc_lo
	s_delay_alu instid0(VALU_DEP_1) | instskip(SKIP_2) | instid1(VALU_DEP_1)
	v_exp_f32_e32 v5, v7
	s_waitcnt_depctr 0xfff
	v_fma_f32 v5, v5, v6, 1.0
	v_rcp_f32_e32 v20, v5
	s_waitcnt_depctr 0xfff
	v_mov_b32_e32 v55, v20
	s_cbranch_vccnz .LBB41_16
; %bb.15:
	global_load_u16 v5, v3, s[6:7] offset:448
	s_waitcnt vmcnt(0)
	v_cvt_f32_f16_e32 v5, v5
	s_delay_alu instid0(VALU_DEP_1)
	v_add_f32_e32 v55, v20, v5
.LBB41_16:
	global_load_b32 v5, v[1:2], off offset:1024
	s_waitcnt vmcnt(0)
	v_mul_f32_e32 v6, 0xbfb8aa3b, v5
	s_delay_alu instid0(VALU_DEP_1) | instskip(SKIP_3) | instid1(VALU_DEP_3)
	v_cmp_gt_f32_e32 vcc_lo, 0xc2fc0000, v6
	v_cndmask_b32_e64 v7, 0, 0x42800000, vcc_lo
	v_cndmask_b32_e64 v6, 1.0, 0x1f800000, vcc_lo
	v_cmp_ne_u32_e32 vcc_lo, 1, v4
	v_fmac_f32_e32 v7, 0xbfb8aa3b, v5
	s_and_b32 vcc_lo, exec_lo, vcc_lo
	s_delay_alu instid0(VALU_DEP_1) | instskip(SKIP_2) | instid1(VALU_DEP_1)
	v_exp_f32_e32 v5, v7
	s_waitcnt_depctr 0xfff
	v_fma_f32 v5, v5, v6, 1.0
	v_rcp_f32_e32 v21, v5
	s_waitcnt_depctr 0xfff
	v_mov_b32_e32 v56, v21
	s_cbranch_vccnz .LBB41_18
; %bb.17:
	global_load_u16 v5, v3, s[6:7] offset:512
	s_waitcnt vmcnt(0)
	v_cvt_f32_f16_e32 v5, v5
	s_delay_alu instid0(VALU_DEP_1)
	v_add_f32_e32 v56, v21, v5
.LBB41_18:
	global_load_b32 v5, v[1:2], off offset:1152
	s_waitcnt vmcnt(0)
	v_mul_f32_e32 v6, 0xbfb8aa3b, v5
	s_delay_alu instid0(VALU_DEP_1) | instskip(SKIP_3) | instid1(VALU_DEP_3)
	v_cmp_gt_f32_e32 vcc_lo, 0xc2fc0000, v6
	v_cndmask_b32_e64 v7, 0, 0x42800000, vcc_lo
	v_cndmask_b32_e64 v6, 1.0, 0x1f800000, vcc_lo
	v_cmp_ne_u32_e32 vcc_lo, 1, v4
	v_fmac_f32_e32 v7, 0xbfb8aa3b, v5
	s_and_b32 vcc_lo, exec_lo, vcc_lo
	s_delay_alu instid0(VALU_DEP_1) | instskip(SKIP_2) | instid1(VALU_DEP_1)
	v_exp_f32_e32 v5, v7
	s_waitcnt_depctr 0xfff
	v_fma_f32 v5, v5, v6, 1.0
	v_rcp_f32_e32 v22, v5
	s_waitcnt_depctr 0xfff
	v_mov_b32_e32 v57, v22
	s_cbranch_vccnz .LBB41_20
; %bb.19:
	global_load_u16 v5, v3, s[6:7] offset:576
	s_waitcnt vmcnt(0)
	v_cvt_f32_f16_e32 v5, v5
	s_delay_alu instid0(VALU_DEP_1)
	v_add_f32_e32 v57, v22, v5
.LBB41_20:
	global_load_b32 v5, v[1:2], off offset:1280
	s_waitcnt vmcnt(0)
	v_mul_f32_e32 v6, 0xbfb8aa3b, v5
	s_delay_alu instid0(VALU_DEP_1) | instskip(SKIP_3) | instid1(VALU_DEP_3)
	v_cmp_gt_f32_e32 vcc_lo, 0xc2fc0000, v6
	v_cndmask_b32_e64 v7, 0, 0x42800000, vcc_lo
	v_cndmask_b32_e64 v6, 1.0, 0x1f800000, vcc_lo
	v_cmp_ne_u32_e32 vcc_lo, 1, v4
	v_fmac_f32_e32 v7, 0xbfb8aa3b, v5
	s_and_b32 vcc_lo, exec_lo, vcc_lo
	s_delay_alu instid0(VALU_DEP_1) | instskip(SKIP_2) | instid1(VALU_DEP_1)
	v_exp_f32_e32 v5, v7
	s_waitcnt_depctr 0xfff
	v_fma_f32 v5, v5, v6, 1.0
	v_rcp_f32_e32 v23, v5
	s_waitcnt_depctr 0xfff
	v_mov_b32_e32 v58, v23
	s_cbranch_vccnz .LBB41_22
; %bb.21:
	global_load_u16 v5, v3, s[6:7] offset:640
	s_waitcnt vmcnt(0)
	v_cvt_f32_f16_e32 v5, v5
	s_delay_alu instid0(VALU_DEP_1)
	v_add_f32_e32 v58, v23, v5
.LBB41_22:
	global_load_b32 v1, v[1:2], off offset:1408
	s_waitcnt vmcnt(0)
	v_mul_f32_e32 v2, 0xbfb8aa3b, v1
	s_delay_alu instid0(VALU_DEP_1) | instskip(SKIP_3) | instid1(VALU_DEP_3)
	v_cmp_gt_f32_e32 vcc_lo, 0xc2fc0000, v2
	v_cndmask_b32_e64 v5, 0, 0x42800000, vcc_lo
	v_cndmask_b32_e64 v2, 1.0, 0x1f800000, vcc_lo
	v_cmp_ne_u32_e32 vcc_lo, 1, v4
	v_fmac_f32_e32 v5, 0xbfb8aa3b, v1
	s_delay_alu instid0(VALU_DEP_1) | instskip(SKIP_2) | instid1(VALU_DEP_1)
	v_exp_f32_e32 v1, v5
	s_waitcnt_depctr 0xfff
	v_fma_f32 v1, v1, v2, 1.0
	v_rcp_f32_e32 v24, v1
	s_cbranch_vccnz .LBB41_24
; %bb.23:
	global_load_u16 v1, v3, s[6:7] offset:704
	s_waitcnt vmcnt(0)
	v_cvt_f32_f16_e32 v1, v1
	s_delay_alu instid0(VALU_DEP_1)
	v_add_f32_e32 v59, v24, v1
	s_branch .LBB41_25
.LBB41_24:
	s_waitcnt_depctr 0xfff
	v_mov_b32_e32 v59, v24
.LBB41_25:
	v_dual_mov_b32 v1, v48 :: v_dual_add_nc_u32 v26, 32, v0
	v_dual_mov_b32 v2, v49 :: v_dual_add_nc_u32 v27, 64, v0
	;; [unrolled: 1-line block ×11, first 2 shown]
	v_dual_mov_b32 v12, v59 :: v_dual_mov_b32 v13, v37
	v_mov_b32_e32 v25, v0
	s_mov_b32 s2, exec_lo
	v_cmpx_lt_f32_e32 v48, v49
	s_xor_b32 s2, exec_lo, s2
; %bb.26:
	v_dual_mov_b32 v1, v49 :: v_dual_mov_b32 v2, v48
	v_dual_mov_b32 v3, v50 :: v_dual_mov_b32 v4, v51
	;; [unrolled: 1-line block ×6, first 2 shown]
	v_mov_b32_e32 v49, v48
	v_dual_mov_b32 v13, v14 :: v_dual_mov_b32 v14, v37
	v_dual_mov_b32 v25, v26 :: v_dual_mov_b32 v26, v0
; %bb.27:
	s_or_b32 exec_lo, exec_lo, s2
	v_dual_mov_b32 v122, v24 :: v_dual_mov_b32 v119, v21
	v_dual_mov_b32 v86, v24 :: v_dual_mov_b32 v85, v23
	;; [unrolled: 1-line block ×37, first 2 shown]
	s_clause 0x8
	scratch_store_b128 off, v[13:16], off
	scratch_store_b128 off, v[17:20], off offset:16
	scratch_store_b128 off, v[21:24], off offset:32
	scratch_store_b128 off, v[13:16], off offset:48
	scratch_store_b128 off, v[17:20], off offset:64
	scratch_store_b128 off, v[21:24], off offset:80
	scratch_store_b128 off, v[13:16], off offset:96
	scratch_store_b128 off, v[17:20], off offset:112
	scratch_store_b128 off, v[21:24], off offset:128
	v_dual_mov_b32 v72, v34 :: v_dual_mov_b32 v69, v31
	v_dual_mov_b32 v70, v32 :: v_dual_mov_b32 v67, v29
	;; [unrolled: 1-line block ×29, first 2 shown]
	v_mov_b32_e32 v160, v26
	s_clause 0x2
	scratch_store_b128 off, v[25:28], off offset:144
	scratch_store_b128 off, v[29:32], off offset:160
	;; [unrolled: 1-line block ×3, first 2 shown]
	s_mov_b32 s2, exec_lo
	v_dual_mov_b32 v182, v36 :: v_dual_mov_b32 v179, v33
	v_dual_mov_b32 v181, v35 :: v_dual_mov_b32 v180, v34
	;; [unrolled: 1-line block ×6, first 2 shown]
	v_cmpx_lt_f32_e32 v49, v3
	s_cbranch_execz .LBB41_29
; %bb.28:
	v_dual_mov_b32 v182, v36 :: v_dual_mov_b32 v179, v33
	v_dual_mov_b32 v174, v28 :: v_dual_mov_b32 v171, v25
	;; [unrolled: 1-line block ×3, first 2 shown]
	v_mov_b32_e32 v172, v26
	v_dual_mov_b32 v62, v49 :: v_dual_mov_b32 v181, v35
	v_dual_mov_b32 v180, v34 :: v_dual_mov_b32 v177, v31
	;; [unrolled: 1-line block ×11, first 2 shown]
	v_mov_b32_e32 v125, v14
	v_dual_mov_b32 v162, v174 :: v_dual_mov_b32 v163, v175
	v_dual_mov_b32 v164, v176 :: v_dual_mov_b32 v165, v177
	;; [unrolled: 1-line block ×5, first 2 shown]
	v_mov_b32_e32 v162, v28
	v_dual_mov_b32 v170, v182 :: v_dual_mov_b32 v37, v159
	s_clause 0x2
	scratch_store_b128 off, v[123:126], off offset:96
	scratch_store_b128 off, v[127:130], off offset:112
	;; [unrolled: 1-line block ×3, first 2 shown]
	v_dual_mov_b32 v42, v164 :: v_dual_mov_b32 v47, v169
	v_dual_mov_b32 v126, v16 :: v_dual_mov_b32 v45, v167
	;; [unrolled: 1-line block ×5, first 2 shown]
	v_mov_b32_e32 v38, v160
	v_mov_b32_e32 v40, v162
	s_clause 0x2
	scratch_store_b128 off, v[37:40], off offset:144
	scratch_store_b128 off, v[41:44], off offset:160
	;; [unrolled: 1-line block ×3, first 2 shown]
	v_dual_mov_b32 v2, v3 :: v_dual_mov_b32 v3, v49
	v_mov_b32_e32 v147, v159
	v_mov_b32_e32 v127, v17
	;; [unrolled: 1-line block ×3, first 2 shown]
	v_dual_mov_b32 v151, v163 :: v_dual_mov_b32 v148, v160
	v_dual_mov_b32 v153, v165 :: v_dual_mov_b32 v152, v164
	;; [unrolled: 1-line block ×3, first 2 shown]
	v_mov_b32_e32 v158, v170
	v_dual_mov_b32 v150, v162 :: v_dual_mov_b32 v155, v167
	v_mov_b32_e32 v156, v168
	v_mov_b32_e32 v152, v30
	;; [unrolled: 1-line block ×3, first 2 shown]
	v_dual_mov_b32 v27, v26 :: v_dual_mov_b32 v42, v128
	v_mov_b32_e32 v37, v123
	v_dual_mov_b32 v43, v129 :: v_dual_mov_b32 v44, v130
	v_mov_b32_e32 v39, v125
	v_dual_mov_b32 v45, v131 :: v_dual_mov_b32 v46, v132
	v_dual_mov_b32 v47, v133 :: v_dual_mov_b32 v48, v134
	v_mov_b32_e32 v38, v124
	v_mov_b32_e32 v40, v126
	s_clause 0x2
	scratch_store_b128 off, v[37:40], off offset:48
	scratch_store_b128 off, v[41:44], off offset:64
	;; [unrolled: 1-line block ×3, first 2 shown]
	v_mov_b32_e32 v37, v123
	v_mov_b32_e32 v39, v125
	v_dual_mov_b32 v41, v127 :: v_dual_mov_b32 v38, v124
	v_mov_b32_e32 v99, v147
	v_mov_b32_e32 v105, v153
	v_dual_mov_b32 v105, v31 :: v_dual_mov_b32 v106, v154
	v_dual_mov_b32 v40, v126 :: v_dual_mov_b32 v101, v149
	;; [unrolled: 1-line block ×3, first 2 shown]
	v_mov_b32_e32 v110, v158
	v_mov_b32_e32 v50, v123
	v_dual_mov_b32 v100, v148 :: v_dual_mov_b32 v107, v155
	v_dual_mov_b32 v102, v150 :: v_dual_mov_b32 v109, v157
	;; [unrolled: 1-line block ×7, first 2 shown]
	v_mov_b32_e32 v58, v131
	v_mov_b32_e32 v56, v19
	s_clause 0x2
	scratch_store_b128 off, v[37:40], off
	scratch_store_b128 off, v[41:44], off offset:16
	scratch_store_b128 off, v[45:48], off offset:32
	v_dual_mov_b32 v60, v133 :: v_dual_mov_b32 v55, v128
	v_mov_b32_e32 v37, v99
	v_mov_b32_e32 v41, v103
	;; [unrolled: 1-line block ×3, first 2 shown]
	v_dual_mov_b32 v43, v105 :: v_dual_mov_b32 v48, v110
	v_dual_mov_b32 v38, v100 :: v_dual_mov_b32 v45, v107
	v_mov_b32_e32 v44, v106
	v_dual_mov_b32 v122, v61 :: v_dual_mov_b32 v113, v52
	v_dual_mov_b32 v40, v102 :: v_dual_mov_b32 v47, v109
	;; [unrolled: 1-line block ×7, first 2 shown]
	v_mov_b32_e32 v114, v53
	v_mov_b32_e32 v116, v55
	;; [unrolled: 1-line block ×4, first 2 shown]
	v_dual_mov_b32 v98, v48 :: v_dual_mov_b32 v95, v45
	v_mov_b32_e32 v95, v33
	v_mov_b32_e32 v93, v43
	;; [unrolled: 1-line block ×4, first 2 shown]
	v_dual_mov_b32 v87, v37 :: v_dual_mov_b32 v146, v122
	v_dual_mov_b32 v137, v113 :: v_dual_mov_b32 v96, v46
	;; [unrolled: 1-line block ×3, first 2 shown]
	v_mov_b32_e32 v135, v111
	v_dual_mov_b32 v97, v47 :: v_dual_mov_b32 v94, v44
	v_dual_mov_b32 v92, v42 :: v_dual_mov_b32 v143, v119
	;; [unrolled: 1-line block ×4, first 2 shown]
	v_mov_b32_e32 v138, v114
	v_dual_mov_b32 v142, v118 :: v_dual_mov_b32 v143, v21
	v_dual_mov_b32 v140, v116 :: v_dual_mov_b32 v63, v87
	;; [unrolled: 1-line block ×8, first 2 shown]
	v_mov_b32_e32 v86, v146
	v_dual_mov_b32 v64, v88 :: v_dual_mov_b32 v69, v93
	v_dual_mov_b32 v66, v90 :: v_dual_mov_b32 v71, v95
	;; [unrolled: 1-line block ×7, first 2 shown]
	v_mov_b32_e32 v82, v142
	v_mov_b32_e32 v84, v22
	;; [unrolled: 1-line block ×3, first 2 shown]
.LBB41_29:
	s_or_b32 exec_lo, exec_lo, s2
	v_mov_b32_e32 v13, v4
	s_mov_b32 s2, exec_lo
	v_cmpx_lt_f32_e32 v62, v4
	s_cbranch_execz .LBB41_31
; %bb.30:
	s_clause 0x2
	scratch_load_b128 v[37:40], off, off offset:96
	scratch_load_b128 v[41:44], off, off offset:112
	;; [unrolled: 1-line block ×3, first 2 shown]
	v_dual_mov_b32 v173, v28 :: v_dual_mov_b32 v28, v27
	v_mov_b32_e32 v3, v4
	s_waitcnt vmcnt(0)
	v_dual_mov_b32 v13, v62 :: v_dual_mov_b32 v134, v48
	v_dual_mov_b32 v133, v47 :: v_dual_mov_b32 v124, v38
	;; [unrolled: 1-line block ×3, first 2 shown]
	v_mov_b32_e32 v125, v16
	v_dual_mov_b32 v159, v171 :: v_dual_mov_b32 v160, v172
	s_delay_alu instid0(VALU_DEP_3) | instskip(NEXT) | instid1(VALU_DEP_3)
	v_dual_mov_b32 v162, v174 :: v_dual_mov_b32 v37, v123
	v_dual_mov_b32 v38, v124 :: v_dual_mov_b32 v39, v125
	;; [unrolled: 1-line block ×5, first 2 shown]
	v_mov_b32_e32 v126, v15
	s_clause 0x2
	scratch_store_b128 off, v[37:40], off offset:96
	scratch_store_b128 off, v[41:44], off offset:112
	;; [unrolled: 1-line block ×3, first 2 shown]
	v_dual_mov_b32 v161, v173 :: v_dual_mov_b32 v164, v176
	v_dual_mov_b32 v167, v179 :: v_dual_mov_b32 v170, v182
	;; [unrolled: 1-line block ×5, first 2 shown]
	s_delay_alu instid0(VALU_DEP_2) | instskip(SKIP_2) | instid1(VALU_DEP_4)
	v_dual_mov_b32 v42, v164 :: v_dual_mov_b32 v43, v165
	v_dual_mov_b32 v48, v170 :: v_dual_mov_b32 v37, v159
	;; [unrolled: 1-line block ×6, first 2 shown]
	s_clause 0x2
	scratch_store_b128 off, v[37:40], off offset:144
	scratch_store_b128 off, v[41:44], off offset:160
	;; [unrolled: 1-line block ×3, first 2 shown]
	v_dual_mov_b32 v42, v128 :: v_dual_mov_b32 v43, v129
	v_dual_mov_b32 v48, v134 :: v_dual_mov_b32 v37, v123
	;; [unrolled: 1-line block ×6, first 2 shown]
	s_clause 0x2
	scratch_store_b128 off, v[37:40], off offset:48
	scratch_store_b128 off, v[41:44], off offset:64
	;; [unrolled: 1-line block ×3, first 2 shown]
	v_dual_mov_b32 v147, v159 :: v_dual_mov_b32 v148, v160
	v_dual_mov_b32 v151, v163 :: v_dual_mov_b32 v152, v164
	;; [unrolled: 1-line block ×10, first 2 shown]
	s_delay_alu instid0(VALU_DEP_4)
	v_dual_mov_b32 v106, v154 :: v_dual_mov_b32 v107, v155
	v_mov_b32_e32 v110, v158
	v_dual_mov_b32 v100, v148 :: v_dual_mov_b32 v101, v149
	v_dual_mov_b32 v104, v152 :: v_dual_mov_b32 v105, v153
	;; [unrolled: 1-line block ×5, first 2 shown]
	v_mov_b32_e32 v61, v134
	s_clause 0x2
	scratch_store_b128 off, v[37:40], off
	scratch_store_b128 off, v[41:44], off offset:16
	scratch_store_b128 off, v[45:48], off offset:32
	v_dual_mov_b32 v54, v127 :: v_dual_mov_b32 v55, v128
	v_dual_mov_b32 v56, v129 :: v_dual_mov_b32 v57, v130
	;; [unrolled: 1-line block ×8, first 2 shown]
	v_mov_b32_e32 v48, v110
	v_mov_b32_e32 v44, v32
	v_dual_mov_b32 v42, v104 :: v_dual_mov_b32 v43, v105
	v_dual_mov_b32 v46, v108 :: v_dual_mov_b32 v47, v109
	;; [unrolled: 1-line block ×9, first 2 shown]
	v_mov_b32_e32 v114, v53
	v_mov_b32_e32 v112, v51
	v_dual_mov_b32 v98, v48 :: v_dual_mov_b32 v91, v41
	v_dual_mov_b32 v94, v44 :: v_dual_mov_b32 v87, v37
	;; [unrolled: 1-line block ×3, first 2 shown]
	v_mov_b32_e32 v89, v39
	v_mov_b32_e32 v95, v45
	v_dual_mov_b32 v93, v43 :: v_dual_mov_b32 v146, v122
	v_dual_mov_b32 v143, v119 :: v_dual_mov_b32 v140, v116
	;; [unrolled: 1-line block ×15, first 2 shown]
	v_mov_b32_e32 v86, v146
	v_dual_mov_b32 v64, v88 :: v_dual_mov_b32 v65, v89
	v_dual_mov_b32 v66, v90 :: v_dual_mov_b32 v67, v91
	;; [unrolled: 1-line block ×8, first 2 shown]
	v_mov_b32_e32 v84, v22
	v_mov_b32_e32 v86, v24
.LBB41_31:
	s_or_b32 exec_lo, exec_lo, s2
	v_mov_b32_e32 v14, v5
	s_mov_b32 s2, exec_lo
	v_cmpx_lt_f32_e32 v13, v5
	s_cbranch_execz .LBB41_33
; %bb.32:
	s_clause 0x2
	scratch_load_b128 v[37:40], off, off offset:96
	scratch_load_b128 v[41:44], off, off offset:112
	;; [unrolled: 1-line block ×3, first 2 shown]
	v_mov_b32_e32 v174, v29
	v_mov_b32_e32 v14, v13
	;; [unrolled: 1-line block ×3, first 2 shown]
	v_dual_mov_b32 v17, v16 :: v_dual_mov_b32 v4, v5
	v_mov_b32_e32 v29, v28
	s_waitcnt vmcnt(0)
	v_dual_mov_b32 v73, v48 :: v_dual_mov_b32 v64, v39
	v_dual_mov_b32 v70, v45 :: v_dual_mov_b32 v69, v44
	;; [unrolled: 1-line block ×18, first 2 shown]
	v_mov_b32_e32 v127, v16
	v_dual_mov_b32 v147, v159 :: v_dual_mov_b32 v148, v160
	v_dual_mov_b32 v149, v161 :: v_dual_mov_b32 v152, v164
	v_dual_mov_b32 v153, v165 :: v_dual_mov_b32 v156, v168
	v_dual_mov_b32 v155, v167 :: v_dual_mov_b32 v158, v170
	v_dual_mov_b32 v157, v169 :: v_dual_mov_b32 v152, v30
	v_dual_mov_b32 v151, v163 :: v_dual_mov_b32 v154, v166
	v_dual_mov_b32 v150, v162 :: v_dual_mov_b32 v43, v129
	v_dual_mov_b32 v44, v130 :: v_dual_mov_b32 v37, v123
	v_dual_mov_b32 v38, v124 :: v_dual_mov_b32 v45, v131
	v_dual_mov_b32 v46, v132 :: v_dual_mov_b32 v47, v133
	v_dual_mov_b32 v48, v134 :: v_dual_mov_b32 v39, v125
	v_dual_mov_b32 v40, v126 :: v_dual_mov_b32 v41, v127
	v_dual_mov_b32 v128, v18 :: v_dual_mov_b32 v99, v147
	v_dual_mov_b32 v100, v148 :: v_dual_mov_b32 v105, v153
	v_dual_mov_b32 v106, v154 :: v_dual_mov_b32 v109, v157
	v_dual_mov_b32 v110, v158 :: v_dual_mov_b32 v103, v151
	v_dual_mov_b32 v104, v152 :: v_dual_mov_b32 v105, v31
	v_dual_mov_b32 v5, v13 :: v_dual_mov_b32 v50, v123
	v_dual_mov_b32 v107, v155 :: v_dual_mov_b32 v108, v156
	v_mov_b32_e32 v61, v134
	s_clause 0x2
	scratch_store_b128 off, v[37:40], off
	scratch_store_b128 off, v[41:44], off offset:16
	scratch_store_b128 off, v[45:48], off offset:32
	v_dual_mov_b32 v53, v126 :: v_dual_mov_b32 v54, v127
	v_dual_mov_b32 v101, v149 :: v_dual_mov_b32 v102, v150
	;; [unrolled: 1-line block ×10, first 2 shown]
	v_mov_b32_e32 v46, v108
	v_dual_mov_b32 v122, v61 :: v_dual_mov_b32 v121, v60
	v_dual_mov_b32 v43, v105 :: v_dual_mov_b32 v44, v106
	;; [unrolled: 1-line block ×8, first 2 shown]
	v_mov_b32_e32 v112, v51
	v_mov_b32_e32 v118, v20
	v_dual_mov_b32 v98, v48 :: v_dual_mov_b32 v93, v43
	v_dual_mov_b32 v92, v42 :: v_dual_mov_b32 v87, v37
	v_mov_b32_e32 v97, v47
	v_dual_mov_b32 v95, v45 :: v_dual_mov_b32 v146, v122
	v_dual_mov_b32 v143, v119 :: v_dual_mov_b32 v138, v114
	;; [unrolled: 1-line block ×7, first 2 shown]
	v_mov_b32_e32 v89, v39
	s_clause 0x5
	scratch_store_b128 off, v[62:65], off offset:48
	scratch_store_b128 off, v[66:69], off offset:64
	;; [unrolled: 1-line block ×6, first 2 shown]
	v_dual_mov_b32 v142, v118 :: v_dual_mov_b32 v139, v115
	v_dual_mov_b32 v140, v116 :: v_dual_mov_b32 v137, v113
	v_dual_mov_b32 v136, v112 :: v_dual_mov_b32 v143, v21
	v_dual_mov_b32 v63, v87 :: v_dual_mov_b32 v64, v88
	v_dual_mov_b32 v73, v97 :: v_dual_mov_b32 v74, v98
	v_dual_mov_b32 v74, v36 :: v_dual_mov_b32 v75, v135
	v_dual_mov_b32 v71, v95 :: v_dual_mov_b32 v72, v96
	v_dual_mov_b32 v84, v144 :: v_dual_mov_b32 v85, v145
	v_dual_mov_b32 v86, v146 :: v_dual_mov_b32 v85, v23
	v_dual_mov_b32 v65, v89 :: v_dual_mov_b32 v66, v90
	v_dual_mov_b32 v67, v91 :: v_dual_mov_b32 v68, v92
	v_dual_mov_b32 v69, v93 :: v_dual_mov_b32 v70, v94
	v_dual_mov_b32 v72, v34 :: v_dual_mov_b32 v73, v35
	v_dual_mov_b32 v76, v136 :: v_dual_mov_b32 v77, v137
	v_dual_mov_b32 v78, v138 :: v_dual_mov_b32 v79, v139
	v_dual_mov_b32 v80, v140 :: v_dual_mov_b32 v81, v141
	v_dual_mov_b32 v82, v142 :: v_dual_mov_b32 v83, v143
	v_mov_b32_e32 v84, v22
	v_mov_b32_e32 v86, v24
.LBB41_33:
	s_or_b32 exec_lo, exec_lo, s2
	v_mov_b32_e32 v13, v6
	s_mov_b32 s2, exec_lo
	v_cmpx_lt_f32_e32 v14, v6
	s_cbranch_execz .LBB41_35
; %bb.34:
	s_clause 0x2
	scratch_load_b128 v[37:40], off, off offset:144
	scratch_load_b128 v[41:44], off, off offset:160
	;; [unrolled: 1-line block ×3, first 2 shown]
	v_mov_b32_e32 v5, v6
	s_waitcnt vmcnt(0)
	v_dual_mov_b32 v13, v14 :: v_dual_mov_b32 v170, v48
	v_dual_mov_b32 v169, v47 :: v_dual_mov_b32 v162, v40
	;; [unrolled: 1-line block ×6, first 2 shown]
	s_clause 0x2
	scratch_load_b128 v[37:40], off, off offset:48
	scratch_load_b128 v[41:44], off, off offset:64
	;; [unrolled: 1-line block ×3, first 2 shown]
	v_dual_mov_b32 v163, v30 :: v_dual_mov_b32 v30, v29
	s_waitcnt vmcnt(0)
	v_dual_mov_b32 v73, v48 :: v_dual_mov_b32 v72, v47
	v_dual_mov_b32 v65, v40 :: v_dual_mov_b32 v62, v37
	v_mov_b32_e32 v63, v38
	v_dual_mov_b32 v67, v42 :: v_dual_mov_b32 v64, v39
	v_dual_mov_b32 v71, v46 :: v_dual_mov_b32 v70, v45
	;; [unrolled: 1-line block ×4, first 2 shown]
	v_mov_b32_e32 v148, v160
	v_dual_mov_b32 v134, v73 :: v_dual_mov_b32 v133, v72
	v_dual_mov_b32 v124, v63 :: v_dual_mov_b32 v123, v62
	;; [unrolled: 1-line block ×11, first 2 shown]
	v_mov_b32_e32 v128, v17
	v_mov_b32_e32 v152, v29
	v_dual_mov_b32 v50, v123 :: v_dual_mov_b32 v51, v124
	v_mov_b32_e32 v99, v147
	s_delay_alu instid0(VALU_DEP_3)
	v_dual_mov_b32 v53, v126 :: v_dual_mov_b32 v104, v152
	v_dual_mov_b32 v105, v153 :: v_dual_mov_b32 v100, v148
	;; [unrolled: 1-line block ×7, first 2 shown]
	v_mov_b32_e32 v57, v130
	v_dual_mov_b32 v102, v150 :: v_dual_mov_b32 v103, v151
	v_dual_mov_b32 v108, v156 :: v_dual_mov_b32 v109, v157
	;; [unrolled: 1-line block ×3, first 2 shown]
	v_mov_b32_e32 v58, v131
	v_mov_b32_e32 v56, v19
	v_dual_mov_b32 v37, v99 :: v_dual_mov_b32 v38, v100
	v_mov_b32_e32 v39, v101
	v_dual_mov_b32 v43, v105 :: v_dual_mov_b32 v48, v110
	s_delay_alu instid0(VALU_DEP_4)
	v_dual_mov_b32 v122, v61 :: v_dual_mov_b32 v117, v56
	v_dual_mov_b32 v42, v104 :: v_dual_mov_b32 v45, v107
	;; [unrolled: 1-line block ×9, first 2 shown]
	v_mov_b32_e32 v118, v20
	v_mov_b32_e32 v44, v32
	;; [unrolled: 1-line block ×3, first 2 shown]
	v_dual_mov_b32 v98, v48 :: v_dual_mov_b32 v95, v45
	v_dual_mov_b32 v146, v122 :: v_dual_mov_b32 v145, v121
	s_delay_alu instid0(VALU_DEP_4)
	v_dual_mov_b32 v94, v44 :: v_dual_mov_b32 v87, v37
	v_dual_mov_b32 v97, v47 :: v_dual_mov_b32 v144, v120
	v_dual_mov_b32 v135, v111 :: v_dual_mov_b32 v96, v46
	v_dual_mov_b32 v89, v39 :: v_dual_mov_b32 v92, v42
	v_dual_mov_b32 v143, v119 :: v_dual_mov_b32 v6, v14
	v_mov_b32_e32 v93, v43
	v_dual_mov_b32 v91, v41 :: v_dual_mov_b32 v90, v40
	v_dual_mov_b32 v141, v117 :: v_dual_mov_b32 v88, v38
	;; [unrolled: 1-line block ×6, first 2 shown]
	s_clause 0x2
	scratch_store_b128 off, v[62:65], off
	scratch_store_b128 off, v[66:69], off offset:16
	scratch_store_b128 off, v[70:73], off offset:32
	v_dual_mov_b32 v63, v87 :: v_dual_mov_b32 v74, v98
	v_dual_mov_b32 v75, v135 :: v_dual_mov_b32 v72, v96
	;; [unrolled: 1-line block ×14, first 2 shown]
	v_mov_b32_e32 v84, v22
	v_mov_b32_e32 v86, v24
	v_mov_b32_e32 v18, v17
.LBB41_35:
	s_or_b32 exec_lo, exec_lo, s2
	v_mov_b32_e32 v14, v7
	s_mov_b32 s2, exec_lo
	v_cmpx_lt_f32_e32 v13, v7
	s_cbranch_execz .LBB41_37
; %bb.36:
	s_clause 0x2
	scratch_load_b128 v[37:40], off, off
	scratch_load_b128 v[41:44], off, off offset:16
	scratch_load_b128 v[45:48], off, off offset:32
	v_mov_b32_e32 v164, v31
	v_dual_mov_b32 v14, v13 :: v_dual_mov_b32 v31, v30
	s_waitcnt vmcnt(0)
	v_dual_mov_b32 v134, v48 :: v_dual_mov_b32 v133, v47
	v_dual_mov_b32 v130, v44 :: v_dual_mov_b32 v127, v41
	;; [unrolled: 1-line block ×5, first 2 shown]
	v_mov_b32_e32 v125, v39
	v_dual_mov_b32 v99, v159 :: v_dual_mov_b32 v100, v160
	v_dual_mov_b32 v128, v19 :: v_dual_mov_b32 v101, v161
	v_mov_b32_e32 v110, v170
	v_dual_mov_b32 v50, v123 :: v_dual_mov_b32 v53, v126
	v_dual_mov_b32 v106, v166 :: v_dual_mov_b32 v107, v167
	;; [unrolled: 1-line block ×19, first 2 shown]
	v_mov_b32_e32 v47, v109
	v_dual_mov_b32 v114, v53 :: v_dual_mov_b32 v111, v50
	v_mov_b32_e32 v118, v20
	v_dual_mov_b32 v120, v59 :: v_dual_mov_b32 v117, v56
	v_dual_mov_b32 v116, v55 :: v_dual_mov_b32 v113, v52
	v_mov_b32_e32 v44, v32
	v_mov_b32_e32 v112, v51
	v_dual_mov_b32 v98, v48 :: v_dual_mov_b32 v95, v45
	v_dual_mov_b32 v146, v122 :: v_dual_mov_b32 v145, v121
	;; [unrolled: 1-line block ×8, first 2 shown]
	v_mov_b32_e32 v89, v39
	v_dual_mov_b32 v93, v43 :: v_dual_mov_b32 v88, v38
	v_dual_mov_b32 v141, v117 :: v_dual_mov_b32 v140, v116
	v_mov_b32_e32 v95, v33
	v_dual_mov_b32 v139, v115 :: v_dual_mov_b32 v138, v114
	v_dual_mov_b32 v143, v21 :: v_dual_mov_b32 v136, v112
	;; [unrolled: 1-line block ×24, first 2 shown]
	v_mov_b32_e32 v158, v170
.LBB41_37:
	s_or_b32 exec_lo, exec_lo, s2
	v_mov_b32_e32 v13, v8
	s_mov_b32 s2, exec_lo
	v_cmpx_lt_f32_e32 v14, v8
	s_cbranch_execz .LBB41_39
; %bb.38:
	v_mov_b32_e32 v129, v20
	v_mov_b32_e32 v153, v32
	v_dual_mov_b32 v111, v123 :: v_dual_mov_b32 v114, v126
	v_dual_mov_b32 v37, v147 :: v_dual_mov_b32 v38, v148
	;; [unrolled: 1-line block ×10, first 2 shown]
	v_mov_b32_e32 v120, v132
	v_dual_mov_b32 v116, v128 :: v_dual_mov_b32 v121, v133
	v_mov_b32_e32 v44, v31
	v_dual_mov_b32 v119, v131 :: v_dual_mov_b32 v98, v48
	v_dual_mov_b32 v118, v19 :: v_dual_mov_b32 v95, v45
	;; [unrolled: 1-line block ×13, first 2 shown]
	v_mov_b32_e32 v95, v33
	v_dual_mov_b32 v7, v8 :: v_dual_mov_b32 v8, v14
	v_mov_b32_e32 v143, v21
	v_dual_mov_b32 v63, v87 :: v_dual_mov_b32 v68, v92
	v_dual_mov_b32 v64, v88 :: v_dual_mov_b32 v75, v135
	v_dual_mov_b32 v80, v140 :: v_dual_mov_b32 v67, v91
	v_dual_mov_b32 v72, v96 :: v_dual_mov_b32 v69, v93
	v_dual_mov_b32 v74, v98 :: v_dual_mov_b32 v73, v97
	v_dual_mov_b32 v78, v138 :: v_dual_mov_b32 v79, v139
	v_dual_mov_b32 v84, v144 :: v_dual_mov_b32 v81, v141
	v_dual_mov_b32 v86, v146 :: v_dual_mov_b32 v85, v145
	v_mov_b32_e32 v74, v36
	v_dual_mov_b32 v50, v123 :: v_dual_mov_b32 v51, v124
	v_dual_mov_b32 v99, v147 :: v_dual_mov_b32 v100, v148
	v_dual_mov_b32 v65, v89 :: v_dual_mov_b32 v70, v94
	v_dual_mov_b32 v66, v90 :: v_dual_mov_b32 v71, v95
	v_dual_mov_b32 v76, v136 :: v_dual_mov_b32 v77, v137
	v_dual_mov_b32 v82, v142 :: v_dual_mov_b32 v83, v143
	v_dual_mov_b32 v72, v34 :: v_dual_mov_b32 v73, v35
	;; [unrolled: 9-line block ×3, first 2 shown]
	v_dual_mov_b32 v105, v153 :: v_dual_mov_b32 v106, v154
	v_dual_mov_b32 v107, v155 :: v_dual_mov_b32 v108, v156
	;; [unrolled: 1-line block ×4, first 2 shown]
	v_mov_b32_e32 v32, v31
.LBB41_39:
	s_or_b32 exec_lo, exec_lo, s2
	v_mov_b32_e32 v14, v9
	s_mov_b32 s2, exec_lo
	v_cmpx_lt_f32_e32 v13, v9
	s_cbranch_execz .LBB41_41
; %bb.40:
	v_mov_b32_e32 v57, v21
	v_mov_b32_e32 v106, v33
	v_dual_mov_b32 v146, v61 :: v_dual_mov_b32 v145, v60
	v_dual_mov_b32 v87, v99 :: v_dual_mov_b32 v90, v102
	v_mov_b32_e32 v88, v100
	v_dual_mov_b32 v136, v51 :: v_dual_mov_b32 v135, v50
	v_dual_mov_b32 v91, v103 :: v_dual_mov_b32 v94, v106
	;; [unrolled: 1-line block ×7, first 2 shown]
	v_mov_b32_e32 v139, v54
	v_dual_mov_b32 v89, v101 :: v_dual_mov_b32 v92, v104
	v_dual_mov_b32 v138, v53 :: v_dual_mov_b32 v137, v52
	;; [unrolled: 1-line block ×3, first 2 shown]
	v_mov_b32_e32 v143, v20
	s_delay_alu instid0(VALU_DEP_4)
	v_dual_mov_b32 v63, v87 :: v_dual_mov_b32 v68, v92
	v_dual_mov_b32 v66, v90 :: v_dual_mov_b32 v75, v135
	;; [unrolled: 1-line block ×8, first 2 shown]
	v_mov_b32_e32 v74, v36
	v_dual_mov_b32 v122, v61 :: v_dual_mov_b32 v121, v60
	v_dual_mov_b32 v37, v99 :: v_dual_mov_b32 v38, v100
	v_dual_mov_b32 v9, v13 :: v_dual_mov_b32 v64, v88
	v_dual_mov_b32 v65, v89 :: v_dual_mov_b32 v70, v94
	v_dual_mov_b32 v71, v95 :: v_dual_mov_b32 v76, v136
	v_dual_mov_b32 v77, v137 :: v_dual_mov_b32 v82, v142
	v_dual_mov_b32 v83, v143 :: v_dual_mov_b32 v72, v34
	v_dual_mov_b32 v73, v35 :: v_dual_mov_b32 v84, v22
	v_dual_mov_b32 v85, v23 :: v_dual_mov_b32 v86, v24
	v_dual_mov_b32 v120, v59 :: v_dual_mov_b32 v119, v58
	v_dual_mov_b32 v118, v57 :: v_dual_mov_b32 v117, v56
	v_dual_mov_b32 v116, v55 :: v_dual_mov_b32 v115, v54
	v_dual_mov_b32 v114, v53 :: v_dual_mov_b32 v113, v52
	v_dual_mov_b32 v112, v51 :: v_dual_mov_b32 v111, v50
	v_dual_mov_b32 v39, v101 :: v_dual_mov_b32 v40, v102
	v_dual_mov_b32 v41, v103 :: v_dual_mov_b32 v42, v104
	v_dual_mov_b32 v43, v105 :: v_dual_mov_b32 v44, v106
	v_dual_mov_b32 v45, v107 :: v_dual_mov_b32 v46, v108
	v_dual_mov_b32 v47, v109 :: v_dual_mov_b32 v48, v110
	v_dual_mov_b32 v14, v13 :: v_dual_mov_b32 v21, v20
	v_mov_b32_e32 v33, v32
.LBB41_41:
	s_or_b32 exec_lo, exec_lo, s2
	v_mov_b32_e32 v15, v10
	s_mov_b32 s2, exec_lo
	v_cmpx_lt_f32_e32 v14, v10
	s_cbranch_execz .LBB41_43
; %bb.42:
	v_mov_b32_e32 v45, v34
	v_dual_mov_b32 v9, v10 :: v_dual_mov_b32 v74, v48
	v_mov_b32_e32 v72, v46
	v_mov_b32_e32 v72, v33
	s_delay_alu instid0(VALU_DEP_4) | instskip(SKIP_4) | instid1(VALU_DEP_4)
	v_mov_b32_e32 v71, v45
	v_dual_mov_b32 v119, v22 :: v_dual_mov_b32 v70, v44
	v_dual_mov_b32 v75, v111 :: v_dual_mov_b32 v78, v114
	;; [unrolled: 1-line block ×27, first 2 shown]
	v_mov_b32_e32 v34, v33
.LBB41_43:
	s_or_b32 exec_lo, exec_lo, s2
	v_mov_b32_e32 v13, v11
	s_mov_b32 s2, exec_lo
	v_cmpx_lt_f32_e32 v15, v11
	s_cbranch_execz .LBB41_45
; %bb.44:
	v_dual_mov_b32 v144, v23 :: v_dual_mov_b32 v145, v22
	v_dual_mov_b32 v96, v35 :: v_dual_mov_b32 v97, v34
	v_mov_b32_e32 v146, v24
	v_mov_b32_e32 v10, v11
	v_dual_mov_b32 v11, v15 :: v_dual_mov_b32 v98, v36
	v_dual_mov_b32 v75, v135 :: v_dual_mov_b32 v84, v144
	;; [unrolled: 1-line block ×3, first 2 shown]
	v_mov_b32_e32 v79, v139
	v_dual_mov_b32 v77, v137 :: v_dual_mov_b32 v78, v138
	v_dual_mov_b32 v81, v141 :: v_dual_mov_b32 v80, v140
	;; [unrolled: 1-line block ×10, first 2 shown]
.LBB41_45:
	s_or_b32 exec_lo, exec_lo, s2
	s_delay_alu instid0(VALU_DEP_1)
	v_cmp_lt_f32_e32 vcc_lo, v13, v12
	v_cmp_lt_f32_e64 s2, v1, v2
	v_dual_mov_b32 v40, v76 :: v_dual_mov_b32 v41, v77
	v_dual_mov_b32 v43, v79 :: v_dual_mov_b32 v44, v80
	v_dual_cndmask_b32 v23, v12, v13 :: v_dual_mov_b32 v42, v78
	v_dual_cndmask_b32 v11, v11, v12 :: v_dual_cndmask_b32 v62, v74, v73
	s_delay_alu instid0(VALU_DEP_2) | instskip(SKIP_3) | instid1(VALU_DEP_4)
	v_dual_cndmask_b32 v49, v85, v86 :: v_dual_mov_b32 v12, v23
	v_dual_cndmask_b32 v61, v73, v74 :: v_dual_cndmask_b32 v50, v86, v85
	v_mov_b32_e32 v39, v75
	v_dual_mov_b32 v45, v81 :: v_dual_mov_b32 v48, v84
	v_dual_mov_b32 v38, v12 :: v_dual_mov_b32 v37, v11
	;; [unrolled: 1-line block ×13, first 2 shown]
	s_and_saveexec_b32 s3, s2
	s_delay_alu instid0(SALU_CYCLE_1)
	s_xor_b32 s2, exec_lo, s3
	s_cbranch_execz .LBB41_47
; %bb.46:
	v_dual_mov_b32 v12, v2 :: v_dual_mov_b32 v13, v1
	v_dual_mov_b32 v14, v3 :: v_dual_mov_b32 v15, v4
	;; [unrolled: 1-line block ×6, first 2 shown]
	s_delay_alu instid0(VALU_DEP_2) | instskip(NEXT) | instid1(VALU_DEP_2)
	v_dual_mov_b32 v38, v23 :: v_dual_mov_b32 v35, v20
	v_dual_mov_b32 v36, v21 :: v_dual_mov_b32 v37, v22
	;; [unrolled: 1-line block ×15, first 2 shown]
	v_mov_b32_e32 v58, v70
	v_mov_b32_e32 v60, v72
.LBB41_47:
	s_or_b32 exec_lo, exec_lo, s2
	v_dual_mov_b32 v1, v29 :: v_dual_mov_b32 v122, v50
	v_dual_mov_b32 v15, v39 :: v_dual_mov_b32 v16, v40
	;; [unrolled: 1-line block ×30, first 2 shown]
	v_mov_b32_e32 v135, v39
	s_clause 0x2
	scratch_store_b128 off, v[39:42], off offset:48
	scratch_store_b128 off, v[43:46], off offset:64
	;; [unrolled: 1-line block ×3, first 2 shown]
	v_dual_mov_b32 v3, v51 :: v_dual_mov_b32 v6, v54
	v_dual_mov_b32 v13, v61 :: v_dual_mov_b32 v74, v62
	;; [unrolled: 1-line block ×34, first 2 shown]
	v_mov_b32_e32 v159, v51
	s_mov_b32 s2, exec_lo
	v_dual_mov_b32 v73, v61 :: v_dual_mov_b32 v72, v60
	v_mov_b32_e32 v4, v52
	s_clause 0x2
	scratch_store_b128 off, v[51:54], off
	scratch_store_b128 off, v[55:58], off offset:16
	scratch_store_b128 off, v[59:62], off offset:32
	v_dual_mov_b32 v182, v50 :: v_dual_mov_b32 v181, v49
	v_dual_mov_b32 v180, v48 :: v_dual_mov_b32 v179, v47
	;; [unrolled: 1-line block ×6, first 2 shown]
	v_cmpx_lt_f32_e32 v2, v29
	s_cbranch_execz .LBB41_49
; %bb.48:
	v_dual_mov_b32 v170, v62 :: v_dual_mov_b32 v169, v61
	v_dual_mov_b32 v162, v54 :: v_dual_mov_b32 v161, v53
	;; [unrolled: 1-line block ×7, first 2 shown]
	s_clause 0x2
	scratch_store_b128 off, v[159:162], off
	scratch_store_b128 off, v[163:166], off offset:16
	scratch_store_b128 off, v[167:170], off offset:32
	v_dual_mov_b32 v182, v50 :: v_dual_mov_b32 v181, v49
	v_dual_mov_b32 v172, v40 :: v_dual_mov_b32 v171, v39
	;; [unrolled: 1-line block ×8, first 2 shown]
	s_delay_alu instid0(VALU_DEP_3)
	v_dual_mov_b32 v140, v176 :: v_dual_mov_b32 v141, v177
	v_dual_mov_b32 v138, v174 :: v_dual_mov_b32 v139, v175
	v_dual_mov_b32 v144, v180 :: v_dual_mov_b32 v145, v181
	v_mov_b32_e32 v146, v182
	v_dual_mov_b32 v136, v172 :: v_dual_mov_b32 v137, v173
	v_mov_b32_e32 v138, v42
	v_dual_mov_b32 v142, v178 :: v_dual_mov_b32 v143, v179
	v_mov_b32_e32 v53, v52
	v_mov_b32_e32 v139, v43
	;; [unrolled: 1-line block ×3, first 2 shown]
	v_dual_mov_b32 v147, v159 :: v_dual_mov_b32 v148, v160
	v_mov_b32_e32 v151, v163
	v_dual_mov_b32 v149, v161 :: v_dual_mov_b32 v150, v162
	v_dual_mov_b32 v153, v165 :: v_dual_mov_b32 v152, v164
	;; [unrolled: 1-line block ×16, first 2 shown]
	v_mov_b32_e32 v122, v146
	v_dual_mov_b32 v114, v138 :: v_dual_mov_b32 v117, v141
	v_dual_mov_b32 v116, v140 :: v_dual_mov_b32 v119, v143
	;; [unrolled: 1-line block ×14, first 2 shown]
	v_mov_b32_e32 v82, v118
	v_dual_mov_b32 v76, v112 :: v_dual_mov_b32 v81, v117
	v_dual_mov_b32 v80, v116 :: v_dual_mov_b32 v85, v121
	;; [unrolled: 1-line block ×6, first 2 shown]
	v_mov_b32_e32 v81, v45
	v_dual_mov_b32 v65, v89 :: v_dual_mov_b32 v72, v96
	v_mov_b32_e32 v29, v2
	s_delay_alu instid0(VALU_DEP_3)
	v_dual_mov_b32 v110, v86 :: v_dual_mov_b32 v105, v81
	v_dual_mov_b32 v70, v94 :: v_dual_mov_b32 v73, v97
	v_dual_mov_b32 v106, v82 :: v_dual_mov_b32 v103, v79
	v_dual_mov_b32 v102, v78 :: v_dual_mov_b32 v99, v75
	v_dual_mov_b32 v64, v88 :: v_dual_mov_b32 v67, v91
	v_dual_mov_b32 v66, v90 :: v_dual_mov_b32 v69, v93
	v_dual_mov_b32 v68, v92 :: v_dual_mov_b32 v71, v95
	v_dual_mov_b32 v74, v98 :: v_dual_mov_b32 v109, v85
	v_dual_mov_b32 v70, v58 :: v_dual_mov_b32 v107, v83
	v_dual_mov_b32 v1, v2 :: v_dual_mov_b32 v108, v84
	v_dual_mov_b32 v104, v80 :: v_dual_mov_b32 v101, v77
	v_mov_b32_e32 v106, v46
	s_clause 0x2
	scratch_store_b128 off, v[3:6], off offset:48
	scratch_store_b128 off, v[7:10], off offset:64
	;; [unrolled: 1-line block ×3, first 2 shown]
	v_dual_mov_b32 v100, v76 :: v_dual_mov_b32 v3, v63
	v_dual_mov_b32 v12, v72 :: v_dual_mov_b32 v5, v65
	;; [unrolled: 1-line block ×16, first 2 shown]
	v_mov_b32_e32 v26, v50
.LBB41_49:
	s_or_b32 exec_lo, exec_lo, s2
	v_mov_b32_e32 v2, v30
	s_mov_b32 s2, exec_lo
	v_cmpx_lt_f32_e32 v1, v30
	s_cbranch_execz .LBB41_51
; %bb.50:
	s_clause 0x2
	scratch_load_b128 v[2:5], off, off
	scratch_load_b128 v[6:9], off, off offset:16
	scratch_load_b128 v[10:13], off, off offset:32
	v_dual_mov_b32 v29, v30 :: v_dual_mov_b32 v30, v1
	v_dual_mov_b32 v161, v54 :: v_dual_mov_b32 v54, v53
	s_waitcnt vmcnt(0)
	v_dual_mov_b32 v170, v13 :: v_dual_mov_b32 v169, v12
	v_mov_b32_e32 v160, v3
	v_dual_mov_b32 v162, v5 :: v_dual_mov_b32 v159, v2
	v_dual_mov_b32 v173, v42 :: v_dual_mov_b32 v168, v11
	;; [unrolled: 1-line block ×3, first 2 shown]
	s_delay_alu instid0(VALU_DEP_3)
	v_dual_mov_b32 v165, v8 :: v_dual_mov_b32 v2, v159
	v_dual_mov_b32 v3, v160 :: v_dual_mov_b32 v4, v161
	v_dual_mov_b32 v164, v7 :: v_dual_mov_b32 v163, v6
	s_clause 0x2
	scratch_store_b128 off, v[2:5], off
	scratch_store_b128 off, v[6:9], off offset:16
	scratch_store_b128 off, v[10:13], off offset:32
	v_dual_mov_b32 v162, v53 :: v_dual_mov_b32 v135, v171
	v_dual_mov_b32 v140, v176 :: v_dual_mov_b32 v141, v177
	;; [unrolled: 1-line block ×14, first 2 shown]
	v_mov_b32_e32 v137, v173
	v_dual_mov_b32 v123, v147 :: v_dual_mov_b32 v126, v150
	v_dual_mov_b32 v124, v148 :: v_dual_mov_b32 v111, v135
	s_delay_alu instid0(VALU_DEP_4)
	v_dual_mov_b32 v112, v136 :: v_dual_mov_b32 v125, v149
	v_dual_mov_b32 v128, v152 :: v_dual_mov_b32 v115, v139
	;; [unrolled: 1-line block ×7, first 2 shown]
	v_mov_b32_e32 v128, v56
	v_dual_mov_b32 v116, v44 :: v_dual_mov_b32 v87, v123
	v_dual_mov_b32 v113, v137 :: v_dual_mov_b32 v114, v138
	;; [unrolled: 1-line block ×21, first 2 shown]
	v_mov_b32_e32 v81, v45
	v_dual_mov_b32 v63, v87 :: v_dual_mov_b32 v66, v90
	v_mov_b32_e32 v64, v88
	v_dual_mov_b32 v110, v86 :: v_dual_mov_b32 v109, v85
	v_dual_mov_b32 v65, v89 :: v_dual_mov_b32 v68, v92
	v_dual_mov_b32 v67, v91 :: v_dual_mov_b32 v70, v94
	v_dual_mov_b32 v71, v95 :: v_dual_mov_b32 v74, v98
	v_dual_mov_b32 v104, v80 :: v_dual_mov_b32 v99, v75
	v_dual_mov_b32 v69, v93 :: v_dual_mov_b32 v72, v96
	v_dual_mov_b32 v73, v97 :: v_dual_mov_b32 v70, v58
	v_dual_mov_b32 v108, v84 :: v_dual_mov_b32 v105, v81
	v_dual_mov_b32 v106, v82 :: v_dual_mov_b32 v101, v77
	v_mov_b32_e32 v102, v78
	v_dual_mov_b32 v42, v41 :: v_dual_mov_b32 v103, v79
	v_mov_b32_e32 v100, v76
	v_mov_b32_e32 v106, v46
	s_clause 0x2
	scratch_store_b128 off, v[2:5], off offset:48
	scratch_store_b128 off, v[6:9], off offset:64
	scratch_store_b128 off, v[10:13], off offset:80
	v_dual_mov_b32 v2, v1 :: v_dual_mov_b32 v107, v83
	v_mov_b32_e32 v3, v63
	v_mov_b32_e32 v5, v65
	v_dual_mov_b32 v7, v67 :: v_dual_mov_b32 v14, v74
	v_dual_mov_b32 v15, v99 :: v_dual_mov_b32 v6, v66
	;; [unrolled: 1-line block ×14, first 2 shown]
	v_mov_b32_e32 v24, v48
	v_mov_b32_e32 v26, v50
.LBB41_51:
	s_or_b32 exec_lo, exec_lo, s2
	v_mov_b32_e32 v1, v31
	s_mov_b32 s2, exec_lo
	v_cmpx_lt_f32_e32 v2, v31
	s_cbranch_execz .LBB41_53
; %bb.52:
	s_clause 0x2
	scratch_load_b128 v[3:6], off, off
	scratch_load_b128 v[7:10], off, off offset:16
	scratch_load_b128 v[11:14], off, off offset:32
	v_dual_mov_b32 v30, v31 :: v_dual_mov_b32 v31, v2
	v_mov_b32_e32 v1, v2
	s_waitcnt vmcnt(0)
	v_dual_mov_b32 v170, v14 :: v_dual_mov_b32 v169, v13
	v_dual_mov_b32 v161, v5 :: v_dual_mov_b32 v160, v4
	;; [unrolled: 1-line block ×5, first 2 shown]
	v_mov_b32_e32 v174, v43
	v_mov_b32_e32 v159, v3
	;; [unrolled: 1-line block ×3, first 2 shown]
	v_dual_mov_b32 v135, v171 :: v_dual_mov_b32 v136, v172
	v_mov_b32_e32 v137, v173
	s_delay_alu instid0(VALU_DEP_4) | instskip(NEXT) | instid1(VALU_DEP_4)
	v_dual_mov_b32 v147, v159 :: v_dual_mov_b32 v148, v160
	v_dual_mov_b32 v149, v161 :: v_dual_mov_b32 v150, v162
	;; [unrolled: 1-line block ×10, first 2 shown]
	v_mov_b32_e32 v139, v42
	v_mov_b32_e32 v151, v54
	v_dual_mov_b32 v146, v182 :: v_dual_mov_b32 v123, v147
	v_dual_mov_b32 v111, v135 :: v_dual_mov_b32 v112, v136
	;; [unrolled: 1-line block ×3, first 2 shown]
	s_delay_alu instid0(VALU_DEP_4)
	v_dual_mov_b32 v124, v148 :: v_dual_mov_b32 v127, v151
	v_dual_mov_b32 v128, v152 :: v_dual_mov_b32 v131, v155
	;; [unrolled: 1-line block ×9, first 2 shown]
	v_mov_b32_e32 v120, v144
	v_dual_mov_b32 v116, v44 :: v_dual_mov_b32 v87, v123
	v_mov_b32_e32 v114, v138
	v_dual_mov_b32 v98, v134 :: v_dual_mov_b32 v75, v111
	v_dual_mov_b32 v88, v124 :: v_dual_mov_b32 v89, v125
	;; [unrolled: 1-line block ×3, first 2 shown]
	v_mov_b32_e32 v86, v122
	v_dual_mov_b32 v90, v126 :: v_dual_mov_b32 v91, v127
	v_dual_mov_b32 v92, v128 :: v_dual_mov_b32 v93, v129
	;; [unrolled: 1-line block ×8, first 2 shown]
	v_mov_b32_e32 v79, v115
	v_mov_b32_e32 v81, v45
	v_dual_mov_b32 v63, v87 :: v_dual_mov_b32 v66, v90
	v_dual_mov_b32 v64, v88 :: v_dual_mov_b32 v73, v97
	;; [unrolled: 1-line block ×9, first 2 shown]
	v_mov_b32_e32 v108, v84
	v_dual_mov_b32 v106, v46 :: v_dual_mov_b32 v3, v63
	v_dual_mov_b32 v105, v81 :: v_dual_mov_b32 v104, v80
	;; [unrolled: 1-line block ×19, first 2 shown]
	v_mov_b32_e32 v26, v50
	v_mov_b32_e32 v43, v42
	;; [unrolled: 1-line block ×3, first 2 shown]
	s_clause 0x2
	scratch_store_b128 off, v[171:174], off offset:48
	scratch_store_b128 off, v[175:178], off offset:64
	;; [unrolled: 1-line block ×3, first 2 shown]
.LBB41_53:
	s_or_b32 exec_lo, exec_lo, s2
	v_mov_b32_e32 v2, v32
	s_mov_b32 s2, exec_lo
	v_cmpx_lt_f32_e32 v1, v32
	s_cbranch_execz .LBB41_55
; %bb.54:
	s_clause 0x2
	scratch_load_b128 v[2:5], off, off offset:48
	scratch_load_b128 v[6:9], off, off offset:64
	;; [unrolled: 1-line block ×3, first 2 shown]
	v_dual_mov_b32 v163, v56 :: v_dual_mov_b32 v56, v55
	s_waitcnt vmcnt(0)
	v_dual_mov_b32 v31, v32 :: v_dual_mov_b32 v146, v13
	v_dual_mov_b32 v138, v5 :: v_dual_mov_b32 v137, v4
	;; [unrolled: 1-line block ×6, first 2 shown]
	v_mov_b32_e32 v139, v44
	v_dual_mov_b32 v123, v159 :: v_dual_mov_b32 v124, v160
	v_dual_mov_b32 v125, v161 :: v_dual_mov_b32 v128, v164
	v_dual_mov_b32 v126, v162 :: v_dual_mov_b32 v131, v167
	v_dual_mov_b32 v134, v170 :: v_dual_mov_b32 v111, v135
	v_dual_mov_b32 v114, v138 :: v_dual_mov_b32 v129, v165
	v_dual_mov_b32 v132, v168 :: v_dual_mov_b32 v133, v169
	v_dual_mov_b32 v112, v136 :: v_dual_mov_b32 v119, v143
	v_dual_mov_b32 v122, v146 :: v_dual_mov_b32 v127, v163
	v_dual_mov_b32 v130, v166 :: v_dual_mov_b32 v113, v137
	v_dual_mov_b32 v116, v140 :: v_dual_mov_b32 v115, v139
	v_dual_mov_b32 v118, v142 :: v_dual_mov_b32 v121, v145
	v_dual_mov_b32 v128, v55 :: v_dual_mov_b32 v117, v141
	v_mov_b32_e32 v120, v144
	v_mov_b32_e32 v116, v43
	v_dual_mov_b32 v87, v123 :: v_dual_mov_b32 v88, v124
	v_dual_mov_b32 v89, v125 :: v_dual_mov_b32 v98, v134
	v_dual_mov_b32 v75, v111 :: v_dual_mov_b32 v96, v132
	v_dual_mov_b32 v97, v133 :: v_dual_mov_b32 v86, v122
	v_dual_mov_b32 v94, v130 :: v_dual_mov_b32 v95, v131
	v_dual_mov_b32 v90, v126 :: v_dual_mov_b32 v91, v127
	v_dual_mov_b32 v92, v128 :: v_dual_mov_b32 v93, v129
	v_dual_mov_b32 v82, v118 :: v_dual_mov_b32 v83, v119
	v_dual_mov_b32 v80, v116 :: v_dual_mov_b32 v81, v117
	v_dual_mov_b32 v84, v120 :: v_dual_mov_b32 v85, v121
	v_dual_mov_b32 v93, v57 :: v_dual_mov_b32 v76, v112
	v_dual_mov_b32 v77, v113 :: v_dual_mov_b32 v78, v114
	v_mov_b32_e32 v79, v115
	v_mov_b32_e32 v81, v45
	v_dual_mov_b32 v63, v87 :: v_dual_mov_b32 v66, v90
	v_dual_mov_b32 v64, v88 :: v_dual_mov_b32 v73, v97
	;; [unrolled: 1-line block ×8, first 2 shown]
	v_mov_b32_e32 v70, v58
	v_dual_mov_b32 v106, v46 :: v_dual_mov_b32 v65, v89
	v_dual_mov_b32 v68, v92 :: v_dual_mov_b32 v105, v81
	;; [unrolled: 1-line block ×4, first 2 shown]
	v_mov_b32_e32 v100, v76
	v_dual_mov_b32 v32, v1 :: v_dual_mov_b32 v3, v63
	v_dual_mov_b32 v14, v74 :: v_dual_mov_b32 v15, v99
	v_mov_b32_e32 v26, v110
	v_dual_mov_b32 v10, v70 :: v_dual_mov_b32 v11, v71
	v_dual_mov_b32 v12, v72 :: v_dual_mov_b32 v13, v73
	;; [unrolled: 1-line block ×20, first 2 shown]
	v_mov_b32_e32 v2, v1
	v_mov_b32_e32 v44, v43
.LBB41_55:
	s_or_b32 exec_lo, exec_lo, s2
	v_mov_b32_e32 v1, v33
	s_mov_b32 s2, exec_lo
	v_cmpx_lt_f32_e32 v2, v33
	s_cbranch_execz .LBB41_57
; %bb.56:
	v_mov_b32_e32 v140, v45
	v_dual_mov_b32 v152, v57 :: v_dual_mov_b32 v75, v135
	v_dual_mov_b32 v87, v147 :: v_dual_mov_b32 v90, v150
	;; [unrolled: 1-line block ×3, first 2 shown]
	s_delay_alu instid0(VALU_DEP_3)
	v_dual_mov_b32 v92, v152 :: v_dual_mov_b32 v93, v153
	v_dual_mov_b32 v76, v136 :: v_dual_mov_b32 v79, v139
	;; [unrolled: 1-line block ×6, first 2 shown]
	v_mov_b32_e32 v93, v56
	v_dual_mov_b32 v84, v144 :: v_dual_mov_b32 v63, v87
	v_dual_mov_b32 v78, v138 :: v_dual_mov_b32 v81, v141
	;; [unrolled: 1-line block ×5, first 2 shown]
	s_delay_alu instid0(VALU_DEP_3) | instskip(SKIP_1) | instid1(VALU_DEP_4)
	v_dual_mov_b32 v110, v86 :: v_dual_mov_b32 v109, v85
	v_dual_mov_b32 v100, v76 :: v_dual_mov_b32 v99, v75
	;; [unrolled: 1-line block ×11, first 2 shown]
	v_mov_b32_e32 v106, v46
	v_dual_mov_b32 v70, v58 :: v_dual_mov_b32 v15, v99
	v_dual_mov_b32 v3, v63 :: v_dual_mov_b32 v24, v108
	;; [unrolled: 1-line block ×3, first 2 shown]
	s_delay_alu instid0(VALU_DEP_3)
	v_dual_mov_b32 v10, v70 :: v_dual_mov_b32 v11, v71
	v_dual_mov_b32 v12, v72 :: v_dual_mov_b32 v13, v73
	;; [unrolled: 1-line block ×26, first 2 shown]
	v_mov_b32_e32 v1, v2
	v_dual_mov_b32 v134, v158 :: v_dual_mov_b32 v45, v44
	v_mov_b32_e32 v57, v56
.LBB41_57:
	s_or_b32 exec_lo, exec_lo, s2
	v_mov_b32_e32 v2, v34
	s_mov_b32 s2, exec_lo
	v_cmpx_lt_f32_e32 v1, v34
	s_cbranch_execz .LBB41_59
; %bb.58:
	v_mov_b32_e32 v129, v58
	v_dual_mov_b32 v63, v123 :: v_dual_mov_b32 v70, v130
	v_dual_mov_b32 v70, v57 :: v_dual_mov_b32 v71, v131
	;; [unrolled: 1-line block ×22, first 2 shown]
	v_mov_b32_e32 v34, v1
	v_dual_mov_b32 v5, v65 :: v_dual_mov_b32 v6, v66
	v_dual_mov_b32 v7, v67 :: v_dual_mov_b32 v8, v68
	;; [unrolled: 1-line block ×20, first 2 shown]
	v_mov_b32_e32 v2, v1
	v_mov_b32_e32 v46, v45
	;; [unrolled: 1-line block ×3, first 2 shown]
.LBB41_59:
	s_or_b32 exec_lo, exec_lo, s2
	v_mov_b32_e32 v1, v35
	s_mov_b32 s2, exec_lo
	v_cmpx_lt_f32_e32 v2, v35
	s_cbranch_execz .LBB41_61
; %bb.60:
	v_mov_b32_e32 v94, v59
	v_dual_mov_b32 v34, v35 :: v_dual_mov_b32 v35, v2
	v_mov_b32_e32 v82, v47
	v_dual_mov_b32 v3, v87 :: v_dual_mov_b32 v4, v88
	v_dual_mov_b32 v12, v96 :: v_dual_mov_b32 v9, v93
	v_dual_mov_b32 v12, v60 :: v_dual_mov_b32 v15, v75
	v_dual_mov_b32 v110, v86 :: v_dual_mov_b32 v105, v81
	v_dual_mov_b32 v8, v92 :: v_dual_mov_b32 v11, v95
	v_dual_mov_b32 v10, v94 :: v_dual_mov_b32 v13, v97
	v_dual_mov_b32 v14, v98 :: v_dual_mov_b32 v13, v61
	v_dual_mov_b32 v20, v80 :: v_dual_mov_b32 v23, v83
	v_dual_mov_b32 v22, v82 :: v_dual_mov_b32 v25, v85
	v_dual_mov_b32 v24, v84 :: v_dual_mov_b32 v23, v46
	v_dual_mov_b32 v26, v86 :: v_dual_mov_b32 v25, v49
	v_dual_mov_b32 v102, v78 :: v_dual_mov_b32 v63, v87
	v_dual_mov_b32 v5, v89 :: v_dual_mov_b32 v6, v90
	v_mov_b32_e32 v7, v91
	v_mov_b32_e32 v11, v58
	v_dual_mov_b32 v14, v62 :: v_dual_mov_b32 v17, v77
	v_dual_mov_b32 v16, v76 :: v_dual_mov_b32 v19, v79
	;; [unrolled: 1-line block ×14, first 2 shown]
	v_mov_b32_e32 v47, v46
	v_mov_b32_e32 v59, v58
	;; [unrolled: 1-line block ×3, first 2 shown]
.LBB41_61:
	s_or_b32 exec_lo, exec_lo, s2
	v_mov_b32_e32 v39, v36
	s_mov_b32 s2, exec_lo
	v_cmpx_lt_f32_e32 v1, v36
	s_cbranch_execz .LBB41_63
; %bb.62:
	v_dual_mov_b32 v71, v60 :: v_dual_mov_b32 v72, v59
	v_dual_mov_b32 v73, v61 :: v_dual_mov_b32 v108, v47
	;; [unrolled: 1-line block ×17, first 2 shown]
	v_mov_b32_e32 v39, v1
.LBB41_63:
	s_or_b32 exec_lo, exec_lo, s2
	s_delay_alu instid0(VALU_DEP_1)
	v_cmp_lt_f32_e32 vcc_lo, v39, v37
	v_dual_mov_b32 v40, v28 :: v_dual_mov_b32 v43, v31
	v_dual_mov_b32 v42, v30 :: v_dual_mov_b32 v45, v33
	v_dual_cndmask_b32 v1, v25, v24 :: v_dual_cndmask_b32 v24, v24, v25
	v_cndmask_b32_e32 v2, v13, v12, vcc_lo
	v_dual_cndmask_b32 v12, v12, v13 :: v_dual_cndmask_b32 v49, v37, v39
	v_dual_cndmask_b32 v48, v36, v37 :: v_dual_mov_b32 v41, v29
	v_dual_mov_b32 v39, v27 :: v_dual_mov_b32 v44, v32
	v_dual_mov_b32 v47, v35 :: v_dual_mov_b32 v46, v34
	v_mov_b32_e32 v50, v38
	s_mov_b32 s2, exec_lo
	v_cmpx_lt_f32_e32 v27, v28
	s_cbranch_execz .LBB41_65
; %bb.64:
	v_dual_mov_b32 v28, v40 :: v_dual_mov_b32 v29, v39
	v_dual_mov_b32 v38, v49 :: v_dual_mov_b32 v39, v50
	;; [unrolled: 1-line block ×6, first 2 shown]
	v_mov_b32_e32 v50, v39
	v_mov_b32_e32 v13, v15
	v_dual_mov_b32 v25, v3 :: v_dual_mov_b32 v44, v33
	v_swap_b32 v15, v16
	v_swap_b32 v3, v4
	v_dual_mov_b32 v49, v38 :: v_dual_mov_b32 v46, v35
	v_dual_mov_b32 v48, v37 :: v_dual_mov_b32 v47, v36
	;; [unrolled: 1-line block ×4, first 2 shown]
	v_mov_b32_e32 v41, v30
	v_dual_mov_b32 v39, v28 :: v_dual_mov_b32 v28, v27
.LBB41_65:
	s_or_b32 exec_lo, exec_lo, s2
	v_mov_b32_e32 v13, v2
	v_dual_mov_b32 v25, v1 :: v_dual_mov_b32 v62, v14
	v_dual_mov_b32 v74, v26 :: v_dual_mov_b32 v63, v15
	v_mov_b32_e32 v86, v26
	v_dual_mov_b32 v72, v24 :: v_dual_mov_b32 v75, v15
	v_dual_mov_b32 v110, v26 :: v_dual_mov_b32 v53, v5
	;; [unrolled: 1-line block ×61, first 2 shown]
	v_mov_b32_e32 v149, v5
	v_mov_b32_e32 v147, v3
	;; [unrolled: 1-line block ×3, first 2 shown]
	s_mov_b32 s2, exec_lo
	v_dual_mov_b32 v85, v25 :: v_dual_mov_b32 v84, v24
	v_dual_mov_b32 v83, v23 :: v_dual_mov_b32 v82, v22
	s_clause 0x2
	scratch_store_b128 off, v[3:6], off
	scratch_store_b128 off, v[7:10], off offset:16
	scratch_store_b128 off, v[11:14], off offset:32
	v_cmpx_lt_f32_e32 v28, v41
	s_cbranch_execz .LBB41_67
; %bb.66:
	v_dual_mov_b32 v158, v14 :: v_dual_mov_b32 v157, v13
	v_dual_mov_b32 v150, v6 :: v_dual_mov_b32 v149, v5
	;; [unrolled: 1-line block ×7, first 2 shown]
	s_clause 0x2
	scratch_store_b128 off, v[147:150], off
	scratch_store_b128 off, v[151:154], off offset:16
	scratch_store_b128 off, v[155:158], off offset:32
	v_dual_mov_b32 v182, v26 :: v_dual_mov_b32 v181, v25
	v_dual_mov_b32 v172, v16 :: v_dual_mov_b32 v171, v15
	v_dual_mov_b32 v176, v20 :: v_dual_mov_b32 v175, v19
	v_dual_mov_b32 v174, v18 :: v_dual_mov_b32 v173, v17
	v_dual_mov_b32 v172, v17 :: v_dual_mov_b32 v173, v16
	v_dual_mov_b32 v180, v24 :: v_dual_mov_b32 v179, v23
	v_dual_mov_b32 v178, v22 :: v_dual_mov_b32 v177, v21
	v_dual_mov_b32 v150, v6 :: v_dual_mov_b32 v159, v171
	s_delay_alu instid0(VALU_DEP_4) | instskip(SKIP_1) | instid1(VALU_DEP_4)
	v_dual_mov_b32 v160, v172 :: v_dual_mov_b32 v161, v173
	v_dual_mov_b32 v162, v174 :: v_dual_mov_b32 v163, v175
	;; [unrolled: 1-line block ×4, first 2 shown]
	v_mov_b32_e32 v170, v182
	v_dual_mov_b32 v166, v178 :: v_dual_mov_b32 v167, v179
	v_mov_b32_e32 v162, v18
	v_dual_mov_b32 v40, v41 :: v_dual_mov_b32 v41, v28
	v_mov_b32_e32 v5, v4
	v_mov_b32_e32 v17, v16
	;; [unrolled: 1-line block ×3, first 2 shown]
	v_dual_mov_b32 v137, v149 :: v_dual_mov_b32 v144, v156
	v_dual_mov_b32 v123, v159 :: v_dual_mov_b32 v136, v148
	;; [unrolled: 1-line block ×12, first 2 shown]
	v_mov_b32_e32 v133, v169
	v_dual_mov_b32 v111, v135 :: v_dual_mov_b32 v112, v136
	v_dual_mov_b32 v99, v123 :: v_dual_mov_b32 v100, v124
	;; [unrolled: 1-line block ×12, first 2 shown]
	v_mov_b32_e32 v104, v20
	v_dual_mov_b32 v116, v8 :: v_dual_mov_b32 v75, v99
	v_mov_b32_e32 v87, v111
	v_dual_mov_b32 v93, v117 :: v_dual_mov_b32 v78, v102
	s_delay_alu instid0(VALU_DEP_3)
	v_dual_mov_b32 v81, v105 :: v_dual_mov_b32 v92, v116
	v_dual_mov_b32 v90, v114 :: v_dual_mov_b32 v91, v115
	;; [unrolled: 1-line block ×11, first 2 shown]
	v_mov_b32_e32 v51, v87
	v_dual_mov_b32 v63, v75 :: v_dual_mov_b32 v66, v78
	v_dual_mov_b32 v55, v91 :: v_dual_mov_b32 v58, v94
	v_dual_mov_b32 v57, v93 :: v_dual_mov_b32 v60, v96
	v_dual_mov_b32 v59, v95 :: v_dual_mov_b32 v62, v98
	v_dual_mov_b32 v61, v97 :: v_dual_mov_b32 v64, v76
	v_dual_mov_b32 v67, v79 :: v_dual_mov_b32 v70, v82
	v_dual_mov_b32 v69, v81 :: v_dual_mov_b32 v72, v84
	v_dual_mov_b32 v71, v83 :: v_dual_mov_b32 v74, v86
	v_dual_mov_b32 v73, v85 :: v_dual_mov_b32 v58, v10
	v_dual_mov_b32 v13, v28 :: v_dual_mov_b32 v54, v90
	v_dual_mov_b32 v52, v88 :: v_dual_mov_b32 v53, v89
	v_dual_mov_b32 v56, v92 :: v_dual_mov_b32 v65, v77
	v_dual_mov_b32 v68, v80 :: v_dual_mov_b32 v59, v11
	v_dual_mov_b32 v60, v12 :: v_dual_mov_b32 v61, v2
	v_mov_b32_e32 v72, v24
	v_dual_mov_b32 v62, v14 :: v_dual_mov_b32 v71, v23
	v_dual_mov_b32 v70, v22 :: v_dual_mov_b32 v73, v1
	v_mov_b32_e32 v74, v26
.LBB41_67:
	s_or_b32 exec_lo, exec_lo, s2
	v_mov_b32_e32 v3, v42
	v_cmp_lt_f32_e32 vcc_lo, v13, v42
	s_mov_b32 s2, exec_lo
	s_clause 0x2
	scratch_load_b128 v[27:30], off, off
	scratch_load_b128 v[31:34], off, off offset:16
	scratch_load_b128 v[35:38], off, off offset:32
	s_and_b32 s3, s2, vcc_lo
	s_delay_alu instid0(SALU_CYCLE_1)
	s_mov_b32 exec_lo, s3
	s_cbranch_execz .LBB41_69
; %bb.68:
	v_mov_b32_e32 v173, v18
	s_waitcnt vmcnt(2)
	v_mov_b32_e32 v29, v6
	v_dual_mov_b32 v159, v171 :: v_dual_mov_b32 v160, v172
	s_waitcnt vmcnt(0)
	v_dual_mov_b32 v158, v38 :: v_dual_mov_b32 v157, v37
	v_dual_mov_b32 v156, v36 :: v_dual_mov_b32 v147, v27
	;; [unrolled: 1-line block ×6, first 2 shown]
	v_mov_b32_e32 v168, v180
	v_dual_mov_b32 v164, v176 :: v_dual_mov_b32 v165, v177
	v_dual_mov_b32 v170, v182 :: v_dual_mov_b32 v155, v35
	;; [unrolled: 1-line block ×4, first 2 shown]
	v_mov_b32_e32 v150, v5
	v_mov_b32_e32 v169, v181
	v_dual_mov_b32 v162, v17 :: v_dual_mov_b32 v135, v147
	v_dual_mov_b32 v136, v148 :: v_dual_mov_b32 v123, v159
	;; [unrolled: 1-line block ×13, first 2 shown]
	v_mov_b32_e32 v139, v7
	v_dual_mov_b32 v99, v123 :: v_dual_mov_b32 v100, v124
	v_dual_mov_b32 v111, v135 :: v_dual_mov_b32 v114, v138
	;; [unrolled: 1-line block ×4, first 2 shown]
	v_mov_b32_e32 v120, v144
	v_dual_mov_b32 v104, v128 :: v_dual_mov_b32 v105, v129
	v_dual_mov_b32 v110, v134 :: v_dual_mov_b32 v115, v139
	;; [unrolled: 1-line block ×21, first 2 shown]
	v_mov_b32_e32 v93, v9
	v_dual_mov_b32 v63, v75 :: v_dual_mov_b32 v64, v76
	v_dual_mov_b32 v51, v87 :: v_dual_mov_b32 v54, v90
	;; [unrolled: 1-line block ×3, first 2 shown]
	s_delay_alu instid0(VALU_DEP_4)
	v_dual_mov_b32 v58, v94 :: v_dual_mov_b32 v57, v93
	v_dual_mov_b32 v60, v96 :: v_dual_mov_b32 v59, v95
	;; [unrolled: 1-line block ×9, first 2 shown]
	v_mov_b32_e32 v42, v13
	v_dual_mov_b32 v53, v89 :: v_dual_mov_b32 v56, v92
	v_dual_mov_b32 v68, v80 :: v_dual_mov_b32 v59, v11
	v_mov_b32_e32 v62, v14
	v_dual_mov_b32 v61, v2 :: v_dual_mov_b32 v72, v24
	v_dual_mov_b32 v70, v22 :: v_dual_mov_b32 v71, v23
	;; [unrolled: 1-line block ×3, first 2 shown]
	v_mov_b32_e32 v3, v13
	v_mov_b32_e32 v18, v17
	;; [unrolled: 1-line block ×3, first 2 shown]
.LBB41_69:
	s_or_b32 exec_lo, exec_lo, s2
	v_mov_b32_e32 v4, v43
	s_mov_b32 s2, exec_lo
	v_cmpx_lt_f32_e32 v3, v43
	s_cbranch_execz .LBB41_71
; %bb.70:
	v_mov_b32_e32 v174, v19
	s_waitcnt vmcnt(2)
	v_mov_b32_e32 v30, v7
	v_mov_b32_e32 v123, v171
	s_waitcnt vmcnt(0)
	v_dual_mov_b32 v125, v173 :: v_dual_mov_b32 v146, v38
	s_delay_alu instid0(VALU_DEP_3)
	v_dual_mov_b32 v143, v35 :: v_dual_mov_b32 v138, v30
	v_mov_b32_e32 v135, v27
	v_dual_mov_b32 v145, v37 :: v_dual_mov_b32 v142, v34
	v_dual_mov_b32 v139, v31 :: v_dual_mov_b32 v136, v28
	;; [unrolled: 1-line block ×6, first 2 shown]
	v_mov_b32_e32 v139, v6
	v_dual_mov_b32 v127, v18 :: v_dual_mov_b32 v124, v172
	v_dual_mov_b32 v126, v174 :: v_dual_mov_b32 v129, v177
	;; [unrolled: 1-line block ×15, first 2 shown]
	v_mov_b32_e32 v110, v134
	v_mov_b32_e32 v104, v20
	v_dual_mov_b32 v116, v8 :: v_dual_mov_b32 v75, v99
	v_mov_b32_e32 v87, v111
	v_dual_mov_b32 v93, v117 :: v_dual_mov_b32 v78, v102
	s_delay_alu instid0(VALU_DEP_3)
	v_dual_mov_b32 v81, v105 :: v_dual_mov_b32 v92, v116
	v_dual_mov_b32 v80, v104 :: v_dual_mov_b32 v83, v107
	;; [unrolled: 1-line block ×11, first 2 shown]
	v_mov_b32_e32 v63, v75
	s_delay_alu instid0(VALU_DEP_3)
	v_dual_mov_b32 v51, v87 :: v_dual_mov_b32 v54, v90
	v_dual_mov_b32 v71, v83 :: v_dual_mov_b32 v72, v84
	;; [unrolled: 1-line block ×14, first 2 shown]
	v_mov_b32_e32 v68, v80
	v_dual_mov_b32 v58, v10 :: v_dual_mov_b32 v59, v11
	v_dual_mov_b32 v60, v12 :: v_dual_mov_b32 v61, v2
	;; [unrolled: 1-line block ×14, first 2 shown]
	v_mov_b32_e32 v150, v30
	v_dual_mov_b32 v148, v28 :: v_dual_mov_b32 v19, v18
	v_dual_mov_b32 v4, v3 :: v_dual_mov_b32 v7, v6
.LBB41_71:
	s_or_b32 exec_lo, exec_lo, s2
	v_mov_b32_e32 v3, v44
	s_mov_b32 s2, exec_lo
	s_delay_alu instid0(VALU_DEP_2)
	v_cmpx_lt_f32_e32 v4, v44
	s_cbranch_execz .LBB41_73
; %bb.72:
	v_mov_b32_e32 v163, v20
	v_mov_b32_e32 v151, v8
	v_dual_mov_b32 v99, v159 :: v_dual_mov_b32 v102, v162
	v_dual_mov_b32 v111, v147 :: v_dual_mov_b32 v112, v148
	;; [unrolled: 1-line block ×10, first 2 shown]
	v_mov_b32_e32 v108, v168
	v_dual_mov_b32 v104, v164 :: v_dual_mov_b32 v109, v169
	v_mov_b32_e32 v116, v7
	v_mov_b32_e32 v107, v167
	;; [unrolled: 1-line block ×3, first 2 shown]
	v_dual_mov_b32 v87, v111 :: v_dual_mov_b32 v90, v114
	v_dual_mov_b32 v88, v112 :: v_dual_mov_b32 v89, v113
	;; [unrolled: 1-line block ×12, first 2 shown]
	v_mov_b32_e32 v93, v9
	v_mov_b32_e32 v43, v44
	v_dual_mov_b32 v44, v4 :: v_dual_mov_b32 v81, v21
	v_dual_mov_b32 v51, v87 :: v_dual_mov_b32 v56, v92
	;; [unrolled: 1-line block ×15, first 2 shown]
	v_mov_b32_e32 v136, v148
	v_dual_mov_b32 v54, v90 :: v_dual_mov_b32 v59, v11
	v_mov_b32_e32 v62, v14
	v_dual_mov_b32 v61, v2 :: v_dual_mov_b32 v72, v24
	v_dual_mov_b32 v70, v22 :: v_dual_mov_b32 v71, v23
	;; [unrolled: 1-line block ×14, first 2 shown]
	v_mov_b32_e32 v8, v7
.LBB41_73:
	s_or_b32 exec_lo, exec_lo, s2
	v_mov_b32_e32 v4, v45
	s_mov_b32 s2, exec_lo
	v_cmpx_lt_f32_e32 v3, v45
	s_cbranch_execz .LBB41_75
; %bb.74:
	v_mov_b32_e32 v140, v9
	v_dual_mov_b32 v128, v21 :: v_dual_mov_b32 v87, v135
	v_mov_b32_e32 v93, v141
	v_dual_mov_b32 v93, v8 :: v_dual_mov_b32 v94, v142
	v_dual_mov_b32 v96, v144 :: v_dual_mov_b32 v97, v145
	v_mov_b32_e32 v98, v146
	v_dual_mov_b32 v44, v45 :: v_dual_mov_b32 v75, v123
	v_dual_mov_b32 v84, v132 :: v_dual_mov_b32 v85, v133
	;; [unrolled: 1-line block ×8, first 2 shown]
	v_mov_b32_e32 v81, v20
	v_dual_mov_b32 v51, v87 :: v_dual_mov_b32 v52, v88
	v_dual_mov_b32 v76, v124 :: v_dual_mov_b32 v77, v125
	;; [unrolled: 1-line block ×30, first 2 shown]
	v_mov_b32_e32 v120, v144
	v_dual_mov_b32 v122, v146 :: v_dual_mov_b32 v21, v20
	v_dual_mov_b32 v4, v3 :: v_dual_mov_b32 v9, v8
.LBB41_75:
	s_or_b32 exec_lo, exec_lo, s2
	v_mov_b32_e32 v3, v46
	s_mov_b32 s2, exec_lo
	s_delay_alu instid0(VALU_DEP_2)
	v_cmpx_lt_f32_e32 v4, v46
	s_cbranch_execz .LBB41_77
; %bb.76:
	v_mov_b32_e32 v117, v10
	v_dual_mov_b32 v45, v46 :: v_dual_mov_b32 v46, v4
	v_mov_b32_e32 v105, v22
	v_dual_mov_b32 v51, v111 :: v_dual_mov_b32 v54, v114
	v_dual_mov_b32 v56, v116 :: v_dual_mov_b32 v63, v99
	;; [unrolled: 1-line block ×6, first 2 shown]
	v_mov_b32_e32 v58, v9
	v_dual_mov_b32 v61, v121 :: v_dual_mov_b32 v60, v12
	v_dual_mov_b32 v67, v103 :: v_dual_mov_b32 v70, v106
	v_dual_mov_b32 v69, v105 :: v_dual_mov_b32 v72, v108
	v_dual_mov_b32 v71, v107 :: v_dual_mov_b32 v74, v110
	v_dual_mov_b32 v73, v109 :: v_dual_mov_b32 v72, v24
	v_dual_mov_b32 v75, v99 :: v_dual_mov_b32 v76, v100
	v_dual_mov_b32 v87, v111 :: v_dual_mov_b32 v88, v112
	v_dual_mov_b32 v52, v112 :: v_dual_mov_b32 v59, v11
	v_mov_b32_e32 v62, v14
	v_dual_mov_b32 v61, v2 :: v_dual_mov_b32 v64, v100
	v_dual_mov_b32 v65, v101 :: v_dual_mov_b32 v68, v104
	;; [unrolled: 1-line block ×15, first 2 shown]
	v_mov_b32_e32 v98, v122
.LBB41_77:
	s_or_b32 exec_lo, exec_lo, s2
	v_mov_b32_e32 v4, v47
	s_mov_b32 s2, exec_lo
	v_cmpx_lt_f32_e32 v3, v47
	s_cbranch_execz .LBB41_79
; %bb.78:
	v_dual_mov_b32 v84, v24 :: v_dual_mov_b32 v85, v1
	v_dual_mov_b32 v94, v11 :: v_dual_mov_b32 v95, v10
	;; [unrolled: 1-line block ×4, first 2 shown]
	v_mov_b32_e32 v86, v26
	v_mov_b32_e32 v46, v47
	v_dual_mov_b32 v47, v3 :: v_dual_mov_b32 v98, v14
	v_dual_mov_b32 v63, v75 :: v_dual_mov_b32 v72, v84
	;; [unrolled: 1-line block ×3, first 2 shown]
	v_mov_b32_e32 v67, v79
	v_dual_mov_b32 v65, v77 :: v_dual_mov_b32 v66, v78
	v_dual_mov_b32 v69, v81 :: v_dual_mov_b32 v68, v80
	;; [unrolled: 1-line block ×9, first 2 shown]
	v_mov_b32_e32 v62, v98
	v_mov_b32_e32 v4, v3
.LBB41_79:
	s_or_b32 exec_lo, exec_lo, s2
	s_delay_alu instid0(VALU_DEP_1)
	v_cmp_lt_f32_e32 vcc_lo, v4, v48
	v_dual_mov_b32 v3, v41 :: v_dual_mov_b32 v8, v46
	v_dual_mov_b32 v5, v43 :: v_dual_mov_b32 v12, v50
	s_waitcnt vmcnt(0)
	v_cndmask_b32_e32 v37, v72, v71, vcc_lo
	v_dual_cndmask_b32 v71, v71, v72 :: v_dual_cndmask_b32 v38, v60, v59
	v_dual_cndmask_b32 v59, v59, v60 :: v_dual_mov_b32 v2, v40
	v_dual_cndmask_b32 v10, v48, v4 :: v_dual_mov_b32 v1, v39
	;; [unrolled: 1-line block ×3, first 2 shown]
	v_dual_mov_b32 v4, v42 :: v_dual_mov_b32 v7, v45
	v_mov_b32_e32 v11, v49
	s_mov_b32 s2, exec_lo
	v_cmpx_lt_f32_e32 v39, v40
	s_cbranch_execz .LBB41_81
; %bb.80:
	v_dual_mov_b32 v13, v2 :: v_dual_mov_b32 v14, v1
	v_dual_mov_b32 v15, v3 :: v_dual_mov_b32 v16, v4
	;; [unrolled: 1-line block ×6, first 2 shown]
	v_mov_b32_e32 v25, v63
	v_dual_mov_b32 v26, v51 :: v_dual_mov_b32 v1, v13
	v_swap_b32 v63, v64
	v_swap_b32 v51, v52
	v_dual_mov_b32 v2, v14 :: v_dual_mov_b32 v3, v15
	v_dual_mov_b32 v4, v16 :: v_dual_mov_b32 v5, v17
	;; [unrolled: 1-line block ×5, first 2 shown]
	v_mov_b32_e32 v12, v24
	v_mov_b32_e32 v40, v39
.LBB41_81:
	s_or_b32 exec_lo, exec_lo, s2
	v_mov_b32_e32 v60, v38
	v_dual_mov_b32 v72, v37 :: v_dual_mov_b32 v13, v51
	v_dual_mov_b32 v25, v63 :: v_dual_mov_b32 v98, v74
	;; [unrolled: 1-line block ×60, first 2 shown]
	s_mov_b32 s2, exec_lo
	v_dual_mov_b32 v96, v72 :: v_dual_mov_b32 v93, v69
	v_cmpx_lt_f32_e32 v40, v3
	s_cbranch_execz .LBB41_83
; %bb.82:
	v_dual_mov_b32 v134, v62 :: v_dual_mov_b32 v133, v61
	v_dual_mov_b32 v124, v52 :: v_dual_mov_b32 v123, v51
	v_mov_b32_e32 v124, v53
	v_dual_mov_b32 v128, v56 :: v_dual_mov_b32 v127, v55
	v_dual_mov_b32 v132, v60 :: v_dual_mov_b32 v131, v59
	;; [unrolled: 1-line block ×11, first 2 shown]
	v_mov_b32_e32 v141, v69
	v_dual_mov_b32 v136, v65 :: v_dual_mov_b32 v137, v64
	v_dual_mov_b32 v160, v124 :: v_dual_mov_b32 v159, v123
	;; [unrolled: 1-line block ×40, first 2 shown]
	v_mov_b32_e32 v22, v84
	v_dual_mov_b32 v22, v38 :: v_dual_mov_b32 v25, v87
	v_dual_mov_b32 v16, v78 :: v_dual_mov_b32 v19, v81
	;; [unrolled: 1-line block ×16, first 2 shown]
	v_mov_b32_e32 v35, v73
	v_dual_mov_b32 v34, v37 :: v_dual_mov_b32 v39, v40
	v_dual_mov_b32 v36, v74 :: v_dual_mov_b32 v65, v64
	v_mov_b32_e32 v53, v52
.LBB41_83:
	s_or_b32 exec_lo, exec_lo, s2
	v_mov_b32_e32 v40, v4
	s_mov_b32 s2, exec_lo
	v_cmpx_lt_f32_e32 v39, v4
	s_cbranch_execz .LBB41_85
; %bb.84:
	v_mov_b32_e32 v137, v66
	v_mov_b32_e32 v125, v54
	;; [unrolled: 1-line block ×4, first 2 shown]
	v_dual_mov_b32 v170, v134 :: v_dual_mov_b32 v169, v133
	v_dual_mov_b32 v168, v132 :: v_dual_mov_b32 v159, v123
	;; [unrolled: 1-line block ×9, first 2 shown]
	v_mov_b32_e32 v157, v145
	v_dual_mov_b32 v155, v143 :: v_dual_mov_b32 v152, v140
	v_mov_b32_e32 v162, v53
	v_mov_b32_e32 v149, v137
	v_dual_mov_b32 v150, v65 :: v_dual_mov_b32 v111, v159
	v_dual_mov_b32 v112, v160 :: v_dual_mov_b32 v99, v147
	;; [unrolled: 1-line block ×13, first 2 shown]
	v_mov_b32_e32 v115, v55
	v_dual_mov_b32 v87, v99 :: v_dual_mov_b32 v88, v100
	v_dual_mov_b32 v75, v111 :: v_dual_mov_b32 v78, v114
	;; [unrolled: 1-line block ×3, first 2 shown]
	s_delay_alu instid0(VALU_DEP_4)
	v_dual_mov_b32 v80, v116 :: v_dual_mov_b32 v79, v115
	v_dual_mov_b32 v82, v118 :: v_dual_mov_b32 v81, v117
	;; [unrolled: 1-line block ×6, first 2 shown]
	v_mov_b32_e32 v96, v108
	v_dual_mov_b32 v92, v104 :: v_dual_mov_b32 v93, v105
	v_dual_mov_b32 v98, v110 :: v_dual_mov_b32 v95, v107
	;; [unrolled: 1-line block ×21, first 2 shown]
	v_mov_b32_e32 v34, v37
	v_dual_mov_b32 v35, v73 :: v_dual_mov_b32 v36, v74
	v_mov_b32_e32 v40, v39
	v_mov_b32_e32 v66, v65
	;; [unrolled: 1-line block ×3, first 2 shown]
.LBB41_85:
	s_or_b32 exec_lo, exec_lo, s2
	v_mov_b32_e32 v39, v5
	s_mov_b32 s2, exec_lo
	v_cmpx_lt_f32_e32 v40, v5
	s_cbranch_execz .LBB41_87
; %bb.86:
	v_mov_b32_e32 v126, v55
	v_mov_b32_e32 v111, v123
	;; [unrolled: 1-line block ×3, first 2 shown]
	v_dual_mov_b32 v115, v54 :: v_dual_mov_b32 v116, v128
	v_dual_mov_b32 v138, v67 :: v_dual_mov_b32 v113, v125
	v_mov_b32_e32 v112, v124
	v_dual_mov_b32 v118, v130 :: v_dual_mov_b32 v119, v131
	v_dual_mov_b32 v120, v132 :: v_dual_mov_b32 v121, v133
	;; [unrolled: 1-line block ×24, first 2 shown]
	v_mov_b32_e32 v22, v84
	v_dual_mov_b32 v22, v38 :: v_dual_mov_b32 v25, v87
	v_dual_mov_b32 v16, v78 :: v_dual_mov_b32 v19, v81
	;; [unrolled: 1-line block ×18, first 2 shown]
	v_mov_b32_e32 v35, v73
	v_dual_mov_b32 v34, v37 :: v_dual_mov_b32 v155, v143
	v_dual_mov_b32 v36, v74 :: v_dual_mov_b32 v157, v145
	;; [unrolled: 1-line block ×12, first 2 shown]
	v_mov_b32_e32 v55, v54
.LBB41_87:
	s_or_b32 exec_lo, exec_lo, s2
	v_mov_b32_e32 v40, v6
	s_mov_b32 s2, exec_lo
	v_cmpx_lt_f32_e32 v39, v6
	s_cbranch_execz .LBB41_89
; %bb.88:
	v_mov_b32_e32 v163, v56
	v_dual_mov_b32 v75, v159 :: v_dual_mov_b32 v80, v164
	v_dual_mov_b32 v80, v55 :: v_dual_mov_b32 v81, v165
	v_dual_mov_b32 v151, v68 :: v_dual_mov_b32 v78, v162
	v_dual_mov_b32 v87, v147 :: v_dual_mov_b32 v90, v150
	v_dual_mov_b32 v77, v161 :: v_dual_mov_b32 v82, v166
	v_dual_mov_b32 v79, v163 :: v_dual_mov_b32 v84, v168
	v_dual_mov_b32 v83, v167 :: v_dual_mov_b32 v86, v170
	v_mov_b32_e32 v85, v169
	v_dual_mov_b32 v89, v149 :: v_dual_mov_b32 v92, v152
	v_dual_mov_b32 v91, v151 :: v_dual_mov_b32 v94, v154
	;; [unrolled: 1-line block ×6, first 2 shown]
	v_mov_b32_e32 v88, v148
	v_mov_b32_e32 v6, v39
	s_delay_alu instid0(VALU_DEP_3) | instskip(NEXT) | instid1(VALU_DEP_3)
	v_dual_mov_b32 v13, v75 :: v_dual_mov_b32 v14, v76
	v_dual_mov_b32 v25, v87 :: v_dual_mov_b32 v26, v88
	;; [unrolled: 1-line block ×30, first 2 shown]
	v_mov_b32_e32 v40, v39
	v_mov_b32_e32 v68, v67
	;; [unrolled: 1-line block ×3, first 2 shown]
.LBB41_89:
	s_or_b32 exec_lo, exec_lo, s2
	v_mov_b32_e32 v39, v7
	s_mov_b32 s2, exec_lo
	v_cmpx_lt_f32_e32 v40, v7
	s_cbranch_execz .LBB41_91
; %bb.90:
	v_mov_b32_e32 v116, v57
	v_dual_mov_b32 v6, v7 :: v_dual_mov_b32 v7, v40
	v_dual_mov_b32 v104, v69 :: v_dual_mov_b32 v13, v111
	v_mov_b32_e32 v22, v120
	v_dual_mov_b32 v22, v38 :: v_dual_mov_b32 v25, v99
	v_mov_b32_e32 v34, v108
	v_dual_mov_b32 v34, v37 :: v_dual_mov_b32 v87, v99
	v_dual_mov_b32 v16, v114 :: v_dual_mov_b32 v19, v117
	;; [unrolled: 1-line block ×12, first 2 shown]
	v_mov_b32_e32 v23, v61
	v_dual_mov_b32 v21, v59 :: v_dual_mov_b32 v24, v62
	v_dual_mov_b32 v27, v101 :: v_dual_mov_b32 v26, v100
	;; [unrolled: 1-line block ×3, first 2 shown]
	v_mov_b32_e32 v35, v73
	v_dual_mov_b32 v33, v71 :: v_dual_mov_b32 v36, v74
	v_dual_mov_b32 v89, v101 :: v_dual_mov_b32 v88, v100
	;; [unrolled: 1-line block ×9, first 2 shown]
	v_mov_b32_e32 v39, v40
	v_mov_b32_e32 v69, v68
	v_dual_mov_b32 v57, v56 :: v_dual_mov_b32 v94, v106
	v_dual_mov_b32 v97, v109 :: v_dual_mov_b32 v82, v118
	;; [unrolled: 1-line block ×3, first 2 shown]
.LBB41_91:
	s_or_b32 exec_lo, exec_lo, s2
	v_mov_b32_e32 v40, v8
	s_mov_b32 s2, exec_lo
	v_cmpx_lt_f32_e32 v39, v8
	s_cbranch_execz .LBB41_93
; %bb.92:
	v_dual_mov_b32 v81, v58 :: v_dual_mov_b32 v82, v57
	v_dual_mov_b32 v83, v59 :: v_dual_mov_b32 v84, v38
	;; [unrolled: 1-line block ×19, first 2 shown]
	v_mov_b32_e32 v40, v39
.LBB41_93:
	s_or_b32 exec_lo, exec_lo, s2
	s_delay_alu instid0(VALU_DEP_1)
	v_cmp_lt_f32_e32 vcc_lo, v40, v9
	v_dual_mov_b32 v38, v2 :: v_dual_mov_b32 v41, v5
	v_dual_mov_b32 v42, v6 :: v_dual_mov_b32 v47, v11
	v_dual_cndmask_b32 v145, v33, v32 :: v_dual_cndmask_b32 v32, v32, v33
	v_dual_cndmask_b32 v146, v21, v20 :: v_dual_mov_b32 v39, v3
	v_dual_cndmask_b32 v20, v20, v21 :: v_dual_cndmask_b32 v45, v9, v40
	v_dual_cndmask_b32 v44, v8, v9 :: v_dual_mov_b32 v37, v1
	v_dual_mov_b32 v40, v4 :: v_dual_mov_b32 v43, v7
	v_mov_b32_e32 v46, v10
	v_mov_b32_e32 v48, v12
	s_mov_b32 s2, exec_lo
	v_cmpx_lt_f32_e32 v1, v2
	s_cbranch_execz .LBB41_95
; %bb.94:
	v_dual_mov_b32 v49, v38 :: v_dual_mov_b32 v50, v37
	v_dual_mov_b32 v51, v39 :: v_dual_mov_b32 v52, v40
	;; [unrolled: 1-line block ×6, first 2 shown]
	v_mov_b32_e32 v3, v25
	v_mov_b32_e32 v4, v13
	v_dual_mov_b32 v37, v49 :: v_dual_mov_b32 v40, v52
	v_swap_b32 v25, v26
	v_swap_b32 v13, v14
	v_dual_mov_b32 v38, v50 :: v_dual_mov_b32 v39, v51
	v_dual_mov_b32 v41, v53 :: v_dual_mov_b32 v42, v54
	;; [unrolled: 1-line block ×5, first 2 shown]
	v_mov_b32_e32 v2, v1
.LBB41_95:
	s_or_b32 exec_lo, exec_lo, s2
	v_mov_b32_e32 v21, v146
	v_dual_mov_b32 v33, v145 :: v_dual_mov_b32 v60, v24
	v_dual_mov_b32 v72, v36 :: v_dual_mov_b32 v61, v25
	v_dual_mov_b32 v96, v36 :: v_dual_mov_b32 v51, v15
	v_dual_mov_b32 v84, v24 :: v_dual_mov_b32 v85, v25
	v_dual_mov_b32 v132, v36 :: v_dual_mov_b32 v75, v15
	v_dual_mov_b32 v144, v24 :: v_dual_mov_b32 v121, v25
	v_dual_mov_b32 v120, v36 :: v_dual_mov_b32 v135, v15
	v_dual_mov_b32 v108, v24 :: v_dual_mov_b32 v71, v35
	v_dual_mov_b32 v70, v34 :: v_dual_mov_b32 v69, v33
	v_dual_mov_b32 v68, v32 :: v_dual_mov_b32 v67, v31
	v_dual_mov_b32 v66, v30 :: v_dual_mov_b32 v65, v29
	v_dual_mov_b32 v64, v28 :: v_dual_mov_b32 v63, v27
	v_dual_mov_b32 v62, v26 :: v_dual_mov_b32 v89, v29
	v_dual_mov_b32 v88, v28 :: v_dual_mov_b32 v87, v27
	v_dual_mov_b32 v86, v26 :: v_dual_mov_b32 v131, v35
	v_dual_mov_b32 v130, v34 :: v_dual_mov_b32 v129, v33
	v_dual_mov_b32 v128, v32 :: v_dual_mov_b32 v127, v31
	v_dual_mov_b32 v126, v30 :: v_dual_mov_b32 v125, v29
	v_dual_mov_b32 v124, v28 :: v_dual_mov_b32 v123, v27
	v_dual_mov_b32 v122, v26 :: v_dual_mov_b32 v119, v35
	v_dual_mov_b32 v118, v34 :: v_dual_mov_b32 v117, v33
	v_dual_mov_b32 v116, v32 :: v_dual_mov_b32 v115, v31
	v_dual_mov_b32 v114, v30 :: v_dual_mov_b32 v113, v29
	v_dual_mov_b32 v112, v28 :: v_dual_mov_b32 v111, v27
	v_dual_mov_b32 v110, v26 :: v_dual_mov_b32 v109, v25
	v_dual_mov_b32 v58, v22 :: v_dual_mov_b32 v59, v23
	v_dual_mov_b32 v56, v20 :: v_dual_mov_b32 v57, v21
	v_dual_mov_b32 v54, v18 :: v_dual_mov_b32 v55, v19
	v_dual_mov_b32 v52, v16 :: v_dual_mov_b32 v53, v17
	v_dual_mov_b32 v50, v14 :: v_dual_mov_b32 v49, v13
	v_dual_mov_b32 v82, v22 :: v_dual_mov_b32 v79, v19
	v_dual_mov_b32 v76, v16 :: v_dual_mov_b32 v77, v17
	v_dual_mov_b32 v74, v14 :: v_dual_mov_b32 v73, v13
	v_dual_mov_b32 v142, v22 :: v_dual_mov_b32 v143, v23
	v_dual_mov_b32 v140, v20 :: v_dual_mov_b32 v141, v21
	v_dual_mov_b32 v138, v18 :: v_dual_mov_b32 v139, v19
	v_dual_mov_b32 v136, v16 :: v_dual_mov_b32 v137, v17
	v_dual_mov_b32 v134, v14 :: v_dual_mov_b32 v133, v13
	v_dual_mov_b32 v106, v22 :: v_dual_mov_b32 v107, v23
	v_dual_mov_b32 v104, v20 :: v_dual_mov_b32 v105, v21
	v_dual_mov_b32 v102, v18 :: v_dual_mov_b32 v103, v19
	v_dual_mov_b32 v100, v16 :: v_dual_mov_b32 v101, v17
	v_dual_mov_b32 v98, v14 :: v_dual_mov_b32 v99, v15
	v_mov_b32_e32 v97, v13
	v_mov_b32_e32 v1, v39
	s_mov_b32 s2, exec_lo
	v_dual_mov_b32 v95, v35 :: v_dual_mov_b32 v94, v34
	v_dual_mov_b32 v93, v33 :: v_dual_mov_b32 v92, v32
	;; [unrolled: 1-line block ×5, first 2 shown]
	v_cmpx_lt_f32_e32 v2, v39
	s_cbranch_execz .LBB41_97
; %bb.96:
	v_dual_mov_b32 v108, v24 :: v_dual_mov_b32 v107, v23
	v_dual_mov_b32 v98, v14 :: v_dual_mov_b32 v97, v13
	v_mov_b32_e32 v98, v15
	v_dual_mov_b32 v104, v20 :: v_dual_mov_b32 v103, v19
	v_dual_mov_b32 v100, v16 :: v_dual_mov_b32 v99, v15
	v_dual_mov_b32 v120, v36 :: v_dual_mov_b32 v119, v35
	v_dual_mov_b32 v102, v18 :: v_dual_mov_b32 v101, v17
	v_dual_mov_b32 v99, v14 :: v_dual_mov_b32 v112, v28
	v_dual_mov_b32 v111, v27 :: v_dual_mov_b32 v110, v26
	v_dual_mov_b32 v109, v25 :: v_dual_mov_b32 v106, v22
	v_dual_mov_b32 v105, v21 :: v_dual_mov_b32 v118, v34
	v_dual_mov_b32 v117, v33 :: v_dual_mov_b32 v116, v32
	v_dual_mov_b32 v115, v31 :: v_dual_mov_b32 v114, v30
	v_dual_mov_b32 v113, v29 :: v_dual_mov_b32 v110, v27
	v_dual_mov_b32 v111, v26 :: v_dual_mov_b32 v144, v108
	v_dual_mov_b32 v143, v107 :: v_dual_mov_b32 v134, v98
	v_dual_mov_b32 v133, v97 :: v_dual_mov_b32 v140, v104
	v_dual_mov_b32 v139, v103 :: v_dual_mov_b32 v132, v120
	v_dual_mov_b32 v129, v117 :: v_dual_mov_b32 v138, v102
	v_dual_mov_b32 v137, v101 :: v_dual_mov_b32 v136, v100
	v_dual_mov_b32 v135, v99 :: v_dual_mov_b32 v124, v112
	v_dual_mov_b32 v121, v109 :: v_dual_mov_b32 v142, v106
	v_dual_mov_b32 v141, v105 :: v_dual_mov_b32 v136, v16
	v_dual_mov_b32 v131, v119 :: v_dual_mov_b32 v130, v118
	v_dual_mov_b32 v127, v115 :: v_dual_mov_b32 v128, v116
	v_dual_mov_b32 v125, v113 :: v_dual_mov_b32 v126, v114
	v_dual_mov_b32 v123, v111 :: v_dual_mov_b32 v124, v28
	v_dual_mov_b32 v122, v110 :: v_dual_mov_b32 v73, v133
	v_dual_mov_b32 v80, v140 :: v_dual_mov_b32 v83, v143
	v_mov_b32_e32 v84, v144
	v_dual_mov_b32 v74, v134 :: v_dual_mov_b32 v77, v137
	v_mov_b32_e32 v75, v135
	v_dual_mov_b32 v38, v39 :: v_dual_mov_b32 v85, v121
	v_dual_mov_b32 v76, v136 :: v_dual_mov_b32 v79, v139
	;; [unrolled: 1-line block ×10, first 2 shown]
	v_mov_b32_e32 v39, v2
	v_dual_mov_b32 v49, v73 :: v_dual_mov_b32 v50, v74
	v_dual_mov_b32 v59, v83 :: v_dual_mov_b32 v60, v84
	;; [unrolled: 1-line block ×18, first 2 shown]
	v_mov_b32_e32 v70, v34
	v_dual_mov_b32 v72, v36 :: v_dual_mov_b32 v1, v2
	v_mov_b32_e32 v27, v26
	v_mov_b32_e32 v15, v14
.LBB41_97:
	s_or_b32 exec_lo, exec_lo, s2
	v_mov_b32_e32 v2, v40
	s_mov_b32 s2, exec_lo
	v_cmpx_lt_f32_e32 v1, v40
	s_cbranch_execz .LBB41_99
; %bb.98:
	v_mov_b32_e32 v99, v16
	v_mov_b32_e32 v144, v108
	;; [unrolled: 1-line block ×3, first 2 shown]
	v_dual_mov_b32 v136, v15 :: v_dual_mov_b32 v111, v28
	v_dual_mov_b32 v142, v106 :: v_dual_mov_b32 v133, v97
	;; [unrolled: 1-line block ×4, first 2 shown]
	v_mov_b32_e32 v135, v99
	v_dual_mov_b32 v125, v113 :: v_dual_mov_b32 v124, v112
	v_mov_b32_e32 v143, v107
	v_dual_mov_b32 v141, v105 :: v_dual_mov_b32 v140, v104
	v_dual_mov_b32 v139, v103 :: v_dual_mov_b32 v138, v102
	;; [unrolled: 1-line block ×18, first 2 shown]
	v_mov_b32_e32 v95, v131
	v_dual_mov_b32 v89, v29 :: v_dual_mov_b32 v88, v124
	v_dual_mov_b32 v49, v73 :: v_dual_mov_b32 v54, v78
	v_mov_b32_e32 v50, v74
	v_dual_mov_b32 v52, v76 :: v_dual_mov_b32 v61, v85
	s_delay_alu instid0(VALU_DEP_4)
	v_dual_mov_b32 v64, v88 :: v_dual_mov_b32 v51, v75
	v_dual_mov_b32 v56, v80 :: v_dual_mov_b32 v53, v77
	v_dual_mov_b32 v58, v82 :: v_dual_mov_b32 v55, v79
	v_dual_mov_b32 v60, v84 :: v_dual_mov_b32 v57, v81
	v_dual_mov_b32 v54, v18 :: v_dual_mov_b32 v59, v83
	v_dual_mov_b32 v56, v20 :: v_dual_mov_b32 v63, v87
	v_dual_mov_b32 v66, v90 :: v_dual_mov_b32 v65, v89
	v_dual_mov_b32 v68, v92 :: v_dual_mov_b32 v67, v91
	v_dual_mov_b32 v70, v94 :: v_dual_mov_b32 v69, v93
	v_dual_mov_b32 v72, v96 :: v_dual_mov_b32 v71, v95
	v_dual_mov_b32 v66, v30 :: v_dual_mov_b32 v39, v40
	v_dual_mov_b32 v40, v1 :: v_dual_mov_b32 v55, v19
	v_mov_b32_e32 v58, v22
	v_dual_mov_b32 v57, v146 :: v_dual_mov_b32 v60, v24
	v_dual_mov_b32 v59, v23 :: v_dual_mov_b32 v62, v86
	;; [unrolled: 1-line block ×5, first 2 shown]
	v_mov_b32_e32 v2, v1
	v_mov_b32_e32 v28, v27
	;; [unrolled: 1-line block ×3, first 2 shown]
.LBB41_99:
	s_or_b32 exec_lo, exec_lo, s2
	v_mov_b32_e32 v1, v41
	s_mov_b32 s2, exec_lo
	v_cmpx_lt_f32_e32 v2, v41
	s_cbranch_execz .LBB41_101
; %bb.100:
	v_mov_b32_e32 v100, v17
	v_mov_b32_e32 v73, v97
	v_mov_b32_e32 v77, v101
	v_dual_mov_b32 v77, v16 :: v_dual_mov_b32 v78, v102
	v_dual_mov_b32 v112, v29 :: v_dual_mov_b32 v75, v99
	v_dual_mov_b32 v82, v106 :: v_dual_mov_b32 v83, v107
	v_mov_b32_e32 v84, v108
	v_dual_mov_b32 v74, v98 :: v_dual_mov_b32 v85, v109
	v_mov_b32_e32 v86, v110
	v_dual_mov_b32 v76, v100 :: v_dual_mov_b32 v79, v103
	v_dual_mov_b32 v80, v104 :: v_dual_mov_b32 v81, v105
	;; [unrolled: 1-line block ×8, first 2 shown]
	v_mov_b32_e32 v49, v73
	v_dual_mov_b32 v89, v28 :: v_dual_mov_b32 v50, v74
	v_dual_mov_b32 v59, v83 :: v_dual_mov_b32 v60, v84
	v_dual_mov_b32 v60, v24 :: v_dual_mov_b32 v61, v85
	v_dual_mov_b32 v53, v77 :: v_dual_mov_b32 v54, v78
	v_dual_mov_b32 v55, v79 :: v_dual_mov_b32 v56, v80
	v_dual_mov_b32 v57, v81 :: v_dual_mov_b32 v58, v82
	v_dual_mov_b32 v66, v90 :: v_dual_mov_b32 v67, v91
	v_dual_mov_b32 v68, v92 :: v_dual_mov_b32 v69, v93
	v_dual_mov_b32 v70, v94 :: v_dual_mov_b32 v71, v95
	v_dual_mov_b32 v72, v96 :: v_dual_mov_b32 v67, v31
	v_dual_mov_b32 v132, v120 :: v_dual_mov_b32 v127, v115
	v_dual_mov_b32 v144, v108 :: v_dual_mov_b32 v139, v103
	v_dual_mov_b32 v51, v75 :: v_dual_mov_b32 v52, v76
	v_dual_mov_b32 v54, v18 :: v_dual_mov_b32 v55, v19
	v_dual_mov_b32 v56, v20 :: v_dual_mov_b32 v57, v146
	v_dual_mov_b32 v58, v22 :: v_dual_mov_b32 v59, v23
	v_dual_mov_b32 v62, v86 :: v_dual_mov_b32 v63, v87
	v_dual_mov_b32 v64, v88 :: v_dual_mov_b32 v65, v89
	v_dual_mov_b32 v66, v30 :: v_dual_mov_b32 v69, v145
	v_dual_mov_b32 v68, v32 :: v_dual_mov_b32 v71, v35
	v_dual_mov_b32 v70, v34 :: v_dual_mov_b32 v131, v119
	v_dual_mov_b32 v72, v36 :: v_dual_mov_b32 v129, v117
	v_dual_mov_b32 v130, v118 :: v_dual_mov_b32 v125, v113
	v_dual_mov_b32 v128, v116 :: v_dual_mov_b32 v123, v111
	v_dual_mov_b32 v126, v114 :: v_dual_mov_b32 v121, v109
	v_dual_mov_b32 v124, v112 :: v_dual_mov_b32 v143, v107
	v_dual_mov_b32 v122, v110 :: v_dual_mov_b32 v141, v105
	v_dual_mov_b32 v142, v106 :: v_dual_mov_b32 v137, v101
	v_dual_mov_b32 v140, v104 :: v_dual_mov_b32 v135, v99
	v_dual_mov_b32 v138, v102 :: v_dual_mov_b32 v133, v97
	v_dual_mov_b32 v136, v100 :: v_dual_mov_b32 v1, v2
	v_dual_mov_b32 v134, v98 :: v_dual_mov_b32 v29, v28
	v_mov_b32_e32 v17, v16
.LBB41_101:
	s_or_b32 exec_lo, exec_lo, s2
	v_mov_b32_e32 v2, v42
	s_mov_b32 s2, exec_lo
	v_cmpx_lt_f32_e32 v1, v42
	s_cbranch_execz .LBB41_103
; %bb.102:
	v_mov_b32_e32 v137, v18
	v_mov_b32_e32 v125, v30
	v_dual_mov_b32 v41, v42 :: v_dual_mov_b32 v42, v1
	v_dual_mov_b32 v49, v133 :: v_dual_mov_b32 v50, v134
	;; [unrolled: 1-line block ×13, first 2 shown]
	v_mov_b32_e32 v66, v29
	v_dual_mov_b32 v85, v121 :: v_dual_mov_b32 v86, v122
	v_dual_mov_b32 v73, v133 :: v_dual_mov_b32 v74, v134
	v_dual_mov_b32 v52, v136 :: v_dual_mov_b32 v55, v19
	v_dual_mov_b32 v56, v20 :: v_dual_mov_b32 v57, v146
	v_mov_b32_e32 v64, v124
	v_dual_mov_b32 v58, v22 :: v_dual_mov_b32 v59, v23
	v_dual_mov_b32 v67, v31 :: v_dual_mov_b32 v68, v32
	;; [unrolled: 1-line block ×8, first 2 shown]
	v_mov_b32_e32 v2, v1
	v_mov_b32_e32 v30, v29
	v_dual_mov_b32 v18, v17 :: v_dual_mov_b32 v91, v127
	v_dual_mov_b32 v92, v128 :: v_dual_mov_b32 v93, v129
	v_dual_mov_b32 v94, v130 :: v_dual_mov_b32 v95, v131
	v_dual_mov_b32 v96, v132 :: v_dual_mov_b32 v79, v139
	v_dual_mov_b32 v80, v140 :: v_dual_mov_b32 v81, v141
	v_dual_mov_b32 v82, v142 :: v_dual_mov_b32 v83, v143
	v_mov_b32_e32 v84, v144
.LBB41_103:
	s_or_b32 exec_lo, exec_lo, s2
	v_mov_b32_e32 v1, v43
	s_mov_b32 s2, exec_lo
	v_cmpx_lt_f32_e32 v2, v43
	s_cbranch_execz .LBB41_105
; %bb.104:
	v_dual_mov_b32 v94, v34 :: v_dual_mov_b32 v95, v35
	v_dual_mov_b32 v78, v19 :: v_dual_mov_b32 v79, v18
	;; [unrolled: 1-line block ×6, first 2 shown]
	v_mov_b32_e32 v96, v36
	v_dual_mov_b32 v42, v43 :: v_dual_mov_b32 v43, v2
	v_dual_mov_b32 v84, v24 :: v_dual_mov_b32 v61, v85
	;; [unrolled: 1-line block ×14, first 2 shown]
.LBB41_105:
	s_or_b32 exec_lo, exec_lo, s2
	s_delay_alu instid0(VALU_DEP_1)
	v_cmp_lt_f32_e32 vcc_lo, v1, v44
	v_dual_mov_b32 v3, v39 :: v_dual_mov_b32 v10, v46
	v_dual_mov_b32 v5, v41 :: v_dual_mov_b32 v12, v48
	v_dual_cndmask_b32 v121, v68, v67 :: v_dual_mov_b32 v2, v38
	v_dual_cndmask_b32 v67, v67, v68 :: v_dual_cndmask_b32 v122, v56, v55
	v_dual_cndmask_b32 v55, v55, v56 :: v_dual_cndmask_b32 v8, v44, v1
	v_dual_cndmask_b32 v7, v43, v44 :: v_dual_mov_b32 v4, v40
	v_dual_mov_b32 v1, v37 :: v_dual_mov_b32 v6, v42
	v_mov_b32_e32 v9, v45
	v_mov_b32_e32 v11, v47
	s_mov_b32 s2, exec_lo
	v_cmpx_lt_f32_e32 v37, v38
	s_cbranch_execz .LBB41_107
; %bb.106:
	v_dual_mov_b32 v13, v2 :: v_dual_mov_b32 v14, v1
	v_dual_mov_b32 v15, v3 :: v_dual_mov_b32 v16, v4
	;; [unrolled: 1-line block ×6, first 2 shown]
	v_mov_b32_e32 v25, v61
	v_mov_b32_e32 v26, v49
	v_dual_mov_b32 v1, v13 :: v_dual_mov_b32 v4, v16
	v_swap_b32 v61, v62
	v_swap_b32 v49, v50
	v_dual_mov_b32 v2, v14 :: v_dual_mov_b32 v3, v15
	v_dual_mov_b32 v5, v17 :: v_dual_mov_b32 v6, v18
	;; [unrolled: 1-line block ×5, first 2 shown]
	v_mov_b32_e32 v38, v37
.LBB41_107:
	s_or_b32 exec_lo, exec_lo, s2
	v_mov_b32_e32 v56, v122
	v_mov_b32_e32 v68, v121
	v_mov_b32_e32 v25, v49
	v_dual_mov_b32 v27, v51 :: v_dual_mov_b32 v84, v72
	v_mov_b32_e32 v81, v69
	v_dual_mov_b32 v83, v71 :: v_dual_mov_b32 v96, v60
	v_dual_mov_b32 v91, v55 :: v_dual_mov_b32 v120, v72
	;; [unrolled: 1-line block ×31, first 2 shown]
	v_mov_b32_e32 v24, v60
	s_mov_b32 s2, exec_lo
	v_dual_mov_b32 v118, v70 :: v_dual_mov_b32 v115, v67
	v_dual_mov_b32 v116, v68 :: v_dual_mov_b32 v113, v65
	;; [unrolled: 1-line block ×3, first 2 shown]
	v_cmpx_lt_f32_e32 v38, v3
	s_cbranch_execz .LBB41_109
; %bb.108:
	v_dual_mov_b32 v13, v49 :: v_dual_mov_b32 v14, v50
	v_dual_mov_b32 v23, v59 :: v_dual_mov_b32 v24, v60
	;; [unrolled: 1-line block ×30, first 2 shown]
	v_mov_b32_e32 v112, v64
	v_dual_mov_b32 v34, v94 :: v_dual_mov_b32 v35, v95
	v_dual_mov_b32 v35, v59 :: v_dual_mov_b32 v34, v58
	;; [unrolled: 1-line block ×15, first 2 shown]
	v_mov_b32_e32 v81, v69
	v_dual_mov_b32 v80, v121 :: v_dual_mov_b32 v83, v71
	v_mov_b32_e32 v82, v70
	v_dual_mov_b32 v84, v72 :: v_dual_mov_b32 v37, v38
	v_mov_b32_e32 v63, v62
	v_mov_b32_e32 v51, v50
.LBB41_109:
	s_or_b32 exec_lo, exec_lo, s2
	v_mov_b32_e32 v38, v4
	s_mov_b32 s2, exec_lo
	v_cmpx_lt_f32_e32 v37, v4
	s_cbranch_execz .LBB41_111
; %bb.110:
	v_mov_b32_e32 v15, v52
	v_mov_b32_e32 v96, v24
	;; [unrolled: 1-line block ×3, first 2 shown]
	v_dual_mov_b32 v88, v51 :: v_dual_mov_b32 v99, v64
	v_dual_mov_b32 v94, v22 :: v_dual_mov_b32 v85, v13
	;; [unrolled: 1-line block ×3, first 2 shown]
	v_mov_b32_e32 v95, v23
	v_dual_mov_b32 v93, v21 :: v_dual_mov_b32 v92, v20
	v_dual_mov_b32 v91, v19 :: v_dual_mov_b32 v90, v18
	;; [unrolled: 1-line block ×7, first 2 shown]
	v_mov_b32_e32 v87, v15
	v_dual_mov_b32 v111, v99 :: v_dual_mov_b32 v110, v98
	v_dual_mov_b32 v112, v63 :: v_dual_mov_b32 v25, v85
	;; [unrolled: 1-line block ×3, first 2 shown]
	s_delay_alu instid0(VALU_DEP_3)
	v_dual_mov_b32 v74, v110 :: v_dual_mov_b32 v29, v89
	v_dual_mov_b32 v30, v90 :: v_dual_mov_b32 v31, v91
	;; [unrolled: 1-line block ×8, first 2 shown]
	v_mov_b32_e32 v84, v120
	v_dual_mov_b32 v3, v4 :: v_dual_mov_b32 v4, v37
	v_dual_mov_b32 v27, v87 :: v_dual_mov_b32 v28, v88
	;; [unrolled: 1-line block ×11, first 2 shown]
	v_mov_b32_e32 v38, v37
	v_mov_b32_e32 v64, v63
	;; [unrolled: 1-line block ×3, first 2 shown]
.LBB41_111:
	s_or_b32 exec_lo, exec_lo, s2
	v_mov_b32_e32 v16, v5
	s_mov_b32 s2, exec_lo
	v_cmpx_lt_f32_e32 v38, v5
	s_cbranch_execz .LBB41_113
; %bb.112:
	v_mov_b32_e32 v100, v65
	v_mov_b32_e32 v16, v53
	v_dual_mov_b32 v4, v5 :: v_dual_mov_b32 v5, v38
	v_dual_mov_b32 v36, v24 :: v_dual_mov_b32 v33, v21
	v_dual_mov_b32 v35, v23 :: v_dual_mov_b32 v34, v22
	v_mov_b32_e32 v31, v19
	v_dual_mov_b32 v35, v59 :: v_dual_mov_b32 v34, v58
	v_dual_mov_b32 v73, v97 :: v_dual_mov_b32 v32, v20
	;; [unrolled: 1-line block ×8, first 2 shown]
	v_mov_b32_e32 v77, v64
	v_dual_mov_b32 v84, v108 :: v_dual_mov_b32 v79, v67
	v_dual_mov_b32 v120, v108 :: v_dual_mov_b32 v115, v103
	;; [unrolled: 1-line block ×19, first 2 shown]
	v_mov_b32_e32 v88, v16
	v_dual_mov_b32 v86, v14 :: v_dual_mov_b32 v65, v64
	v_dual_mov_b32 v16, v38 :: v_dual_mov_b32 v53, v52
	;; [unrolled: 1-line block ×3, first 2 shown]
.LBB41_113:
	s_or_b32 exec_lo, exec_lo, s2
	v_mov_b32_e32 v13, v6
	s_mov_b32 s2, exec_lo
	v_cmpx_lt_f32_e32 v16, v6
	s_cbranch_execz .LBB41_115
; %bb.114:
	v_dual_mov_b32 v89, v54 :: v_dual_mov_b32 v90, v53
	v_dual_mov_b32 v91, v55 :: v_dual_mov_b32 v92, v122
	;; [unrolled: 1-line block ×21, first 2 shown]
	v_mov_b32_e32 v13, v16
.LBB41_115:
	s_or_b32 exec_lo, exec_lo, s2
	s_delay_alu instid0(VALU_DEP_1)
	v_cmp_lt_f32_e32 vcc_lo, v13, v7
	v_dual_mov_b32 v14, v2 :: v_dual_mov_b32 v17, v5
	v_dual_mov_b32 v16, v4 :: v_dual_mov_b32 v21, v9
	v_dual_cndmask_b32 v37, v79, v78 :: v_dual_cndmask_b32 v78, v78, v79
	v_cndmask_b32_e32 v38, v31, v30, vcc_lo
	v_dual_cndmask_b32 v30, v30, v31 :: v_dual_cndmask_b32 v19, v7, v13
	v_dual_cndmask_b32 v18, v6, v7 :: v_dual_mov_b32 v15, v3
	v_dual_mov_b32 v13, v1 :: v_dual_mov_b32 v20, v8
	v_dual_mov_b32 v23, v11 :: v_dual_mov_b32 v22, v10
	v_mov_b32_e32 v24, v12
	s_mov_b32 s2, exec_lo
	v_cmpx_lt_f32_e32 v1, v2
	s_cbranch_execz .LBB41_117
; %bb.116:
	v_dual_mov_b32 v2, v14 :: v_dual_mov_b32 v3, v13
	v_dual_mov_b32 v12, v23 :: v_dual_mov_b32 v13, v24
	;; [unrolled: 1-line block ×6, first 2 shown]
	v_mov_b32_e32 v24, v13
	v_mov_b32_e32 v31, v73
	v_dual_mov_b32 v39, v25 :: v_dual_mov_b32 v18, v7
	v_swap_b32 v73, v74
	v_swap_b32 v25, v26
	v_dual_mov_b32 v23, v12 :: v_dual_mov_b32 v20, v9
	v_dual_mov_b32 v22, v11 :: v_dual_mov_b32 v21, v10
	;; [unrolled: 1-line block ×4, first 2 shown]
	v_mov_b32_e32 v15, v4
	v_dual_mov_b32 v13, v2 :: v_dual_mov_b32 v2, v1
.LBB41_117:
	s_or_b32 exec_lo, exec_lo, s2
	v_mov_b32_e32 v31, v38
	v_dual_mov_b32 v79, v37 :: v_dual_mov_b32 v50, v36
	v_dual_mov_b32 v51, v73 :: v_dual_mov_b32 v52, v74
	;; [unrolled: 1-line block ×24, first 2 shown]
	v_mov_b32_e32 v85, v25
	v_mov_b32_e32 v1, v15
	s_mov_b32 s2, exec_lo
	v_cmpx_lt_f32_e32 v2, v15
	s_cbranch_execz .LBB41_119
; %bb.118:
	v_dual_mov_b32 v96, v36 :: v_dual_mov_b32 v95, v35
	v_dual_mov_b32 v86, v26 :: v_dual_mov_b32 v85, v25
	;; [unrolled: 1-line block ×8, first 2 shown]
	v_mov_b32_e32 v105, v81
	v_dual_mov_b32 v43, v89 :: v_dual_mov_b32 v44, v90
	v_dual_mov_b32 v100, v76 :: v_dual_mov_b32 v97, v73
	;; [unrolled: 1-line block ×6, first 2 shown]
	v_mov_b32_e32 v98, v74
	v_dual_mov_b32 v98, v75 :: v_dual_mov_b32 v99, v74
	v_dual_mov_b32 v49, v95 :: v_dual_mov_b32 v50, v96
	;; [unrolled: 1-line block ×12, first 2 shown]
	v_mov_b32_e32 v40, v86
	v_dual_mov_b32 v42, v28 :: v_dual_mov_b32 v43, v29
	v_dual_mov_b32 v45, v38 :: v_dual_mov_b32 v46, v32
	;; [unrolled: 1-line block ×9, first 2 shown]
	v_mov_b32_e32 v75, v74
	v_mov_b32_e32 v27, v26
.LBB41_119:
	s_or_b32 exec_lo, exec_lo, s2
	v_mov_b32_e32 v2, v16
	s_mov_b32 s2, exec_lo
	v_cmpx_lt_f32_e32 v1, v16
	s_cbranch_execz .LBB41_121
; %bb.120:
	v_mov_b32_e32 v87, v28
	v_mov_b32_e32 v99, v76
	v_dual_mov_b32 v15, v16 :: v_dual_mov_b32 v16, v1
	v_dual_mov_b32 v39, v85 :: v_dual_mov_b32 v42, v88
	;; [unrolled: 1-line block ×13, first 2 shown]
	v_mov_b32_e32 v56, v78
	v_mov_b32_e32 v40, v86
	v_dual_mov_b32 v42, v27 :: v_dual_mov_b32 v43, v29
	v_dual_mov_b32 v45, v38 :: v_dual_mov_b32 v46, v32
	;; [unrolled: 1-line block ×8, first 2 shown]
	v_mov_b32_e32 v2, v1
	v_mov_b32_e32 v76, v75
	;; [unrolled: 1-line block ×3, first 2 shown]
.LBB41_121:
	s_or_b32 exec_lo, exec_lo, s2
	v_mov_b32_e32 v1, v17
	s_mov_b32 s2, exec_lo
	v_cmpx_lt_f32_e32 v2, v17
	s_cbranch_execz .LBB41_123
; %bb.122:
	v_dual_mov_b32 v106, v82 :: v_dual_mov_b32 v107, v83
	v_dual_mov_b32 v88, v29 :: v_dual_mov_b32 v89, v28
	;; [unrolled: 1-line block ×8, first 2 shown]
	v_mov_b32_e32 v108, v84
	v_dual_mov_b32 v16, v17 :: v_dual_mov_b32 v17, v2
	v_dual_mov_b32 v96, v36 :: v_dual_mov_b32 v51, v97
	;; [unrolled: 1-line block ×14, first 2 shown]
.LBB41_123:
	s_or_b32 exec_lo, exec_lo, s2
	s_delay_alu instid0(VALU_DEP_1)
	v_cmp_lt_f32_e32 vcc_lo, v1, v18
	v_dual_mov_b32 v27, v13 :: v_dual_mov_b32 v34, v20
	v_dual_mov_b32 v29, v15 :: v_dual_mov_b32 v36, v22
	v_dual_cndmask_b32 v63, v56, v55 :: v_dual_cndmask_b32 v32, v18, v1
	v_dual_cndmask_b32 v55, v55, v56 :: v_dual_cndmask_b32 v64, v44, v43
	v_dual_cndmask_b32 v43, v43, v44 :: v_dual_mov_b32 v28, v14
	v_dual_cndmask_b32 v31, v17, v18 :: v_dual_mov_b32 v30, v16
	v_dual_mov_b32 v33, v19 :: v_dual_mov_b32 v38, v24
	v_mov_b32_e32 v35, v21
	v_mov_b32_e32 v37, v23
	s_mov_b32 s2, exec_lo
	v_cmpx_lt_f32_e32 v13, v14
	s_cbranch_execz .LBB41_125
; %bb.124:
	s_delay_alu instid0(VALU_DEP_2)
	v_dual_mov_b32 v11, v37 :: v_dual_mov_b32 v12, v38
	v_dual_mov_b32 v1, v28 :: v_dual_mov_b32 v2, v27
	;; [unrolled: 1-line block ×7, first 2 shown]
	s_delay_alu instid0(VALU_DEP_2)
	v_dual_mov_b32 v16, v39 :: v_dual_mov_b32 v35, v9
	v_swap_b32 v51, v52
	v_swap_b32 v39, v40
	v_dual_mov_b32 v37, v11 :: v_dual_mov_b32 v36, v10
	v_dual_mov_b32 v34, v8 :: v_dual_mov_b32 v33, v7
	;; [unrolled: 1-line block ×5, first 2 shown]
	v_mov_b32_e32 v14, v13
.LBB41_125:
	s_or_b32 exec_lo, exec_lo, s2
	v_mov_b32_e32 v44, v64
	v_mov_b32_e32 v56, v63
	;; [unrolled: 1-line block ×4, first 2 shown]
	v_dual_mov_b32 v15, v51 :: v_dual_mov_b32 v2, v40
	v_dual_mov_b32 v16, v52 :: v_dual_mov_b32 v17, v53
	;; [unrolled: 1-line block ×11, first 2 shown]
	v_mov_b32_e32 v12, v50
	s_mov_b32 s2, exec_lo
	v_cmpx_lt_f32_e32 v14, v29
	s_cbranch_execz .LBB41_127
; %bb.126:
	v_dual_mov_b32 v1, v39 :: v_dual_mov_b32 v2, v40
	v_dual_mov_b32 v11, v49 :: v_dual_mov_b32 v12, v50
	;; [unrolled: 1-line block ×25, first 2 shown]
	v_mov_b32_e32 v41, v40
.LBB41_127:
	s_or_b32 exec_lo, exec_lo, s2
	v_mov_b32_e32 v39, v30
	s_mov_b32 s2, exec_lo
	v_cmpx_lt_f32_e32 v13, v30
	s_cbranch_execz .LBB41_129
; %bb.128:
	v_dual_mov_b32 v29, v30 :: v_dual_mov_b32 v30, v13
	v_dual_mov_b32 v3, v42 :: v_dual_mov_b32 v4, v41
	;; [unrolled: 1-line block ×11, first 2 shown]
	v_mov_b32_e32 v39, v13
.LBB41_129:
	s_or_b32 exec_lo, exec_lo, s2
	s_delay_alu instid0(VALU_DEP_1)
	v_cmp_lt_f32_e32 vcc_lo, v39, v31
	v_dual_mov_b32 v40, v28 :: v_dual_mov_b32 v45, v33
	v_dual_mov_b32 v44, v32 :: v_dual_mov_b32 v47, v35
	v_dual_cndmask_b32 v13, v19, v18 :: v_dual_cndmask_b32 v18, v18, v19
	v_dual_cndmask_b32 v14, v5, v4 :: v_dual_cndmask_b32 v43, v31, v39
	v_dual_cndmask_b32 v4, v4, v5 :: v_dual_mov_b32 v39, v27
	v_dual_cndmask_b32 v42, v30, v31 :: v_dual_mov_b32 v41, v29
	v_dual_mov_b32 v46, v34 :: v_dual_mov_b32 v49, v37
	v_mov_b32_e32 v48, v36
	v_mov_b32_e32 v50, v38
	s_mov_b32 s2, exec_lo
	v_cmpx_lt_f32_e32 v27, v28
	s_cbranch_execz .LBB41_131
; %bb.130:
	v_dual_mov_b32 v28, v40 :: v_dual_mov_b32 v29, v39
	v_dual_mov_b32 v38, v49 :: v_dual_mov_b32 v39, v50
	;; [unrolled: 1-line block ×7, first 2 shown]
	v_mov_b32_e32 v5, v15
	v_swap_b32 v15, v16
	s_delay_alu instid0(VALU_DEP_4)
	v_mov_b32_e32 v48, v37
	v_swap_b32 v1, v2
	v_dual_mov_b32 v49, v38 :: v_dual_mov_b32 v46, v35
	v_dual_mov_b32 v47, v36 :: v_dual_mov_b32 v44, v33
	;; [unrolled: 1-line block ×4, first 2 shown]
	v_mov_b32_e32 v41, v30
	v_dual_mov_b32 v39, v28 :: v_dual_mov_b32 v28, v27
.LBB41_131:
	s_or_b32 exec_lo, exec_lo, s2
	v_mov_b32_e32 v5, v14
	v_mov_b32_e32 v19, v13
	;; [unrolled: 1-line block ×3, first 2 shown]
	s_mov_b32 s2, exec_lo
	v_cmpx_lt_f32_e32 v28, v41
	s_cbranch_execz .LBB41_133
; %bb.132:
	v_dual_mov_b32 v74, v26 :: v_dual_mov_b32 v73, v25
	v_dual_mov_b32 v62, v12 :: v_dual_mov_b32 v61, v11
	;; [unrolled: 1-line block ×22, first 2 shown]
	v_mov_b32_e32 v74, v26
	v_dual_mov_b32 v40, v41 :: v_dual_mov_b32 v41, v28
	v_dual_mov_b32 v62, v12 :: v_dual_mov_b32 v15, v63
	;; [unrolled: 1-line block ×14, first 2 shown]
.LBB41_133:
	s_or_b32 exec_lo, exec_lo, s2
	s_delay_alu instid0(VALU_DEP_1)
	v_cmp_lt_f32_e32 vcc_lo, v27, v42
	v_dual_mov_b32 v29, v24 :: v_dual_mov_b32 v32, v5
	v_dual_mov_b32 v31, v26 :: v_dual_mov_b32 v34, v7
	v_dual_cndmask_b32 v13, v18, v17 :: v_dual_cndmask_b32 v14, v4, v3
	v_cndmask_b32_e32 v51, v17, v18, vcc_lo
	v_dual_cndmask_b32 v59, v3, v4 :: v_dual_cndmask_b32 v60, v41, v42
	v_dual_cndmask_b32 v3, v42, v27 :: v_dual_mov_b32 v18, v21
	v_cmp_lt_f32_e32 vcc_lo, v39, v40
	v_dual_mov_b32 v4, v19 :: v_dual_mov_b32 v17, v20
	v_dual_mov_b32 v28, v23 :: v_dual_mov_b32 v27, v22
	;; [unrolled: 1-line block ×7, first 2 shown]
	v_mov_b32_e32 v58, v50
	v_dual_mov_b32 v52, v44 :: v_dual_mov_b32 v53, v45
	v_dual_mov_b32 v55, v47 :: v_dual_mov_b32 v56, v48
	v_mov_b32_e32 v57, v49
	s_and_saveexec_b32 s2, vcc_lo
	s_cbranch_execz .LBB41_135
; %bb.134:
	v_dual_mov_b32 v42, v40 :: v_dual_mov_b32 v27, v22
	v_dual_mov_b32 v4, v15 :: v_dual_mov_b32 v17, v20
	;; [unrolled: 1-line block ×3, first 2 shown]
	v_swap_b32 v15, v16
	v_swap_b32 v1, v2
	v_dual_mov_b32 v40, v39 :: v_dual_mov_b32 v29, v24
	v_dual_mov_b32 v4, v19 :: v_dual_mov_b32 v31, v26
	;; [unrolled: 1-line block ×10, first 2 shown]
	v_mov_b32_e32 v52, v44
	v_mov_b32_e32 v54, v46
	;; [unrolled: 1-line block ×4, first 2 shown]
.LBB41_135:
	s_or_b32 exec_lo, exec_lo, s2
	s_clause 0x1
	s_load_b32 s8, s[0:1], 0x28
	s_load_b128 s[4:7], s[0:1], 0x10
	v_mov_b32_e32 v6, 0
	s_waitcnt lgkmcnt(0)
	s_cmp_lt_i32 s8, 1
	s_cbranch_scc1 .LBB41_141
; %bb.136:
	v_cmp_lt_f32_e32 vcc_lo, v40, v60
	v_mov_b32_e32 v7, 0
	s_mov_b32 s9, 0x76543210
	s_mov_b32 s10, s8
	v_mov_b32_e32 v6, 0
	v_cndmask_b32_e32 v8, v60, v40, vcc_lo
	v_cndmask_b32_e32 v19, v61, v60, vcc_lo
	v_dual_cndmask_b32 v5, v59, v2 :: v_dual_cndmask_b32 v2, v2, v59
	v_dual_cndmask_b32 v9, v51, v16 :: v_dual_cndmask_b32 v20, v16, v51
	s_delay_alu instid0(VALU_DEP_3) | instskip(NEXT) | instid1(VALU_DEP_1)
	v_cmp_lt_f32_e64 s2, v39, v19
	v_cndmask_b32_e64 v10, v2, v1, s2
	v_cndmask_b32_e64 v11, v1, v2, s2
	v_cndmask_b32_e64 v12, v19, v39, s2
	v_cndmask_b32_e64 v16, v39, v19, s2
	v_cndmask_b32_e64 v19, v20, v15, s2
	v_cndmask_b32_e64 v15, v15, v20, s2
	v_dual_mov_b32 v20, v0 :: v_dual_mov_b32 v1, 0
	v_mov_b32_e32 v2, 0
.LBB41_137:                             ; =>This Inner Loop Header: Depth=1
	v_cmp_eq_u32_e32 vcc_lo, 1, v7
	v_cmp_eq_u32_e64 s2, 2, v7
	v_dual_cndmask_b32 v21, v16, v12 :: v_dual_cndmask_b32 v22, v11, v10
	s_delay_alu instid0(VALU_DEP_1) | instskip(NEXT) | instid1(VALU_DEP_2)
	v_cndmask_b32_e64 v21, v21, v8, s2
	v_cndmask_b32_e64 v22, v22, v5, s2
	v_cndmask_b32_e32 v23, v15, v19, vcc_lo
	v_cmp_eq_u32_e32 vcc_lo, 3, v7
	s_delay_alu instid0(VALU_DEP_3) | instskip(NEXT) | instid1(VALU_DEP_3)
	v_cndmask_b32_e32 v22, v22, v14, vcc_lo
	v_cndmask_b32_e64 v23, v23, v9, s2
	v_cmp_eq_u32_e64 s2, 4, v7
	s_delay_alu instid0(VALU_DEP_2) | instskip(NEXT) | instid1(VALU_DEP_2)
	v_cndmask_b32_e32 v23, v23, v13, vcc_lo
	v_cndmask_b32_e64 v22, v22, v32, s2
	v_cndmask_b32_e32 v21, v21, v3, vcc_lo
	v_cmp_eq_u32_e32 vcc_lo, 5, v7
	s_delay_alu instid0(VALU_DEP_4) | instskip(NEXT) | instid1(VALU_DEP_4)
	v_cndmask_b32_e64 v23, v23, v4, s2
	v_cndmask_b32_e32 v22, v22, v33, vcc_lo
	s_delay_alu instid0(VALU_DEP_4) | instskip(SKIP_1) | instid1(VALU_DEP_4)
	v_cndmask_b32_e64 v21, v21, v42, s2
	v_cmp_eq_u32_e64 s2, 6, v7
	v_cndmask_b32_e32 v23, v23, v17, vcc_lo
	s_delay_alu instid0(VALU_DEP_3) | instskip(SKIP_1) | instid1(VALU_DEP_4)
	v_cndmask_b32_e32 v21, v21, v52, vcc_lo
	v_cmp_eq_u32_e32 vcc_lo, 7, v7
	v_cndmask_b32_e64 v22, v22, v34, s2
	s_delay_alu instid0(VALU_DEP_4) | instskip(NEXT) | instid1(VALU_DEP_4)
	v_cndmask_b32_e64 v23, v23, v18, s2
	v_cndmask_b32_e64 v21, v21, v53, s2
	v_cmp_eq_u32_e64 s2, 8, v7
	s_delay_alu instid0(VALU_DEP_4) | instskip(NEXT) | instid1(VALU_DEP_4)
	v_cndmask_b32_e32 v22, v22, v35, vcc_lo
	v_cndmask_b32_e32 v23, v23, v27, vcc_lo
	s_delay_alu instid0(VALU_DEP_4) | instskip(SKIP_1) | instid1(VALU_DEP_4)
	v_cndmask_b32_e32 v21, v21, v54, vcc_lo
	v_cmp_eq_u32_e32 vcc_lo, 9, v7
	v_cndmask_b32_e64 v22, v22, v36, s2
	s_delay_alu instid0(VALU_DEP_4) | instskip(NEXT) | instid1(VALU_DEP_4)
	v_cndmask_b32_e64 v23, v23, v28, s2
	v_cndmask_b32_e64 v21, v21, v55, s2
	v_cmp_eq_u32_e64 s2, 10, v7
	s_delay_alu instid0(VALU_DEP_4) | instskip(NEXT) | instid1(VALU_DEP_4)
	v_cndmask_b32_e32 v22, v22, v37, vcc_lo
	v_cndmask_b32_e32 v23, v23, v29, vcc_lo
	s_delay_alu instid0(VALU_DEP_4) | instskip(SKIP_1) | instid1(VALU_DEP_4)
	v_cndmask_b32_e32 v21, v21, v56, vcc_lo
	v_cmp_eq_u32_e32 vcc_lo, 11, v7
	v_cndmask_b32_e64 v22, v22, v38, s2
	s_delay_alu instid0(VALU_DEP_4) | instskip(NEXT) | instid1(VALU_DEP_4)
	v_cndmask_b32_e64 v23, v23, v30, s2
	v_cndmask_b32_e64 v21, v21, v57, s2
	v_cmp_gt_u32_e64 s2, 12, v7
	s_delay_alu instid0(VALU_DEP_2) | instskip(NEXT) | instid1(VALU_DEP_1)
	v_dual_cndmask_b32 v22, v22, v41 :: v_dual_cndmask_b32 v21, v21, v58
	v_cndmask_b32_e64 v24, 0, v22, s2
	s_delay_alu instid0(VALU_DEP_2)
	v_cndmask_b32_e64 v21, 0xff800000, v21, s2
	;;#ASMSTART
	v_max_f32 v25, v21, v21 quad_perm:[1,0,3,2] row_mask:0xf bank_mask:0xf bound_ctrl:1
	;;#ASMEND
	;;#ASMSTART
	v_max_f32 v26, v25, v25 quad_perm:[2,3,0,1] row_mask:0xf bank_mask:0xf bound_ctrl:1
	;;#ASMEND
	;;#ASMSTART
	v_max_f32 v25, v26, v26 row_half_mirror row_mask:0xf bank_mask:0xf bound_ctrl:1
	;;#ASMEND
	;;#ASMSTART
	v_max_f32 v26, v25, v25 row_mirror row_mask:0xf bank_mask:0xf bound_ctrl:1
	;;#ASMEND
	v_permlanex16_b32 v25, v26, s9, 0xfedcba98 op_sel:[1,1]
	s_delay_alu instid0(VALU_DEP_1) | instskip(NEXT) | instid1(VALU_DEP_1)
	v_dual_max_f32 v26, v26, v26 :: v_dual_max_f32 v25, v25, v25
	v_max_f32_e32 v25, v26, v25
	s_delay_alu instid0(VALU_DEP_1) | instskip(SKIP_1) | instid1(VALU_DEP_2)
	v_cmp_eq_f32_e64 s3, v21, v25
	v_cndmask_b32_e32 v21, v23, v31, vcc_lo
	s_ctz_i32_b32 s11, s3
	s_cmp_lg_u32 s3, 0
	s_cselect_b32 s3, s11, 0
	s_add_i32 s10, s10, -1
	v_readlane_b32 s3, v24, s3
	s_delay_alu instid0(VALU_DEP_1)
	v_cmp_eq_u32_e32 vcc_lo, s3, v22
	s_and_b32 vcc_lo, s2, vcc_lo
	s_and_b32 s2, s3, 31
	v_cndmask_b32_e32 v21, 0, v21, vcc_lo
	v_add_co_ci_u32_e32 v7, vcc_lo, 0, v7, vcc_lo
	s_cmp_eq_u32 s10, 0
	s_delay_alu instid0(VALU_DEP_2) | instskip(SKIP_2) | instid1(VALU_DEP_3)
	v_readlane_b32 s11, v21, s2
	v_cmp_eq_u32_e64 s2, 0, v20
	v_add_nc_u32_e32 v20, -1, v20
	v_add_f32_e32 v6, s11, v6
	s_delay_alu instid0(VALU_DEP_3)
	v_cndmask_b32_e64 v2, v2, s11, s2
	v_cndmask_b32_e64 v1, v1, s3, s2
	s_cbranch_scc0 .LBB41_137
; %bb.138:
	s_mov_b32 s2, exec_lo
	v_cmpx_gt_i32_e64 s8, v0
	s_cbranch_execz .LBB41_140
.LBB41_139:
	s_load_b32 s2, s[0:1], 0x30
	v_max_f32_e32 v0, v6, v6
	s_load_b64 s[0:1], s[0:1], 0x20
	s_ashr_i32 s3, s15, 31
	s_delay_alu instid0(VALU_DEP_1) | instskip(SKIP_1) | instid1(VALU_DEP_1)
	v_max_f32_e32 v0, 0x1e3ce508, v0
	s_waitcnt lgkmcnt(0)
	v_div_scale_f32 v3, null, v0, v0, s2
	v_div_scale_f32 v6, vcc_lo, s2, v0, s2
	s_mul_i32 s1, s15, s1
	s_delay_alu instid0(VALU_DEP_2)
	v_rcp_f32_e32 v4, v3
	s_mul_hi_u32 s8, s15, s0
	s_mul_i32 s3, s3, s0
	s_add_i32 s1, s8, s1
	s_mul_i32 s0, s15, s0
	s_add_i32 s1, s1, s3
	s_delay_alu instid0(SALU_CYCLE_1) | instskip(SKIP_2) | instid1(VALU_DEP_1)
	s_lshl_b64 s[0:1], s[0:1], 2
	s_waitcnt_depctr 0xfff
	v_fma_f32 v5, -v3, v4, 1.0
	v_fmac_f32_e32 v4, v5, v4
	s_delay_alu instid0(VALU_DEP_1) | instskip(NEXT) | instid1(VALU_DEP_1)
	v_mul_f32_e32 v5, v6, v4
	v_fma_f32 v7, -v3, v5, v6
	s_delay_alu instid0(VALU_DEP_1) | instskip(NEXT) | instid1(VALU_DEP_1)
	v_fmac_f32_e32 v5, v7, v4
	v_fma_f32 v3, -v3, v5, v6
	s_delay_alu instid0(VALU_DEP_1) | instskip(NEXT) | instid1(VALU_DEP_1)
	v_div_fmas_f32 v3, v3, v4, v5
	v_div_fixup_f32 v0, v3, v0, s2
	s_add_u32 s2, s4, s0
	s_addc_u32 s3, s5, s1
	s_add_u32 s0, s6, s0
	s_addc_u32 s1, s7, s1
	v_mul_f32_e32 v0, v2, v0
	s_clause 0x1
	global_store_b32 v183, v0, s[2:3]
	global_store_b32 v183, v1, s[0:1]
.LBB41_140:
	s_endpgm
.LBB41_141:
	v_dual_mov_b32 v1, 0 :: v_dual_mov_b32 v2, 0
	s_mov_b32 s2, exec_lo
	v_cmpx_gt_i32_e64 s8, v0
	s_cbranch_execnz .LBB41_139
	s_branch .LBB41_140
	.section	.rodata,"a",@progbits
	.p2align	6, 0x0
	.amdhsa_kernel _ZN5aiter24topk_softplus_kernel_optIf6__halfLi384ELb1ELi1EEEvPKT_PKT0_PfPimiif
		.amdhsa_group_segment_fixed_size 0
		.amdhsa_private_segment_fixed_size 196
		.amdhsa_kernarg_size 52
		.amdhsa_user_sgpr_count 15
		.amdhsa_user_sgpr_dispatch_ptr 0
		.amdhsa_user_sgpr_queue_ptr 0
		.amdhsa_user_sgpr_kernarg_segment_ptr 1
		.amdhsa_user_sgpr_dispatch_id 0
		.amdhsa_user_sgpr_private_segment_size 0
		.amdhsa_wavefront_size32 1
		.amdhsa_uses_dynamic_stack 0
		.amdhsa_enable_private_segment 1
		.amdhsa_system_sgpr_workgroup_id_x 1
		.amdhsa_system_sgpr_workgroup_id_y 0
		.amdhsa_system_sgpr_workgroup_id_z 0
		.amdhsa_system_sgpr_workgroup_info 0
		.amdhsa_system_vgpr_workitem_id 0
		.amdhsa_next_free_vgpr 184
		.amdhsa_next_free_sgpr 16
		.amdhsa_reserve_vcc 1
		.amdhsa_float_round_mode_32 0
		.amdhsa_float_round_mode_16_64 0
		.amdhsa_float_denorm_mode_32 3
		.amdhsa_float_denorm_mode_16_64 3
		.amdhsa_dx10_clamp 1
		.amdhsa_ieee_mode 1
		.amdhsa_fp16_overflow 0
		.amdhsa_workgroup_processor_mode 1
		.amdhsa_memory_ordered 1
		.amdhsa_forward_progress 0
		.amdhsa_shared_vgpr_count 0
		.amdhsa_exception_fp_ieee_invalid_op 0
		.amdhsa_exception_fp_denorm_src 0
		.amdhsa_exception_fp_ieee_div_zero 0
		.amdhsa_exception_fp_ieee_overflow 0
		.amdhsa_exception_fp_ieee_underflow 0
		.amdhsa_exception_fp_ieee_inexact 0
		.amdhsa_exception_int_div_zero 0
	.end_amdhsa_kernel
	.section	.text._ZN5aiter24topk_softplus_kernel_optIf6__halfLi384ELb1ELi1EEEvPKT_PKT0_PfPimiif,"axG",@progbits,_ZN5aiter24topk_softplus_kernel_optIf6__halfLi384ELb1ELi1EEEvPKT_PKT0_PfPimiif,comdat
.Lfunc_end41:
	.size	_ZN5aiter24topk_softplus_kernel_optIf6__halfLi384ELb1ELi1EEEvPKT_PKT0_PfPimiif, .Lfunc_end41-_ZN5aiter24topk_softplus_kernel_optIf6__halfLi384ELb1ELi1EEEvPKT_PKT0_PfPimiif
                                        ; -- End function
	.section	.AMDGPU.csdata,"",@progbits
; Kernel info:
; codeLenInByte = 28036
; NumSgprs: 18
; NumVgprs: 184
; ScratchSize: 196
; MemoryBound: 0
; FloatMode: 240
; IeeeMode: 1
; LDSByteSize: 0 bytes/workgroup (compile time only)
; SGPRBlocks: 2
; VGPRBlocks: 22
; NumSGPRsForWavesPerEU: 18
; NumVGPRsForWavesPerEU: 184
; Occupancy: 8
; WaveLimiterHint : 0
; COMPUTE_PGM_RSRC2:SCRATCH_EN: 1
; COMPUTE_PGM_RSRC2:USER_SGPR: 15
; COMPUTE_PGM_RSRC2:TRAP_HANDLER: 0
; COMPUTE_PGM_RSRC2:TGID_X_EN: 1
; COMPUTE_PGM_RSRC2:TGID_Y_EN: 0
; COMPUTE_PGM_RSRC2:TGID_Z_EN: 0
; COMPUTE_PGM_RSRC2:TIDIG_COMP_CNT: 0
	.section	.text._ZN5aiter24topk_softplus_kernel_optIf6__halfLi384ELb0ELi1EEEvPKT_PKT0_PfPimiif,"axG",@progbits,_ZN5aiter24topk_softplus_kernel_optIf6__halfLi384ELb0ELi1EEEvPKT_PKT0_PfPimiif,comdat
	.protected	_ZN5aiter24topk_softplus_kernel_optIf6__halfLi384ELb0ELi1EEEvPKT_PKT0_PfPimiif ; -- Begin function _ZN5aiter24topk_softplus_kernel_optIf6__halfLi384ELb0ELi1EEEvPKT_PKT0_PfPimiif
	.globl	_ZN5aiter24topk_softplus_kernel_optIf6__halfLi384ELb0ELi1EEEvPKT_PKT0_PfPimiif
	.p2align	8
	.type	_ZN5aiter24topk_softplus_kernel_optIf6__halfLi384ELb0ELi1EEEvPKT_PKT0_PfPimiif,@function
_ZN5aiter24topk_softplus_kernel_optIf6__halfLi384ELb0ELi1EEEvPKT_PKT0_PfPimiif: ; @_ZN5aiter24topk_softplus_kernel_optIf6__halfLi384ELb0ELi1EEEvPKT_PKT0_PfPimiif
; %bb.0:
	s_load_b128 s[4:7], s[0:1], 0x0
	s_mul_i32 s2, s15, 0x180
	v_lshlrev_b32_e32 v183, 2, v0
	s_ashr_i32 s3, s2, 31
	v_lshlrev_b32_e32 v3, 1, v0
	s_lshl_b64 s[2:3], s[2:3], 2
	s_waitcnt lgkmcnt(0)
	s_add_u32 s4, s4, s2
	s_addc_u32 s5, s5, s3
	s_cmp_lg_u64 s[6:7], 0
	global_load_b32 v1, v183, s[4:5]
	s_cselect_b32 s2, -1, 0
	s_waitcnt vmcnt(0)
	v_mul_f32_e32 v2, 0xbfb8aa3b, v1
	s_delay_alu instid0(VALU_DEP_1) | instskip(SKIP_1) | instid1(VALU_DEP_1)
	v_cmp_gt_f32_e32 vcc_lo, 0xc2fc0000, v2
	v_cndmask_b32_e64 v2, 0, 0x42800000, vcc_lo
	v_fmac_f32_e32 v2, 0xbfb8aa3b, v1
	s_delay_alu instid0(VALU_DEP_1) | instskip(SKIP_4) | instid1(VALU_DEP_1)
	v_exp_f32_e32 v1, v2
	v_cndmask_b32_e64 v2, 1.0, 0x1f800000, vcc_lo
	s_and_b32 vcc_lo, exec_lo, s2
	s_waitcnt_depctr 0xfff
	v_fma_f32 v1, v1, v2, 1.0
	v_rcp_f32_e32 v37, v1
	v_add_co_u32 v1, s3, s4, v183
	s_delay_alu instid0(VALU_DEP_1)
	v_add_co_ci_u32_e64 v2, null, s5, 0, s3
	s_waitcnt_depctr 0xfff
	v_mov_b32_e32 v48, v37
	s_cbranch_vccz .LBB42_2
; %bb.1:
	global_load_u16 v4, v3, s[6:7]
	s_waitcnt vmcnt(0)
	v_cvt_f32_f16_e32 v4, v4
	s_delay_alu instid0(VALU_DEP_1)
	v_add_f32_e32 v48, v37, v4
.LBB42_2:
	global_load_b32 v4, v[1:2], off offset:128
	s_waitcnt vmcnt(0)
	v_mul_f32_e32 v5, 0xbfb8aa3b, v4
	s_delay_alu instid0(VALU_DEP_1) | instskip(SKIP_3) | instid1(VALU_DEP_2)
	v_cmp_gt_f32_e32 vcc_lo, 0xc2fc0000, v5
	v_cndmask_b32_e64 v6, 0, 0x42800000, vcc_lo
	v_cndmask_b32_e64 v5, 1.0, 0x1f800000, vcc_lo
	s_and_not1_b32 vcc_lo, exec_lo, s2
	v_fmac_f32_e32 v6, 0xbfb8aa3b, v4
	s_delay_alu instid0(VALU_DEP_1) | instskip(SKIP_2) | instid1(VALU_DEP_1)
	v_exp_f32_e32 v4, v6
	s_waitcnt_depctr 0xfff
	v_fma_f32 v4, v4, v5, 1.0
	v_rcp_f32_e32 v14, v4
	v_cndmask_b32_e64 v4, 0, 1, s2
	s_waitcnt_depctr 0xfff
	v_mov_b32_e32 v49, v14
	s_cbranch_vccnz .LBB42_4
; %bb.3:
	global_load_u16 v5, v3, s[6:7] offset:64
	s_waitcnt vmcnt(0)
	v_cvt_f32_f16_e32 v5, v5
	s_delay_alu instid0(VALU_DEP_1)
	v_add_f32_e32 v49, v14, v5
.LBB42_4:
	global_load_b32 v5, v[1:2], off offset:256
	s_waitcnt vmcnt(0)
	v_mul_f32_e32 v6, 0xbfb8aa3b, v5
	s_delay_alu instid0(VALU_DEP_1) | instskip(SKIP_3) | instid1(VALU_DEP_3)
	v_cmp_gt_f32_e32 vcc_lo, 0xc2fc0000, v6
	v_cndmask_b32_e64 v7, 0, 0x42800000, vcc_lo
	v_cndmask_b32_e64 v6, 1.0, 0x1f800000, vcc_lo
	v_cmp_ne_u32_e32 vcc_lo, 1, v4
	v_fmac_f32_e32 v7, 0xbfb8aa3b, v5
	s_and_b32 vcc_lo, exec_lo, vcc_lo
	s_delay_alu instid0(VALU_DEP_1) | instskip(SKIP_2) | instid1(VALU_DEP_1)
	v_exp_f32_e32 v5, v7
	s_waitcnt_depctr 0xfff
	v_fma_f32 v5, v5, v6, 1.0
	v_rcp_f32_e32 v15, v5
	s_waitcnt_depctr 0xfff
	v_mov_b32_e32 v50, v15
	s_cbranch_vccnz .LBB42_6
; %bb.5:
	global_load_u16 v5, v3, s[6:7] offset:128
	s_waitcnt vmcnt(0)
	v_cvt_f32_f16_e32 v5, v5
	s_delay_alu instid0(VALU_DEP_1)
	v_add_f32_e32 v50, v15, v5
.LBB42_6:
	global_load_b32 v5, v[1:2], off offset:384
	s_waitcnt vmcnt(0)
	v_mul_f32_e32 v6, 0xbfb8aa3b, v5
	s_delay_alu instid0(VALU_DEP_1) | instskip(SKIP_3) | instid1(VALU_DEP_3)
	v_cmp_gt_f32_e32 vcc_lo, 0xc2fc0000, v6
	v_cndmask_b32_e64 v7, 0, 0x42800000, vcc_lo
	v_cndmask_b32_e64 v6, 1.0, 0x1f800000, vcc_lo
	v_cmp_ne_u32_e32 vcc_lo, 1, v4
	v_fmac_f32_e32 v7, 0xbfb8aa3b, v5
	s_and_b32 vcc_lo, exec_lo, vcc_lo
	s_delay_alu instid0(VALU_DEP_1) | instskip(SKIP_2) | instid1(VALU_DEP_1)
	v_exp_f32_e32 v5, v7
	s_waitcnt_depctr 0xfff
	v_fma_f32 v5, v5, v6, 1.0
	v_rcp_f32_e32 v16, v5
	s_waitcnt_depctr 0xfff
	v_mov_b32_e32 v51, v16
	s_cbranch_vccnz .LBB42_8
; %bb.7:
	global_load_u16 v5, v3, s[6:7] offset:192
	s_waitcnt vmcnt(0)
	v_cvt_f32_f16_e32 v5, v5
	s_delay_alu instid0(VALU_DEP_1)
	v_add_f32_e32 v51, v16, v5
.LBB42_8:
	global_load_b32 v5, v[1:2], off offset:512
	s_waitcnt vmcnt(0)
	v_mul_f32_e32 v6, 0xbfb8aa3b, v5
	s_delay_alu instid0(VALU_DEP_1) | instskip(SKIP_3) | instid1(VALU_DEP_3)
	v_cmp_gt_f32_e32 vcc_lo, 0xc2fc0000, v6
	v_cndmask_b32_e64 v7, 0, 0x42800000, vcc_lo
	v_cndmask_b32_e64 v6, 1.0, 0x1f800000, vcc_lo
	v_cmp_ne_u32_e32 vcc_lo, 1, v4
	v_fmac_f32_e32 v7, 0xbfb8aa3b, v5
	s_and_b32 vcc_lo, exec_lo, vcc_lo
	s_delay_alu instid0(VALU_DEP_1) | instskip(SKIP_2) | instid1(VALU_DEP_1)
	v_exp_f32_e32 v5, v7
	s_waitcnt_depctr 0xfff
	v_fma_f32 v5, v5, v6, 1.0
	v_rcp_f32_e32 v17, v5
	s_waitcnt_depctr 0xfff
	v_mov_b32_e32 v52, v17
	s_cbranch_vccnz .LBB42_10
; %bb.9:
	global_load_u16 v5, v3, s[6:7] offset:256
	s_waitcnt vmcnt(0)
	v_cvt_f32_f16_e32 v5, v5
	s_delay_alu instid0(VALU_DEP_1)
	v_add_f32_e32 v52, v17, v5
.LBB42_10:
	global_load_b32 v5, v[1:2], off offset:640
	s_waitcnt vmcnt(0)
	v_mul_f32_e32 v6, 0xbfb8aa3b, v5
	s_delay_alu instid0(VALU_DEP_1) | instskip(SKIP_3) | instid1(VALU_DEP_3)
	v_cmp_gt_f32_e32 vcc_lo, 0xc2fc0000, v6
	v_cndmask_b32_e64 v7, 0, 0x42800000, vcc_lo
	v_cndmask_b32_e64 v6, 1.0, 0x1f800000, vcc_lo
	v_cmp_ne_u32_e32 vcc_lo, 1, v4
	v_fmac_f32_e32 v7, 0xbfb8aa3b, v5
	s_and_b32 vcc_lo, exec_lo, vcc_lo
	s_delay_alu instid0(VALU_DEP_1) | instskip(SKIP_2) | instid1(VALU_DEP_1)
	v_exp_f32_e32 v5, v7
	s_waitcnt_depctr 0xfff
	v_fma_f32 v5, v5, v6, 1.0
	v_rcp_f32_e32 v18, v5
	s_waitcnt_depctr 0xfff
	v_mov_b32_e32 v53, v18
	s_cbranch_vccnz .LBB42_12
; %bb.11:
	global_load_u16 v5, v3, s[6:7] offset:320
	s_waitcnt vmcnt(0)
	v_cvt_f32_f16_e32 v5, v5
	s_delay_alu instid0(VALU_DEP_1)
	v_add_f32_e32 v53, v18, v5
.LBB42_12:
	global_load_b32 v5, v[1:2], off offset:768
	s_waitcnt vmcnt(0)
	v_mul_f32_e32 v6, 0xbfb8aa3b, v5
	s_delay_alu instid0(VALU_DEP_1) | instskip(SKIP_3) | instid1(VALU_DEP_3)
	v_cmp_gt_f32_e32 vcc_lo, 0xc2fc0000, v6
	v_cndmask_b32_e64 v7, 0, 0x42800000, vcc_lo
	v_cndmask_b32_e64 v6, 1.0, 0x1f800000, vcc_lo
	v_cmp_ne_u32_e32 vcc_lo, 1, v4
	v_fmac_f32_e32 v7, 0xbfb8aa3b, v5
	s_and_b32 vcc_lo, exec_lo, vcc_lo
	s_delay_alu instid0(VALU_DEP_1) | instskip(SKIP_2) | instid1(VALU_DEP_1)
	v_exp_f32_e32 v5, v7
	s_waitcnt_depctr 0xfff
	v_fma_f32 v5, v5, v6, 1.0
	v_rcp_f32_e32 v19, v5
	s_waitcnt_depctr 0xfff
	v_mov_b32_e32 v54, v19
	s_cbranch_vccnz .LBB42_14
; %bb.13:
	global_load_u16 v5, v3, s[6:7] offset:384
	s_waitcnt vmcnt(0)
	v_cvt_f32_f16_e32 v5, v5
	s_delay_alu instid0(VALU_DEP_1)
	v_add_f32_e32 v54, v19, v5
.LBB42_14:
	global_load_b32 v5, v[1:2], off offset:896
	s_waitcnt vmcnt(0)
	v_mul_f32_e32 v6, 0xbfb8aa3b, v5
	s_delay_alu instid0(VALU_DEP_1) | instskip(SKIP_3) | instid1(VALU_DEP_3)
	v_cmp_gt_f32_e32 vcc_lo, 0xc2fc0000, v6
	v_cndmask_b32_e64 v7, 0, 0x42800000, vcc_lo
	v_cndmask_b32_e64 v6, 1.0, 0x1f800000, vcc_lo
	v_cmp_ne_u32_e32 vcc_lo, 1, v4
	v_fmac_f32_e32 v7, 0xbfb8aa3b, v5
	s_and_b32 vcc_lo, exec_lo, vcc_lo
	s_delay_alu instid0(VALU_DEP_1) | instskip(SKIP_2) | instid1(VALU_DEP_1)
	v_exp_f32_e32 v5, v7
	s_waitcnt_depctr 0xfff
	v_fma_f32 v5, v5, v6, 1.0
	v_rcp_f32_e32 v20, v5
	s_waitcnt_depctr 0xfff
	v_mov_b32_e32 v55, v20
	s_cbranch_vccnz .LBB42_16
; %bb.15:
	global_load_u16 v5, v3, s[6:7] offset:448
	s_waitcnt vmcnt(0)
	v_cvt_f32_f16_e32 v5, v5
	s_delay_alu instid0(VALU_DEP_1)
	v_add_f32_e32 v55, v20, v5
.LBB42_16:
	global_load_b32 v5, v[1:2], off offset:1024
	s_waitcnt vmcnt(0)
	v_mul_f32_e32 v6, 0xbfb8aa3b, v5
	s_delay_alu instid0(VALU_DEP_1) | instskip(SKIP_3) | instid1(VALU_DEP_3)
	v_cmp_gt_f32_e32 vcc_lo, 0xc2fc0000, v6
	v_cndmask_b32_e64 v7, 0, 0x42800000, vcc_lo
	v_cndmask_b32_e64 v6, 1.0, 0x1f800000, vcc_lo
	v_cmp_ne_u32_e32 vcc_lo, 1, v4
	v_fmac_f32_e32 v7, 0xbfb8aa3b, v5
	s_and_b32 vcc_lo, exec_lo, vcc_lo
	s_delay_alu instid0(VALU_DEP_1) | instskip(SKIP_2) | instid1(VALU_DEP_1)
	v_exp_f32_e32 v5, v7
	s_waitcnt_depctr 0xfff
	v_fma_f32 v5, v5, v6, 1.0
	v_rcp_f32_e32 v21, v5
	s_waitcnt_depctr 0xfff
	v_mov_b32_e32 v56, v21
	s_cbranch_vccnz .LBB42_18
; %bb.17:
	global_load_u16 v5, v3, s[6:7] offset:512
	s_waitcnt vmcnt(0)
	v_cvt_f32_f16_e32 v5, v5
	s_delay_alu instid0(VALU_DEP_1)
	v_add_f32_e32 v56, v21, v5
.LBB42_18:
	global_load_b32 v5, v[1:2], off offset:1152
	s_waitcnt vmcnt(0)
	v_mul_f32_e32 v6, 0xbfb8aa3b, v5
	s_delay_alu instid0(VALU_DEP_1) | instskip(SKIP_3) | instid1(VALU_DEP_3)
	v_cmp_gt_f32_e32 vcc_lo, 0xc2fc0000, v6
	v_cndmask_b32_e64 v7, 0, 0x42800000, vcc_lo
	v_cndmask_b32_e64 v6, 1.0, 0x1f800000, vcc_lo
	v_cmp_ne_u32_e32 vcc_lo, 1, v4
	v_fmac_f32_e32 v7, 0xbfb8aa3b, v5
	s_and_b32 vcc_lo, exec_lo, vcc_lo
	s_delay_alu instid0(VALU_DEP_1) | instskip(SKIP_2) | instid1(VALU_DEP_1)
	v_exp_f32_e32 v5, v7
	s_waitcnt_depctr 0xfff
	v_fma_f32 v5, v5, v6, 1.0
	v_rcp_f32_e32 v22, v5
	s_waitcnt_depctr 0xfff
	v_mov_b32_e32 v57, v22
	s_cbranch_vccnz .LBB42_20
; %bb.19:
	global_load_u16 v5, v3, s[6:7] offset:576
	s_waitcnt vmcnt(0)
	v_cvt_f32_f16_e32 v5, v5
	s_delay_alu instid0(VALU_DEP_1)
	v_add_f32_e32 v57, v22, v5
.LBB42_20:
	global_load_b32 v5, v[1:2], off offset:1280
	s_waitcnt vmcnt(0)
	v_mul_f32_e32 v6, 0xbfb8aa3b, v5
	s_delay_alu instid0(VALU_DEP_1) | instskip(SKIP_3) | instid1(VALU_DEP_3)
	v_cmp_gt_f32_e32 vcc_lo, 0xc2fc0000, v6
	v_cndmask_b32_e64 v7, 0, 0x42800000, vcc_lo
	v_cndmask_b32_e64 v6, 1.0, 0x1f800000, vcc_lo
	v_cmp_ne_u32_e32 vcc_lo, 1, v4
	v_fmac_f32_e32 v7, 0xbfb8aa3b, v5
	s_and_b32 vcc_lo, exec_lo, vcc_lo
	s_delay_alu instid0(VALU_DEP_1) | instskip(SKIP_2) | instid1(VALU_DEP_1)
	v_exp_f32_e32 v5, v7
	s_waitcnt_depctr 0xfff
	v_fma_f32 v5, v5, v6, 1.0
	v_rcp_f32_e32 v23, v5
	s_waitcnt_depctr 0xfff
	v_mov_b32_e32 v58, v23
	s_cbranch_vccnz .LBB42_22
; %bb.21:
	global_load_u16 v5, v3, s[6:7] offset:640
	s_waitcnt vmcnt(0)
	v_cvt_f32_f16_e32 v5, v5
	s_delay_alu instid0(VALU_DEP_1)
	v_add_f32_e32 v58, v23, v5
.LBB42_22:
	global_load_b32 v1, v[1:2], off offset:1408
	s_waitcnt vmcnt(0)
	v_mul_f32_e32 v2, 0xbfb8aa3b, v1
	s_delay_alu instid0(VALU_DEP_1) | instskip(SKIP_3) | instid1(VALU_DEP_3)
	v_cmp_gt_f32_e32 vcc_lo, 0xc2fc0000, v2
	v_cndmask_b32_e64 v5, 0, 0x42800000, vcc_lo
	v_cndmask_b32_e64 v2, 1.0, 0x1f800000, vcc_lo
	v_cmp_ne_u32_e32 vcc_lo, 1, v4
	v_fmac_f32_e32 v5, 0xbfb8aa3b, v1
	s_delay_alu instid0(VALU_DEP_1) | instskip(SKIP_2) | instid1(VALU_DEP_1)
	v_exp_f32_e32 v1, v5
	s_waitcnt_depctr 0xfff
	v_fma_f32 v1, v1, v2, 1.0
	v_rcp_f32_e32 v24, v1
	s_cbranch_vccnz .LBB42_24
; %bb.23:
	global_load_u16 v1, v3, s[6:7] offset:704
	s_waitcnt vmcnt(0)
	v_cvt_f32_f16_e32 v1, v1
	s_delay_alu instid0(VALU_DEP_1)
	v_add_f32_e32 v59, v24, v1
	s_branch .LBB42_25
.LBB42_24:
	s_waitcnt_depctr 0xfff
	v_mov_b32_e32 v59, v24
.LBB42_25:
	v_dual_mov_b32 v1, v48 :: v_dual_add_nc_u32 v26, 32, v0
	v_dual_mov_b32 v2, v49 :: v_dual_add_nc_u32 v27, 64, v0
	;; [unrolled: 1-line block ×11, first 2 shown]
	v_dual_mov_b32 v12, v59 :: v_dual_mov_b32 v13, v37
	v_mov_b32_e32 v25, v0
	s_mov_b32 s2, exec_lo
	v_cmpx_lt_f32_e32 v48, v49
	s_xor_b32 s2, exec_lo, s2
; %bb.26:
	v_dual_mov_b32 v1, v49 :: v_dual_mov_b32 v2, v48
	v_dual_mov_b32 v3, v50 :: v_dual_mov_b32 v4, v51
	;; [unrolled: 1-line block ×6, first 2 shown]
	v_mov_b32_e32 v49, v48
	v_dual_mov_b32 v13, v14 :: v_dual_mov_b32 v14, v37
	v_dual_mov_b32 v25, v26 :: v_dual_mov_b32 v26, v0
; %bb.27:
	s_or_b32 exec_lo, exec_lo, s2
	v_dual_mov_b32 v122, v24 :: v_dual_mov_b32 v119, v21
	v_dual_mov_b32 v86, v24 :: v_dual_mov_b32 v85, v23
	;; [unrolled: 1-line block ×37, first 2 shown]
	s_clause 0x8
	scratch_store_b128 off, v[13:16], off
	scratch_store_b128 off, v[17:20], off offset:16
	scratch_store_b128 off, v[21:24], off offset:32
	;; [unrolled: 1-line block ×8, first 2 shown]
	v_dual_mov_b32 v72, v34 :: v_dual_mov_b32 v69, v31
	v_dual_mov_b32 v70, v32 :: v_dual_mov_b32 v67, v29
	;; [unrolled: 1-line block ×29, first 2 shown]
	v_mov_b32_e32 v160, v26
	s_clause 0x2
	scratch_store_b128 off, v[25:28], off offset:144
	scratch_store_b128 off, v[29:32], off offset:160
	scratch_store_b128 off, v[33:36], off offset:176
	s_mov_b32 s2, exec_lo
	v_dual_mov_b32 v182, v36 :: v_dual_mov_b32 v179, v33
	v_dual_mov_b32 v181, v35 :: v_dual_mov_b32 v180, v34
	;; [unrolled: 1-line block ×6, first 2 shown]
	v_cmpx_lt_f32_e32 v49, v3
	s_cbranch_execz .LBB42_29
; %bb.28:
	v_dual_mov_b32 v182, v36 :: v_dual_mov_b32 v179, v33
	v_dual_mov_b32 v174, v28 :: v_dual_mov_b32 v171, v25
	;; [unrolled: 1-line block ×3, first 2 shown]
	v_mov_b32_e32 v172, v26
	v_dual_mov_b32 v62, v49 :: v_dual_mov_b32 v181, v35
	v_dual_mov_b32 v180, v34 :: v_dual_mov_b32 v177, v31
	;; [unrolled: 1-line block ×11, first 2 shown]
	v_mov_b32_e32 v125, v14
	v_dual_mov_b32 v162, v174 :: v_dual_mov_b32 v163, v175
	v_dual_mov_b32 v164, v176 :: v_dual_mov_b32 v165, v177
	v_dual_mov_b32 v160, v172 :: v_dual_mov_b32 v161, v173
	v_dual_mov_b32 v166, v178 :: v_dual_mov_b32 v167, v179
	v_dual_mov_b32 v168, v180 :: v_dual_mov_b32 v169, v181
	v_mov_b32_e32 v162, v28
	v_dual_mov_b32 v170, v182 :: v_dual_mov_b32 v37, v159
	s_clause 0x2
	scratch_store_b128 off, v[123:126], off offset:96
	scratch_store_b128 off, v[127:130], off offset:112
	;; [unrolled: 1-line block ×3, first 2 shown]
	v_dual_mov_b32 v42, v164 :: v_dual_mov_b32 v47, v169
	v_dual_mov_b32 v126, v16 :: v_dual_mov_b32 v45, v167
	;; [unrolled: 1-line block ×5, first 2 shown]
	v_mov_b32_e32 v38, v160
	v_mov_b32_e32 v40, v162
	s_clause 0x2
	scratch_store_b128 off, v[37:40], off offset:144
	scratch_store_b128 off, v[41:44], off offset:160
	;; [unrolled: 1-line block ×3, first 2 shown]
	v_dual_mov_b32 v2, v3 :: v_dual_mov_b32 v3, v49
	v_mov_b32_e32 v147, v159
	v_mov_b32_e32 v127, v17
	;; [unrolled: 1-line block ×3, first 2 shown]
	v_dual_mov_b32 v151, v163 :: v_dual_mov_b32 v148, v160
	v_dual_mov_b32 v153, v165 :: v_dual_mov_b32 v152, v164
	;; [unrolled: 1-line block ×3, first 2 shown]
	v_mov_b32_e32 v158, v170
	v_dual_mov_b32 v150, v162 :: v_dual_mov_b32 v155, v167
	v_mov_b32_e32 v156, v168
	v_mov_b32_e32 v152, v30
	;; [unrolled: 1-line block ×3, first 2 shown]
	v_dual_mov_b32 v27, v26 :: v_dual_mov_b32 v42, v128
	v_mov_b32_e32 v37, v123
	v_dual_mov_b32 v43, v129 :: v_dual_mov_b32 v44, v130
	v_mov_b32_e32 v39, v125
	v_dual_mov_b32 v45, v131 :: v_dual_mov_b32 v46, v132
	v_dual_mov_b32 v47, v133 :: v_dual_mov_b32 v48, v134
	v_mov_b32_e32 v38, v124
	v_mov_b32_e32 v40, v126
	s_clause 0x2
	scratch_store_b128 off, v[37:40], off offset:48
	scratch_store_b128 off, v[41:44], off offset:64
	;; [unrolled: 1-line block ×3, first 2 shown]
	v_mov_b32_e32 v37, v123
	v_mov_b32_e32 v39, v125
	v_dual_mov_b32 v41, v127 :: v_dual_mov_b32 v38, v124
	v_mov_b32_e32 v99, v147
	v_mov_b32_e32 v105, v153
	v_dual_mov_b32 v105, v31 :: v_dual_mov_b32 v106, v154
	v_dual_mov_b32 v40, v126 :: v_dual_mov_b32 v101, v149
	;; [unrolled: 1-line block ×3, first 2 shown]
	v_mov_b32_e32 v110, v158
	v_mov_b32_e32 v50, v123
	v_dual_mov_b32 v100, v148 :: v_dual_mov_b32 v107, v155
	v_dual_mov_b32 v102, v150 :: v_dual_mov_b32 v109, v157
	;; [unrolled: 1-line block ×7, first 2 shown]
	v_mov_b32_e32 v58, v131
	v_mov_b32_e32 v56, v19
	s_clause 0x2
	scratch_store_b128 off, v[37:40], off
	scratch_store_b128 off, v[41:44], off offset:16
	scratch_store_b128 off, v[45:48], off offset:32
	v_dual_mov_b32 v60, v133 :: v_dual_mov_b32 v55, v128
	v_mov_b32_e32 v37, v99
	v_mov_b32_e32 v41, v103
	;; [unrolled: 1-line block ×3, first 2 shown]
	v_dual_mov_b32 v43, v105 :: v_dual_mov_b32 v48, v110
	v_dual_mov_b32 v38, v100 :: v_dual_mov_b32 v45, v107
	v_mov_b32_e32 v44, v106
	v_dual_mov_b32 v122, v61 :: v_dual_mov_b32 v113, v52
	v_dual_mov_b32 v40, v102 :: v_dual_mov_b32 v47, v109
	;; [unrolled: 1-line block ×7, first 2 shown]
	v_mov_b32_e32 v114, v53
	v_mov_b32_e32 v116, v55
	;; [unrolled: 1-line block ×4, first 2 shown]
	v_dual_mov_b32 v98, v48 :: v_dual_mov_b32 v95, v45
	v_mov_b32_e32 v95, v33
	v_mov_b32_e32 v93, v43
	;; [unrolled: 1-line block ×4, first 2 shown]
	v_dual_mov_b32 v87, v37 :: v_dual_mov_b32 v146, v122
	v_dual_mov_b32 v137, v113 :: v_dual_mov_b32 v96, v46
	;; [unrolled: 1-line block ×3, first 2 shown]
	v_mov_b32_e32 v135, v111
	v_dual_mov_b32 v97, v47 :: v_dual_mov_b32 v94, v44
	v_dual_mov_b32 v92, v42 :: v_dual_mov_b32 v143, v119
	v_dual_mov_b32 v90, v40 :: v_dual_mov_b32 v141, v117
	v_dual_mov_b32 v88, v38 :: v_dual_mov_b32 v139, v115
	v_mov_b32_e32 v138, v114
	v_dual_mov_b32 v142, v118 :: v_dual_mov_b32 v143, v21
	v_dual_mov_b32 v140, v116 :: v_dual_mov_b32 v63, v87
	;; [unrolled: 1-line block ×8, first 2 shown]
	v_mov_b32_e32 v86, v146
	v_dual_mov_b32 v64, v88 :: v_dual_mov_b32 v69, v93
	v_dual_mov_b32 v66, v90 :: v_dual_mov_b32 v71, v95
	;; [unrolled: 1-line block ×7, first 2 shown]
	v_mov_b32_e32 v82, v142
	v_mov_b32_e32 v84, v22
	;; [unrolled: 1-line block ×3, first 2 shown]
.LBB42_29:
	s_or_b32 exec_lo, exec_lo, s2
	v_mov_b32_e32 v13, v4
	s_mov_b32 s2, exec_lo
	v_cmpx_lt_f32_e32 v62, v4
	s_cbranch_execz .LBB42_31
; %bb.30:
	s_clause 0x2
	scratch_load_b128 v[37:40], off, off offset:96
	scratch_load_b128 v[41:44], off, off offset:112
	;; [unrolled: 1-line block ×3, first 2 shown]
	v_dual_mov_b32 v173, v28 :: v_dual_mov_b32 v28, v27
	v_mov_b32_e32 v3, v4
	s_waitcnt vmcnt(0)
	v_dual_mov_b32 v13, v62 :: v_dual_mov_b32 v134, v48
	v_dual_mov_b32 v133, v47 :: v_dual_mov_b32 v124, v38
	;; [unrolled: 1-line block ×3, first 2 shown]
	v_mov_b32_e32 v125, v16
	v_dual_mov_b32 v159, v171 :: v_dual_mov_b32 v160, v172
	s_delay_alu instid0(VALU_DEP_3) | instskip(NEXT) | instid1(VALU_DEP_3)
	v_dual_mov_b32 v162, v174 :: v_dual_mov_b32 v37, v123
	v_dual_mov_b32 v38, v124 :: v_dual_mov_b32 v39, v125
	;; [unrolled: 1-line block ×5, first 2 shown]
	v_mov_b32_e32 v126, v15
	s_clause 0x2
	scratch_store_b128 off, v[37:40], off offset:96
	scratch_store_b128 off, v[41:44], off offset:112
	scratch_store_b128 off, v[45:48], off offset:128
	v_dual_mov_b32 v161, v173 :: v_dual_mov_b32 v164, v176
	v_dual_mov_b32 v167, v179 :: v_dual_mov_b32 v170, v182
	v_dual_mov_b32 v163, v175 :: v_dual_mov_b32 v166, v178
	v_dual_mov_b32 v165, v177 :: v_dual_mov_b32 v168, v180
	v_dual_mov_b32 v169, v181 :: v_dual_mov_b32 v162, v27
	s_delay_alu instid0(VALU_DEP_2) | instskip(SKIP_2) | instid1(VALU_DEP_4)
	v_dual_mov_b32 v42, v164 :: v_dual_mov_b32 v43, v165
	v_dual_mov_b32 v48, v170 :: v_dual_mov_b32 v37, v159
	v_dual_mov_b32 v44, v166 :: v_dual_mov_b32 v45, v167
	v_dual_mov_b32 v46, v168 :: v_dual_mov_b32 v47, v169
	v_dual_mov_b32 v38, v160 :: v_dual_mov_b32 v39, v161
	v_dual_mov_b32 v40, v162 :: v_dual_mov_b32 v163, v29
	s_clause 0x2
	scratch_store_b128 off, v[37:40], off offset:144
	scratch_store_b128 off, v[41:44], off offset:160
	;; [unrolled: 1-line block ×3, first 2 shown]
	v_dual_mov_b32 v42, v128 :: v_dual_mov_b32 v43, v129
	v_dual_mov_b32 v48, v134 :: v_dual_mov_b32 v37, v123
	;; [unrolled: 1-line block ×6, first 2 shown]
	s_clause 0x2
	scratch_store_b128 off, v[37:40], off offset:48
	scratch_store_b128 off, v[41:44], off offset:64
	;; [unrolled: 1-line block ×3, first 2 shown]
	v_dual_mov_b32 v147, v159 :: v_dual_mov_b32 v148, v160
	v_dual_mov_b32 v151, v163 :: v_dual_mov_b32 v152, v164
	;; [unrolled: 1-line block ×10, first 2 shown]
	s_delay_alu instid0(VALU_DEP_4)
	v_dual_mov_b32 v106, v154 :: v_dual_mov_b32 v107, v155
	v_mov_b32_e32 v110, v158
	v_dual_mov_b32 v100, v148 :: v_dual_mov_b32 v101, v149
	v_dual_mov_b32 v104, v152 :: v_dual_mov_b32 v105, v153
	;; [unrolled: 1-line block ×5, first 2 shown]
	v_mov_b32_e32 v61, v134
	s_clause 0x2
	scratch_store_b128 off, v[37:40], off
	scratch_store_b128 off, v[41:44], off offset:16
	scratch_store_b128 off, v[45:48], off offset:32
	v_dual_mov_b32 v54, v127 :: v_dual_mov_b32 v55, v128
	v_dual_mov_b32 v56, v129 :: v_dual_mov_b32 v57, v130
	;; [unrolled: 1-line block ×8, first 2 shown]
	v_mov_b32_e32 v48, v110
	v_mov_b32_e32 v44, v32
	v_dual_mov_b32 v42, v104 :: v_dual_mov_b32 v43, v105
	v_dual_mov_b32 v46, v108 :: v_dual_mov_b32 v47, v109
	;; [unrolled: 1-line block ×9, first 2 shown]
	v_mov_b32_e32 v114, v53
	v_mov_b32_e32 v112, v51
	v_dual_mov_b32 v98, v48 :: v_dual_mov_b32 v91, v41
	v_dual_mov_b32 v94, v44 :: v_dual_mov_b32 v87, v37
	;; [unrolled: 1-line block ×3, first 2 shown]
	v_mov_b32_e32 v89, v39
	v_mov_b32_e32 v95, v45
	v_dual_mov_b32 v93, v43 :: v_dual_mov_b32 v146, v122
	v_dual_mov_b32 v143, v119 :: v_dual_mov_b32 v140, v116
	;; [unrolled: 1-line block ×15, first 2 shown]
	v_mov_b32_e32 v86, v146
	v_dual_mov_b32 v64, v88 :: v_dual_mov_b32 v65, v89
	v_dual_mov_b32 v66, v90 :: v_dual_mov_b32 v67, v91
	;; [unrolled: 1-line block ×8, first 2 shown]
	v_mov_b32_e32 v84, v22
	v_mov_b32_e32 v86, v24
.LBB42_31:
	s_or_b32 exec_lo, exec_lo, s2
	v_mov_b32_e32 v14, v5
	s_mov_b32 s2, exec_lo
	v_cmpx_lt_f32_e32 v13, v5
	s_cbranch_execz .LBB42_33
; %bb.32:
	s_clause 0x2
	scratch_load_b128 v[37:40], off, off offset:96
	scratch_load_b128 v[41:44], off, off offset:112
	;; [unrolled: 1-line block ×3, first 2 shown]
	v_mov_b32_e32 v174, v29
	v_mov_b32_e32 v14, v13
	;; [unrolled: 1-line block ×3, first 2 shown]
	v_dual_mov_b32 v17, v16 :: v_dual_mov_b32 v4, v5
	v_mov_b32_e32 v29, v28
	s_waitcnt vmcnt(0)
	v_dual_mov_b32 v73, v48 :: v_dual_mov_b32 v64, v39
	v_dual_mov_b32 v70, v45 :: v_dual_mov_b32 v69, v44
	v_dual_mov_b32 v68, v43 :: v_dual_mov_b32 v67, v42
	v_dual_mov_b32 v66, v41 :: v_dual_mov_b32 v63, v38
	v_dual_mov_b32 v62, v37 :: v_dual_mov_b32 v159, v171
	v_dual_mov_b32 v72, v47 :: v_dual_mov_b32 v71, v46
	v_dual_mov_b32 v160, v172 :: v_dual_mov_b32 v161, v173
	v_dual_mov_b32 v162, v174 :: v_dual_mov_b32 v163, v175
	v_dual_mov_b32 v164, v176 :: v_dual_mov_b32 v165, v177
	v_dual_mov_b32 v166, v178 :: v_dual_mov_b32 v167, v179
	v_dual_mov_b32 v168, v180 :: v_dual_mov_b32 v169, v181
	v_dual_mov_b32 v170, v182 :: v_dual_mov_b32 v163, v28
	v_dual_mov_b32 v134, v73 :: v_dual_mov_b32 v133, v72
	v_dual_mov_b32 v130, v69 :: v_dual_mov_b32 v129, v68
	v_dual_mov_b32 v128, v67 :: v_dual_mov_b32 v127, v66
	v_dual_mov_b32 v124, v63 :: v_dual_mov_b32 v123, v62
	v_dual_mov_b32 v132, v71 :: v_dual_mov_b32 v131, v70
	v_dual_mov_b32 v126, v65 :: v_dual_mov_b32 v125, v64
	v_mov_b32_e32 v127, v16
	v_dual_mov_b32 v147, v159 :: v_dual_mov_b32 v148, v160
	v_dual_mov_b32 v149, v161 :: v_dual_mov_b32 v152, v164
	;; [unrolled: 1-line block ×19, first 2 shown]
	v_mov_b32_e32 v61, v134
	s_clause 0x2
	scratch_store_b128 off, v[37:40], off
	scratch_store_b128 off, v[41:44], off offset:16
	scratch_store_b128 off, v[45:48], off offset:32
	v_dual_mov_b32 v53, v126 :: v_dual_mov_b32 v54, v127
	v_dual_mov_b32 v101, v149 :: v_dual_mov_b32 v102, v150
	;; [unrolled: 1-line block ×10, first 2 shown]
	v_mov_b32_e32 v46, v108
	v_dual_mov_b32 v122, v61 :: v_dual_mov_b32 v121, v60
	v_dual_mov_b32 v43, v105 :: v_dual_mov_b32 v44, v106
	;; [unrolled: 1-line block ×8, first 2 shown]
	v_mov_b32_e32 v112, v51
	v_mov_b32_e32 v118, v20
	v_dual_mov_b32 v98, v48 :: v_dual_mov_b32 v93, v43
	v_dual_mov_b32 v92, v42 :: v_dual_mov_b32 v87, v37
	v_mov_b32_e32 v97, v47
	v_dual_mov_b32 v95, v45 :: v_dual_mov_b32 v146, v122
	v_dual_mov_b32 v143, v119 :: v_dual_mov_b32 v138, v114
	;; [unrolled: 1-line block ×7, first 2 shown]
	v_mov_b32_e32 v89, v39
	s_clause 0x5
	scratch_store_b128 off, v[62:65], off offset:48
	scratch_store_b128 off, v[66:69], off offset:64
	;; [unrolled: 1-line block ×6, first 2 shown]
	v_dual_mov_b32 v142, v118 :: v_dual_mov_b32 v139, v115
	v_dual_mov_b32 v140, v116 :: v_dual_mov_b32 v137, v113
	;; [unrolled: 1-line block ×17, first 2 shown]
	v_mov_b32_e32 v84, v22
	v_mov_b32_e32 v86, v24
.LBB42_33:
	s_or_b32 exec_lo, exec_lo, s2
	v_mov_b32_e32 v13, v6
	s_mov_b32 s2, exec_lo
	v_cmpx_lt_f32_e32 v14, v6
	s_cbranch_execz .LBB42_35
; %bb.34:
	s_clause 0x2
	scratch_load_b128 v[37:40], off, off offset:144
	scratch_load_b128 v[41:44], off, off offset:160
	;; [unrolled: 1-line block ×3, first 2 shown]
	v_mov_b32_e32 v5, v6
	s_waitcnt vmcnt(0)
	v_dual_mov_b32 v13, v14 :: v_dual_mov_b32 v170, v48
	v_dual_mov_b32 v169, v47 :: v_dual_mov_b32 v162, v40
	;; [unrolled: 1-line block ×6, first 2 shown]
	s_clause 0x2
	scratch_load_b128 v[37:40], off, off offset:48
	scratch_load_b128 v[41:44], off, off offset:64
	;; [unrolled: 1-line block ×3, first 2 shown]
	v_dual_mov_b32 v163, v30 :: v_dual_mov_b32 v30, v29
	s_waitcnt vmcnt(0)
	v_dual_mov_b32 v73, v48 :: v_dual_mov_b32 v72, v47
	v_dual_mov_b32 v65, v40 :: v_dual_mov_b32 v62, v37
	v_mov_b32_e32 v63, v38
	v_dual_mov_b32 v67, v42 :: v_dual_mov_b32 v64, v39
	v_dual_mov_b32 v71, v46 :: v_dual_mov_b32 v70, v45
	;; [unrolled: 1-line block ×4, first 2 shown]
	v_mov_b32_e32 v148, v160
	v_dual_mov_b32 v134, v73 :: v_dual_mov_b32 v133, v72
	v_dual_mov_b32 v124, v63 :: v_dual_mov_b32 v123, v62
	;; [unrolled: 1-line block ×11, first 2 shown]
	v_mov_b32_e32 v128, v17
	v_mov_b32_e32 v152, v29
	v_dual_mov_b32 v50, v123 :: v_dual_mov_b32 v51, v124
	v_mov_b32_e32 v99, v147
	s_delay_alu instid0(VALU_DEP_3)
	v_dual_mov_b32 v53, v126 :: v_dual_mov_b32 v104, v152
	v_dual_mov_b32 v105, v153 :: v_dual_mov_b32 v100, v148
	;; [unrolled: 1-line block ×7, first 2 shown]
	v_mov_b32_e32 v57, v130
	v_dual_mov_b32 v102, v150 :: v_dual_mov_b32 v103, v151
	v_dual_mov_b32 v108, v156 :: v_dual_mov_b32 v109, v157
	;; [unrolled: 1-line block ×3, first 2 shown]
	v_mov_b32_e32 v58, v131
	v_mov_b32_e32 v56, v19
	v_dual_mov_b32 v37, v99 :: v_dual_mov_b32 v38, v100
	v_mov_b32_e32 v39, v101
	v_dual_mov_b32 v43, v105 :: v_dual_mov_b32 v48, v110
	s_delay_alu instid0(VALU_DEP_4)
	v_dual_mov_b32 v122, v61 :: v_dual_mov_b32 v117, v56
	v_dual_mov_b32 v42, v104 :: v_dual_mov_b32 v45, v107
	;; [unrolled: 1-line block ×9, first 2 shown]
	v_mov_b32_e32 v118, v20
	v_mov_b32_e32 v44, v32
	;; [unrolled: 1-line block ×3, first 2 shown]
	v_dual_mov_b32 v98, v48 :: v_dual_mov_b32 v95, v45
	v_dual_mov_b32 v146, v122 :: v_dual_mov_b32 v145, v121
	s_delay_alu instid0(VALU_DEP_4)
	v_dual_mov_b32 v94, v44 :: v_dual_mov_b32 v87, v37
	v_dual_mov_b32 v97, v47 :: v_dual_mov_b32 v144, v120
	v_dual_mov_b32 v135, v111 :: v_dual_mov_b32 v96, v46
	v_dual_mov_b32 v89, v39 :: v_dual_mov_b32 v92, v42
	v_dual_mov_b32 v143, v119 :: v_dual_mov_b32 v6, v14
	v_mov_b32_e32 v93, v43
	v_dual_mov_b32 v91, v41 :: v_dual_mov_b32 v90, v40
	v_dual_mov_b32 v141, v117 :: v_dual_mov_b32 v88, v38
	;; [unrolled: 1-line block ×6, first 2 shown]
	s_clause 0x2
	scratch_store_b128 off, v[62:65], off
	scratch_store_b128 off, v[66:69], off offset:16
	scratch_store_b128 off, v[70:73], off offset:32
	v_dual_mov_b32 v63, v87 :: v_dual_mov_b32 v74, v98
	v_dual_mov_b32 v75, v135 :: v_dual_mov_b32 v72, v96
	;; [unrolled: 1-line block ×14, first 2 shown]
	v_mov_b32_e32 v84, v22
	v_mov_b32_e32 v86, v24
	v_mov_b32_e32 v18, v17
.LBB42_35:
	s_or_b32 exec_lo, exec_lo, s2
	v_mov_b32_e32 v14, v7
	s_mov_b32 s2, exec_lo
	v_cmpx_lt_f32_e32 v13, v7
	s_cbranch_execz .LBB42_37
; %bb.36:
	s_clause 0x2
	scratch_load_b128 v[37:40], off, off
	scratch_load_b128 v[41:44], off, off offset:16
	scratch_load_b128 v[45:48], off, off offset:32
	v_mov_b32_e32 v164, v31
	v_dual_mov_b32 v14, v13 :: v_dual_mov_b32 v31, v30
	s_waitcnt vmcnt(0)
	v_dual_mov_b32 v134, v48 :: v_dual_mov_b32 v133, v47
	v_dual_mov_b32 v130, v44 :: v_dual_mov_b32 v127, v41
	;; [unrolled: 1-line block ×5, first 2 shown]
	v_mov_b32_e32 v125, v39
	v_dual_mov_b32 v99, v159 :: v_dual_mov_b32 v100, v160
	v_dual_mov_b32 v128, v19 :: v_dual_mov_b32 v101, v161
	v_mov_b32_e32 v110, v170
	v_dual_mov_b32 v50, v123 :: v_dual_mov_b32 v53, v126
	v_dual_mov_b32 v106, v166 :: v_dual_mov_b32 v107, v167
	;; [unrolled: 1-line block ×19, first 2 shown]
	v_mov_b32_e32 v47, v109
	v_dual_mov_b32 v114, v53 :: v_dual_mov_b32 v111, v50
	v_mov_b32_e32 v118, v20
	v_dual_mov_b32 v120, v59 :: v_dual_mov_b32 v117, v56
	v_dual_mov_b32 v116, v55 :: v_dual_mov_b32 v113, v52
	v_mov_b32_e32 v44, v32
	v_mov_b32_e32 v112, v51
	v_dual_mov_b32 v98, v48 :: v_dual_mov_b32 v95, v45
	v_dual_mov_b32 v146, v122 :: v_dual_mov_b32 v145, v121
	v_dual_mov_b32 v92, v42 :: v_dual_mov_b32 v87, v37
	v_dual_mov_b32 v97, v47 :: v_dual_mov_b32 v142, v118
	v_dual_mov_b32 v135, v111 :: v_dual_mov_b32 v96, v46
	v_dual_mov_b32 v91, v41 :: v_dual_mov_b32 v90, v40
	v_dual_mov_b32 v143, v119 :: v_dual_mov_b32 v144, v120
	v_dual_mov_b32 v137, v113 :: v_dual_mov_b32 v94, v44
	v_mov_b32_e32 v89, v39
	v_dual_mov_b32 v93, v43 :: v_dual_mov_b32 v88, v38
	v_dual_mov_b32 v141, v117 :: v_dual_mov_b32 v140, v116
	v_mov_b32_e32 v95, v33
	v_dual_mov_b32 v139, v115 :: v_dual_mov_b32 v138, v114
	v_dual_mov_b32 v143, v21 :: v_dual_mov_b32 v136, v112
	;; [unrolled: 1-line block ×24, first 2 shown]
	v_mov_b32_e32 v158, v170
.LBB42_37:
	s_or_b32 exec_lo, exec_lo, s2
	v_mov_b32_e32 v13, v8
	s_mov_b32 s2, exec_lo
	v_cmpx_lt_f32_e32 v14, v8
	s_cbranch_execz .LBB42_39
; %bb.38:
	v_mov_b32_e32 v129, v20
	v_mov_b32_e32 v153, v32
	v_dual_mov_b32 v111, v123 :: v_dual_mov_b32 v114, v126
	v_dual_mov_b32 v37, v147 :: v_dual_mov_b32 v38, v148
	;; [unrolled: 1-line block ×10, first 2 shown]
	v_mov_b32_e32 v120, v132
	v_dual_mov_b32 v116, v128 :: v_dual_mov_b32 v121, v133
	v_mov_b32_e32 v44, v31
	v_dual_mov_b32 v119, v131 :: v_dual_mov_b32 v98, v48
	v_dual_mov_b32 v118, v19 :: v_dual_mov_b32 v95, v45
	;; [unrolled: 1-line block ×13, first 2 shown]
	v_mov_b32_e32 v95, v33
	v_dual_mov_b32 v7, v8 :: v_dual_mov_b32 v8, v14
	v_mov_b32_e32 v143, v21
	v_dual_mov_b32 v63, v87 :: v_dual_mov_b32 v68, v92
	v_dual_mov_b32 v64, v88 :: v_dual_mov_b32 v75, v135
	v_dual_mov_b32 v80, v140 :: v_dual_mov_b32 v67, v91
	v_dual_mov_b32 v72, v96 :: v_dual_mov_b32 v69, v93
	v_dual_mov_b32 v74, v98 :: v_dual_mov_b32 v73, v97
	v_dual_mov_b32 v78, v138 :: v_dual_mov_b32 v79, v139
	v_dual_mov_b32 v84, v144 :: v_dual_mov_b32 v81, v141
	v_dual_mov_b32 v86, v146 :: v_dual_mov_b32 v85, v145
	v_mov_b32_e32 v74, v36
	v_dual_mov_b32 v50, v123 :: v_dual_mov_b32 v51, v124
	v_dual_mov_b32 v99, v147 :: v_dual_mov_b32 v100, v148
	v_dual_mov_b32 v65, v89 :: v_dual_mov_b32 v70, v94
	v_dual_mov_b32 v66, v90 :: v_dual_mov_b32 v71, v95
	v_dual_mov_b32 v76, v136 :: v_dual_mov_b32 v77, v137
	v_dual_mov_b32 v82, v142 :: v_dual_mov_b32 v83, v143
	v_dual_mov_b32 v72, v34 :: v_dual_mov_b32 v73, v35
	;; [unrolled: 9-line block ×3, first 2 shown]
	v_dual_mov_b32 v105, v153 :: v_dual_mov_b32 v106, v154
	v_dual_mov_b32 v107, v155 :: v_dual_mov_b32 v108, v156
	;; [unrolled: 1-line block ×4, first 2 shown]
	v_mov_b32_e32 v32, v31
.LBB42_39:
	s_or_b32 exec_lo, exec_lo, s2
	v_mov_b32_e32 v14, v9
	s_mov_b32 s2, exec_lo
	v_cmpx_lt_f32_e32 v13, v9
	s_cbranch_execz .LBB42_41
; %bb.40:
	v_mov_b32_e32 v57, v21
	v_mov_b32_e32 v106, v33
	v_dual_mov_b32 v146, v61 :: v_dual_mov_b32 v145, v60
	v_dual_mov_b32 v87, v99 :: v_dual_mov_b32 v90, v102
	v_mov_b32_e32 v88, v100
	v_dual_mov_b32 v136, v51 :: v_dual_mov_b32 v135, v50
	v_dual_mov_b32 v91, v103 :: v_dual_mov_b32 v94, v106
	;; [unrolled: 1-line block ×7, first 2 shown]
	v_mov_b32_e32 v139, v54
	v_dual_mov_b32 v89, v101 :: v_dual_mov_b32 v92, v104
	v_dual_mov_b32 v138, v53 :: v_dual_mov_b32 v137, v52
	;; [unrolled: 1-line block ×3, first 2 shown]
	v_mov_b32_e32 v143, v20
	s_delay_alu instid0(VALU_DEP_4)
	v_dual_mov_b32 v63, v87 :: v_dual_mov_b32 v68, v92
	v_dual_mov_b32 v66, v90 :: v_dual_mov_b32 v75, v135
	;; [unrolled: 1-line block ×8, first 2 shown]
	v_mov_b32_e32 v74, v36
	v_dual_mov_b32 v122, v61 :: v_dual_mov_b32 v121, v60
	v_dual_mov_b32 v37, v99 :: v_dual_mov_b32 v38, v100
	;; [unrolled: 1-line block ×20, first 2 shown]
	v_mov_b32_e32 v33, v32
.LBB42_41:
	s_or_b32 exec_lo, exec_lo, s2
	v_mov_b32_e32 v15, v10
	s_mov_b32 s2, exec_lo
	v_cmpx_lt_f32_e32 v14, v10
	s_cbranch_execz .LBB42_43
; %bb.42:
	v_mov_b32_e32 v45, v34
	v_dual_mov_b32 v9, v10 :: v_dual_mov_b32 v74, v48
	v_mov_b32_e32 v72, v46
	v_mov_b32_e32 v72, v33
	s_delay_alu instid0(VALU_DEP_4) | instskip(SKIP_4) | instid1(VALU_DEP_4)
	v_mov_b32_e32 v71, v45
	v_dual_mov_b32 v119, v22 :: v_dual_mov_b32 v70, v44
	v_dual_mov_b32 v75, v111 :: v_dual_mov_b32 v78, v114
	;; [unrolled: 1-line block ×27, first 2 shown]
	v_mov_b32_e32 v34, v33
.LBB42_43:
	s_or_b32 exec_lo, exec_lo, s2
	v_mov_b32_e32 v13, v11
	s_mov_b32 s2, exec_lo
	v_cmpx_lt_f32_e32 v15, v11
	s_cbranch_execz .LBB42_45
; %bb.44:
	v_dual_mov_b32 v144, v23 :: v_dual_mov_b32 v145, v22
	v_dual_mov_b32 v96, v35 :: v_dual_mov_b32 v97, v34
	v_mov_b32_e32 v146, v24
	v_mov_b32_e32 v10, v11
	v_dual_mov_b32 v11, v15 :: v_dual_mov_b32 v98, v36
	v_dual_mov_b32 v75, v135 :: v_dual_mov_b32 v84, v144
	;; [unrolled: 1-line block ×3, first 2 shown]
	v_mov_b32_e32 v79, v139
	v_dual_mov_b32 v77, v137 :: v_dual_mov_b32 v78, v138
	v_dual_mov_b32 v81, v141 :: v_dual_mov_b32 v80, v140
	;; [unrolled: 1-line block ×10, first 2 shown]
.LBB42_45:
	s_or_b32 exec_lo, exec_lo, s2
	s_delay_alu instid0(VALU_DEP_1)
	v_cmp_lt_f32_e32 vcc_lo, v13, v12
	v_cmp_lt_f32_e64 s2, v1, v2
	v_dual_mov_b32 v40, v76 :: v_dual_mov_b32 v41, v77
	v_dual_mov_b32 v43, v79 :: v_dual_mov_b32 v44, v80
	v_dual_cndmask_b32 v23, v12, v13 :: v_dual_mov_b32 v42, v78
	v_dual_cndmask_b32 v11, v11, v12 :: v_dual_cndmask_b32 v62, v74, v73
	s_delay_alu instid0(VALU_DEP_2) | instskip(SKIP_3) | instid1(VALU_DEP_4)
	v_dual_cndmask_b32 v49, v85, v86 :: v_dual_mov_b32 v12, v23
	v_dual_cndmask_b32 v61, v73, v74 :: v_dual_cndmask_b32 v50, v86, v85
	v_mov_b32_e32 v39, v75
	v_dual_mov_b32 v45, v81 :: v_dual_mov_b32 v48, v84
	v_dual_mov_b32 v38, v12 :: v_dual_mov_b32 v37, v11
	v_dual_mov_b32 v36, v10 :: v_dual_mov_b32 v35, v9
	v_dual_mov_b32 v34, v8 :: v_dual_mov_b32 v33, v7
	v_dual_mov_b32 v32, v6 :: v_dual_mov_b32 v31, v5
	v_dual_mov_b32 v30, v4 :: v_dual_mov_b32 v29, v3
	v_dual_mov_b32 v28, v2 :: v_dual_mov_b32 v27, v1
	v_dual_mov_b32 v46, v82 :: v_dual_mov_b32 v47, v83
	v_dual_mov_b32 v52, v64 :: v_dual_mov_b32 v51, v63
	v_dual_mov_b32 v54, v66 :: v_dual_mov_b32 v53, v65
	v_dual_mov_b32 v56, v68 :: v_dual_mov_b32 v55, v67
	v_dual_mov_b32 v58, v70 :: v_dual_mov_b32 v57, v69
	v_dual_mov_b32 v60, v72 :: v_dual_mov_b32 v59, v71
	s_and_saveexec_b32 s3, s2
	s_delay_alu instid0(SALU_CYCLE_1)
	s_xor_b32 s2, exec_lo, s3
	s_cbranch_execz .LBB42_47
; %bb.46:
	v_dual_mov_b32 v12, v2 :: v_dual_mov_b32 v13, v1
	v_dual_mov_b32 v14, v3 :: v_dual_mov_b32 v15, v4
	;; [unrolled: 1-line block ×6, first 2 shown]
	s_delay_alu instid0(VALU_DEP_2) | instskip(NEXT) | instid1(VALU_DEP_2)
	v_dual_mov_b32 v38, v23 :: v_dual_mov_b32 v35, v20
	v_dual_mov_b32 v36, v21 :: v_dual_mov_b32 v37, v22
	;; [unrolled: 1-line block ×15, first 2 shown]
	v_mov_b32_e32 v58, v70
	v_mov_b32_e32 v60, v72
.LBB42_47:
	s_or_b32 exec_lo, exec_lo, s2
	v_dual_mov_b32 v1, v29 :: v_dual_mov_b32 v122, v50
	v_dual_mov_b32 v15, v39 :: v_dual_mov_b32 v16, v40
	;; [unrolled: 1-line block ×30, first 2 shown]
	v_mov_b32_e32 v135, v39
	s_clause 0x2
	scratch_store_b128 off, v[39:42], off offset:48
	scratch_store_b128 off, v[43:46], off offset:64
	;; [unrolled: 1-line block ×3, first 2 shown]
	v_dual_mov_b32 v3, v51 :: v_dual_mov_b32 v6, v54
	v_dual_mov_b32 v13, v61 :: v_dual_mov_b32 v74, v62
	;; [unrolled: 1-line block ×34, first 2 shown]
	v_mov_b32_e32 v159, v51
	s_mov_b32 s2, exec_lo
	v_dual_mov_b32 v73, v61 :: v_dual_mov_b32 v72, v60
	v_mov_b32_e32 v4, v52
	s_clause 0x2
	scratch_store_b128 off, v[51:54], off
	scratch_store_b128 off, v[55:58], off offset:16
	scratch_store_b128 off, v[59:62], off offset:32
	v_dual_mov_b32 v182, v50 :: v_dual_mov_b32 v181, v49
	v_dual_mov_b32 v180, v48 :: v_dual_mov_b32 v179, v47
	;; [unrolled: 1-line block ×6, first 2 shown]
	v_cmpx_lt_f32_e32 v2, v29
	s_cbranch_execz .LBB42_49
; %bb.48:
	v_dual_mov_b32 v170, v62 :: v_dual_mov_b32 v169, v61
	v_dual_mov_b32 v162, v54 :: v_dual_mov_b32 v161, v53
	;; [unrolled: 1-line block ×7, first 2 shown]
	s_clause 0x2
	scratch_store_b128 off, v[159:162], off
	scratch_store_b128 off, v[163:166], off offset:16
	scratch_store_b128 off, v[167:170], off offset:32
	v_dual_mov_b32 v182, v50 :: v_dual_mov_b32 v181, v49
	v_dual_mov_b32 v172, v40 :: v_dual_mov_b32 v171, v39
	;; [unrolled: 1-line block ×8, first 2 shown]
	s_delay_alu instid0(VALU_DEP_3)
	v_dual_mov_b32 v140, v176 :: v_dual_mov_b32 v141, v177
	v_dual_mov_b32 v138, v174 :: v_dual_mov_b32 v139, v175
	v_dual_mov_b32 v144, v180 :: v_dual_mov_b32 v145, v181
	v_mov_b32_e32 v146, v182
	v_dual_mov_b32 v136, v172 :: v_dual_mov_b32 v137, v173
	v_mov_b32_e32 v138, v42
	v_dual_mov_b32 v142, v178 :: v_dual_mov_b32 v143, v179
	v_mov_b32_e32 v53, v52
	v_mov_b32_e32 v139, v43
	;; [unrolled: 1-line block ×3, first 2 shown]
	v_dual_mov_b32 v147, v159 :: v_dual_mov_b32 v148, v160
	v_mov_b32_e32 v151, v163
	v_dual_mov_b32 v149, v161 :: v_dual_mov_b32 v150, v162
	v_dual_mov_b32 v153, v165 :: v_dual_mov_b32 v152, v164
	;; [unrolled: 1-line block ×16, first 2 shown]
	v_mov_b32_e32 v122, v146
	v_dual_mov_b32 v114, v138 :: v_dual_mov_b32 v117, v141
	v_dual_mov_b32 v116, v140 :: v_dual_mov_b32 v119, v143
	;; [unrolled: 1-line block ×14, first 2 shown]
	v_mov_b32_e32 v82, v118
	v_dual_mov_b32 v76, v112 :: v_dual_mov_b32 v81, v117
	v_dual_mov_b32 v80, v116 :: v_dual_mov_b32 v85, v121
	v_dual_mov_b32 v84, v120 :: v_dual_mov_b32 v63, v87
	v_dual_mov_b32 v10, v142 :: v_dual_mov_b32 v13, v145
	v_dual_mov_b32 v14, v146 :: v_dual_mov_b32 v5, v137
	v_dual_mov_b32 v28, v29 :: v_dual_mov_b32 v79, v115
	v_mov_b32_e32 v81, v45
	v_dual_mov_b32 v65, v89 :: v_dual_mov_b32 v72, v96
	v_mov_b32_e32 v29, v2
	s_delay_alu instid0(VALU_DEP_3)
	v_dual_mov_b32 v110, v86 :: v_dual_mov_b32 v105, v81
	v_dual_mov_b32 v70, v94 :: v_dual_mov_b32 v73, v97
	;; [unrolled: 1-line block ×11, first 2 shown]
	v_mov_b32_e32 v106, v46
	s_clause 0x2
	scratch_store_b128 off, v[3:6], off offset:48
	scratch_store_b128 off, v[7:10], off offset:64
	;; [unrolled: 1-line block ×3, first 2 shown]
	v_dual_mov_b32 v100, v76 :: v_dual_mov_b32 v3, v63
	v_dual_mov_b32 v12, v72 :: v_dual_mov_b32 v5, v65
	v_dual_mov_b32 v12, v60 :: v_dual_mov_b32 v15, v99
	v_dual_mov_b32 v8, v68 :: v_dual_mov_b32 v11, v71
	v_dual_mov_b32 v10, v70 :: v_dual_mov_b32 v13, v73
	v_dual_mov_b32 v14, v74 :: v_dual_mov_b32 v13, v61
	v_dual_mov_b32 v20, v104 :: v_dual_mov_b32 v23, v107
	v_dual_mov_b32 v22, v106 :: v_dual_mov_b32 v25, v109
	v_dual_mov_b32 v24, v108 :: v_dual_mov_b32 v23, v47
	v_dual_mov_b32 v26, v110 :: v_dual_mov_b32 v25, v49
	v_dual_mov_b32 v4, v64 :: v_dual_mov_b32 v7, v67
	v_dual_mov_b32 v6, v66 :: v_dual_mov_b32 v9, v69
	v_dual_mov_b32 v11, v59 :: v_dual_mov_b32 v14, v62
	v_dual_mov_b32 v17, v101 :: v_dual_mov_b32 v16, v100
	v_dual_mov_b32 v19, v103 :: v_dual_mov_b32 v18, v102
	v_dual_mov_b32 v21, v105 :: v_dual_mov_b32 v24, v48
	v_mov_b32_e32 v26, v50
.LBB42_49:
	s_or_b32 exec_lo, exec_lo, s2
	v_mov_b32_e32 v2, v30
	s_mov_b32 s2, exec_lo
	v_cmpx_lt_f32_e32 v1, v30
	s_cbranch_execz .LBB42_51
; %bb.50:
	s_clause 0x2
	scratch_load_b128 v[2:5], off, off
	scratch_load_b128 v[6:9], off, off offset:16
	scratch_load_b128 v[10:13], off, off offset:32
	v_dual_mov_b32 v29, v30 :: v_dual_mov_b32 v30, v1
	v_dual_mov_b32 v161, v54 :: v_dual_mov_b32 v54, v53
	s_waitcnt vmcnt(0)
	v_dual_mov_b32 v170, v13 :: v_dual_mov_b32 v169, v12
	v_mov_b32_e32 v160, v3
	v_dual_mov_b32 v162, v5 :: v_dual_mov_b32 v159, v2
	v_dual_mov_b32 v173, v42 :: v_dual_mov_b32 v168, v11
	;; [unrolled: 1-line block ×3, first 2 shown]
	s_delay_alu instid0(VALU_DEP_3)
	v_dual_mov_b32 v165, v8 :: v_dual_mov_b32 v2, v159
	v_dual_mov_b32 v3, v160 :: v_dual_mov_b32 v4, v161
	;; [unrolled: 1-line block ×3, first 2 shown]
	s_clause 0x2
	scratch_store_b128 off, v[2:5], off
	scratch_store_b128 off, v[6:9], off offset:16
	scratch_store_b128 off, v[10:13], off offset:32
	v_dual_mov_b32 v162, v53 :: v_dual_mov_b32 v135, v171
	v_dual_mov_b32 v140, v176 :: v_dual_mov_b32 v141, v177
	;; [unrolled: 1-line block ×14, first 2 shown]
	v_mov_b32_e32 v137, v173
	v_dual_mov_b32 v123, v147 :: v_dual_mov_b32 v126, v150
	v_dual_mov_b32 v124, v148 :: v_dual_mov_b32 v111, v135
	s_delay_alu instid0(VALU_DEP_4)
	v_dual_mov_b32 v112, v136 :: v_dual_mov_b32 v125, v149
	v_dual_mov_b32 v128, v152 :: v_dual_mov_b32 v115, v139
	;; [unrolled: 1-line block ×7, first 2 shown]
	v_mov_b32_e32 v128, v56
	v_dual_mov_b32 v116, v44 :: v_dual_mov_b32 v87, v123
	v_dual_mov_b32 v113, v137 :: v_dual_mov_b32 v114, v138
	;; [unrolled: 1-line block ×21, first 2 shown]
	v_mov_b32_e32 v81, v45
	v_dual_mov_b32 v63, v87 :: v_dual_mov_b32 v66, v90
	v_mov_b32_e32 v64, v88
	v_dual_mov_b32 v110, v86 :: v_dual_mov_b32 v109, v85
	v_dual_mov_b32 v65, v89 :: v_dual_mov_b32 v68, v92
	;; [unrolled: 1-line block ×9, first 2 shown]
	v_mov_b32_e32 v102, v78
	v_dual_mov_b32 v42, v41 :: v_dual_mov_b32 v103, v79
	v_mov_b32_e32 v100, v76
	v_mov_b32_e32 v106, v46
	s_clause 0x2
	scratch_store_b128 off, v[2:5], off offset:48
	scratch_store_b128 off, v[6:9], off offset:64
	scratch_store_b128 off, v[10:13], off offset:80
	v_dual_mov_b32 v2, v1 :: v_dual_mov_b32 v107, v83
	v_mov_b32_e32 v3, v63
	v_mov_b32_e32 v5, v65
	v_dual_mov_b32 v7, v67 :: v_dual_mov_b32 v14, v74
	v_dual_mov_b32 v15, v99 :: v_dual_mov_b32 v6, v66
	v_dual_mov_b32 v11, v71 :: v_dual_mov_b32 v8, v68
	v_dual_mov_b32 v13, v73 :: v_dual_mov_b32 v12, v72
	v_dual_mov_b32 v13, v61 :: v_dual_mov_b32 v18, v102
	v_dual_mov_b32 v23, v107 :: v_dual_mov_b32 v20, v104
	v_dual_mov_b32 v25, v109 :: v_dual_mov_b32 v24, v108
	v_dual_mov_b32 v25, v49 :: v_dual_mov_b32 v26, v110
	v_dual_mov_b32 v4, v64 :: v_dual_mov_b32 v9, v69
	v_dual_mov_b32 v10, v70 :: v_dual_mov_b32 v11, v59
	v_dual_mov_b32 v12, v60 :: v_dual_mov_b32 v17, v101
	v_dual_mov_b32 v14, v62 :: v_dual_mov_b32 v19, v103
	v_dual_mov_b32 v16, v100 :: v_dual_mov_b32 v21, v105
	v_dual_mov_b32 v22, v106 :: v_dual_mov_b32 v23, v47
	v_mov_b32_e32 v24, v48
	v_mov_b32_e32 v26, v50
.LBB42_51:
	s_or_b32 exec_lo, exec_lo, s2
	v_mov_b32_e32 v1, v31
	s_mov_b32 s2, exec_lo
	v_cmpx_lt_f32_e32 v2, v31
	s_cbranch_execz .LBB42_53
; %bb.52:
	s_clause 0x2
	scratch_load_b128 v[3:6], off, off
	scratch_load_b128 v[7:10], off, off offset:16
	scratch_load_b128 v[11:14], off, off offset:32
	v_dual_mov_b32 v30, v31 :: v_dual_mov_b32 v31, v2
	v_mov_b32_e32 v1, v2
	s_waitcnt vmcnt(0)
	v_dual_mov_b32 v170, v14 :: v_dual_mov_b32 v169, v13
	v_dual_mov_b32 v161, v5 :: v_dual_mov_b32 v160, v4
	;; [unrolled: 1-line block ×5, first 2 shown]
	v_mov_b32_e32 v174, v43
	v_mov_b32_e32 v159, v3
	;; [unrolled: 1-line block ×3, first 2 shown]
	v_dual_mov_b32 v135, v171 :: v_dual_mov_b32 v136, v172
	v_mov_b32_e32 v137, v173
	s_delay_alu instid0(VALU_DEP_4) | instskip(NEXT) | instid1(VALU_DEP_4)
	v_dual_mov_b32 v147, v159 :: v_dual_mov_b32 v148, v160
	v_dual_mov_b32 v149, v161 :: v_dual_mov_b32 v150, v162
	;; [unrolled: 1-line block ×10, first 2 shown]
	v_mov_b32_e32 v139, v42
	v_mov_b32_e32 v151, v54
	v_dual_mov_b32 v146, v182 :: v_dual_mov_b32 v123, v147
	v_dual_mov_b32 v111, v135 :: v_dual_mov_b32 v112, v136
	;; [unrolled: 1-line block ×3, first 2 shown]
	s_delay_alu instid0(VALU_DEP_4)
	v_dual_mov_b32 v124, v148 :: v_dual_mov_b32 v127, v151
	v_dual_mov_b32 v128, v152 :: v_dual_mov_b32 v131, v155
	;; [unrolled: 1-line block ×9, first 2 shown]
	v_mov_b32_e32 v120, v144
	v_dual_mov_b32 v116, v44 :: v_dual_mov_b32 v87, v123
	v_mov_b32_e32 v114, v138
	v_dual_mov_b32 v98, v134 :: v_dual_mov_b32 v75, v111
	v_dual_mov_b32 v88, v124 :: v_dual_mov_b32 v89, v125
	;; [unrolled: 1-line block ×3, first 2 shown]
	v_mov_b32_e32 v86, v122
	v_dual_mov_b32 v90, v126 :: v_dual_mov_b32 v91, v127
	v_dual_mov_b32 v92, v128 :: v_dual_mov_b32 v93, v129
	;; [unrolled: 1-line block ×8, first 2 shown]
	v_mov_b32_e32 v79, v115
	v_mov_b32_e32 v81, v45
	v_dual_mov_b32 v63, v87 :: v_dual_mov_b32 v66, v90
	v_dual_mov_b32 v64, v88 :: v_dual_mov_b32 v73, v97
	;; [unrolled: 1-line block ×9, first 2 shown]
	v_mov_b32_e32 v108, v84
	v_dual_mov_b32 v106, v46 :: v_dual_mov_b32 v3, v63
	v_dual_mov_b32 v105, v81 :: v_dual_mov_b32 v104, v80
	;; [unrolled: 1-line block ×19, first 2 shown]
	v_mov_b32_e32 v26, v50
	v_mov_b32_e32 v43, v42
	;; [unrolled: 1-line block ×3, first 2 shown]
	s_clause 0x2
	scratch_store_b128 off, v[171:174], off offset:48
	scratch_store_b128 off, v[175:178], off offset:64
	scratch_store_b128 off, v[179:182], off offset:80
.LBB42_53:
	s_or_b32 exec_lo, exec_lo, s2
	v_mov_b32_e32 v2, v32
	s_mov_b32 s2, exec_lo
	v_cmpx_lt_f32_e32 v1, v32
	s_cbranch_execz .LBB42_55
; %bb.54:
	s_clause 0x2
	scratch_load_b128 v[2:5], off, off offset:48
	scratch_load_b128 v[6:9], off, off offset:64
	;; [unrolled: 1-line block ×3, first 2 shown]
	v_dual_mov_b32 v163, v56 :: v_dual_mov_b32 v56, v55
	s_waitcnt vmcnt(0)
	v_dual_mov_b32 v31, v32 :: v_dual_mov_b32 v146, v13
	v_dual_mov_b32 v138, v5 :: v_dual_mov_b32 v137, v4
	;; [unrolled: 1-line block ×6, first 2 shown]
	v_mov_b32_e32 v139, v44
	v_dual_mov_b32 v123, v159 :: v_dual_mov_b32 v124, v160
	v_dual_mov_b32 v125, v161 :: v_dual_mov_b32 v128, v164
	;; [unrolled: 1-line block ×12, first 2 shown]
	v_mov_b32_e32 v120, v144
	v_mov_b32_e32 v116, v43
	v_dual_mov_b32 v87, v123 :: v_dual_mov_b32 v88, v124
	v_dual_mov_b32 v89, v125 :: v_dual_mov_b32 v98, v134
	;; [unrolled: 1-line block ×12, first 2 shown]
	v_mov_b32_e32 v79, v115
	v_mov_b32_e32 v81, v45
	v_dual_mov_b32 v63, v87 :: v_dual_mov_b32 v66, v90
	v_dual_mov_b32 v64, v88 :: v_dual_mov_b32 v73, v97
	;; [unrolled: 1-line block ×8, first 2 shown]
	v_mov_b32_e32 v70, v58
	v_dual_mov_b32 v106, v46 :: v_dual_mov_b32 v65, v89
	v_dual_mov_b32 v68, v92 :: v_dual_mov_b32 v105, v81
	;; [unrolled: 1-line block ×4, first 2 shown]
	v_mov_b32_e32 v100, v76
	v_dual_mov_b32 v32, v1 :: v_dual_mov_b32 v3, v63
	v_dual_mov_b32 v14, v74 :: v_dual_mov_b32 v15, v99
	v_mov_b32_e32 v26, v110
	v_dual_mov_b32 v10, v70 :: v_dual_mov_b32 v11, v71
	v_dual_mov_b32 v12, v72 :: v_dual_mov_b32 v13, v73
	;; [unrolled: 1-line block ×20, first 2 shown]
	v_mov_b32_e32 v2, v1
	v_mov_b32_e32 v44, v43
.LBB42_55:
	s_or_b32 exec_lo, exec_lo, s2
	v_mov_b32_e32 v1, v33
	s_mov_b32 s2, exec_lo
	v_cmpx_lt_f32_e32 v2, v33
	s_cbranch_execz .LBB42_57
; %bb.56:
	v_mov_b32_e32 v140, v45
	v_dual_mov_b32 v152, v57 :: v_dual_mov_b32 v75, v135
	v_dual_mov_b32 v87, v147 :: v_dual_mov_b32 v90, v150
	;; [unrolled: 1-line block ×3, first 2 shown]
	s_delay_alu instid0(VALU_DEP_3)
	v_dual_mov_b32 v92, v152 :: v_dual_mov_b32 v93, v153
	v_dual_mov_b32 v76, v136 :: v_dual_mov_b32 v79, v139
	;; [unrolled: 1-line block ×6, first 2 shown]
	v_mov_b32_e32 v93, v56
	v_dual_mov_b32 v84, v144 :: v_dual_mov_b32 v63, v87
	v_dual_mov_b32 v78, v138 :: v_dual_mov_b32 v81, v141
	;; [unrolled: 1-line block ×5, first 2 shown]
	s_delay_alu instid0(VALU_DEP_3) | instskip(SKIP_1) | instid1(VALU_DEP_4)
	v_dual_mov_b32 v110, v86 :: v_dual_mov_b32 v109, v85
	v_dual_mov_b32 v100, v76 :: v_dual_mov_b32 v99, v75
	;; [unrolled: 1-line block ×11, first 2 shown]
	v_mov_b32_e32 v106, v46
	v_dual_mov_b32 v70, v58 :: v_dual_mov_b32 v15, v99
	v_dual_mov_b32 v3, v63 :: v_dual_mov_b32 v24, v108
	;; [unrolled: 1-line block ×3, first 2 shown]
	s_delay_alu instid0(VALU_DEP_3)
	v_dual_mov_b32 v10, v70 :: v_dual_mov_b32 v11, v71
	v_dual_mov_b32 v12, v72 :: v_dual_mov_b32 v13, v73
	;; [unrolled: 1-line block ×26, first 2 shown]
	v_mov_b32_e32 v1, v2
	v_dual_mov_b32 v134, v158 :: v_dual_mov_b32 v45, v44
	v_mov_b32_e32 v57, v56
.LBB42_57:
	s_or_b32 exec_lo, exec_lo, s2
	v_mov_b32_e32 v2, v34
	s_mov_b32 s2, exec_lo
	v_cmpx_lt_f32_e32 v1, v34
	s_cbranch_execz .LBB42_59
; %bb.58:
	v_mov_b32_e32 v129, v58
	v_dual_mov_b32 v63, v123 :: v_dual_mov_b32 v70, v130
	v_dual_mov_b32 v70, v57 :: v_dual_mov_b32 v71, v131
	;; [unrolled: 1-line block ×22, first 2 shown]
	v_mov_b32_e32 v34, v1
	v_dual_mov_b32 v5, v65 :: v_dual_mov_b32 v6, v66
	v_dual_mov_b32 v7, v67 :: v_dual_mov_b32 v8, v68
	;; [unrolled: 1-line block ×20, first 2 shown]
	v_mov_b32_e32 v2, v1
	v_mov_b32_e32 v46, v45
	;; [unrolled: 1-line block ×3, first 2 shown]
.LBB42_59:
	s_or_b32 exec_lo, exec_lo, s2
	v_mov_b32_e32 v1, v35
	s_mov_b32 s2, exec_lo
	v_cmpx_lt_f32_e32 v2, v35
	s_cbranch_execz .LBB42_61
; %bb.60:
	v_mov_b32_e32 v94, v59
	v_dual_mov_b32 v34, v35 :: v_dual_mov_b32 v35, v2
	v_mov_b32_e32 v82, v47
	v_dual_mov_b32 v3, v87 :: v_dual_mov_b32 v4, v88
	v_dual_mov_b32 v12, v96 :: v_dual_mov_b32 v9, v93
	;; [unrolled: 1-line block ×13, first 2 shown]
	v_mov_b32_e32 v7, v91
	v_mov_b32_e32 v11, v58
	v_dual_mov_b32 v14, v62 :: v_dual_mov_b32 v17, v77
	v_dual_mov_b32 v16, v76 :: v_dual_mov_b32 v19, v79
	;; [unrolled: 1-line block ×14, first 2 shown]
	v_mov_b32_e32 v47, v46
	v_mov_b32_e32 v59, v58
	;; [unrolled: 1-line block ×3, first 2 shown]
.LBB42_61:
	s_or_b32 exec_lo, exec_lo, s2
	v_mov_b32_e32 v39, v36
	s_mov_b32 s2, exec_lo
	v_cmpx_lt_f32_e32 v1, v36
	s_cbranch_execz .LBB42_63
; %bb.62:
	v_dual_mov_b32 v71, v60 :: v_dual_mov_b32 v72, v59
	v_dual_mov_b32 v73, v61 :: v_dual_mov_b32 v108, v47
	;; [unrolled: 1-line block ×17, first 2 shown]
	v_mov_b32_e32 v39, v1
.LBB42_63:
	s_or_b32 exec_lo, exec_lo, s2
	s_delay_alu instid0(VALU_DEP_1)
	v_cmp_lt_f32_e32 vcc_lo, v39, v37
	v_dual_mov_b32 v40, v28 :: v_dual_mov_b32 v43, v31
	v_dual_mov_b32 v42, v30 :: v_dual_mov_b32 v45, v33
	v_dual_cndmask_b32 v1, v25, v24 :: v_dual_cndmask_b32 v24, v24, v25
	v_cndmask_b32_e32 v2, v13, v12, vcc_lo
	v_dual_cndmask_b32 v12, v12, v13 :: v_dual_cndmask_b32 v49, v37, v39
	v_dual_cndmask_b32 v48, v36, v37 :: v_dual_mov_b32 v41, v29
	v_dual_mov_b32 v39, v27 :: v_dual_mov_b32 v44, v32
	v_dual_mov_b32 v47, v35 :: v_dual_mov_b32 v46, v34
	v_mov_b32_e32 v50, v38
	s_mov_b32 s2, exec_lo
	v_cmpx_lt_f32_e32 v27, v28
	s_cbranch_execz .LBB42_65
; %bb.64:
	v_dual_mov_b32 v28, v40 :: v_dual_mov_b32 v29, v39
	v_dual_mov_b32 v38, v49 :: v_dual_mov_b32 v39, v50
	;; [unrolled: 1-line block ×6, first 2 shown]
	v_mov_b32_e32 v50, v39
	v_mov_b32_e32 v13, v15
	v_dual_mov_b32 v25, v3 :: v_dual_mov_b32 v44, v33
	v_swap_b32 v15, v16
	v_swap_b32 v3, v4
	v_dual_mov_b32 v49, v38 :: v_dual_mov_b32 v46, v35
	v_dual_mov_b32 v48, v37 :: v_dual_mov_b32 v47, v36
	;; [unrolled: 1-line block ×4, first 2 shown]
	v_mov_b32_e32 v41, v30
	v_dual_mov_b32 v39, v28 :: v_dual_mov_b32 v28, v27
.LBB42_65:
	s_or_b32 exec_lo, exec_lo, s2
	v_mov_b32_e32 v13, v2
	v_dual_mov_b32 v25, v1 :: v_dual_mov_b32 v62, v14
	v_dual_mov_b32 v74, v26 :: v_dual_mov_b32 v63, v15
	v_mov_b32_e32 v86, v26
	v_dual_mov_b32 v72, v24 :: v_dual_mov_b32 v75, v15
	v_dual_mov_b32 v110, v26 :: v_dual_mov_b32 v53, v5
	;; [unrolled: 1-line block ×61, first 2 shown]
	v_mov_b32_e32 v149, v5
	v_mov_b32_e32 v147, v3
	;; [unrolled: 1-line block ×3, first 2 shown]
	s_mov_b32 s2, exec_lo
	v_dual_mov_b32 v85, v25 :: v_dual_mov_b32 v84, v24
	v_dual_mov_b32 v83, v23 :: v_dual_mov_b32 v82, v22
	s_clause 0x2
	scratch_store_b128 off, v[3:6], off
	scratch_store_b128 off, v[7:10], off offset:16
	scratch_store_b128 off, v[11:14], off offset:32
	v_cmpx_lt_f32_e32 v28, v41
	s_cbranch_execz .LBB42_67
; %bb.66:
	v_dual_mov_b32 v158, v14 :: v_dual_mov_b32 v157, v13
	v_dual_mov_b32 v150, v6 :: v_dual_mov_b32 v149, v5
	;; [unrolled: 1-line block ×7, first 2 shown]
	s_clause 0x2
	scratch_store_b128 off, v[147:150], off
	scratch_store_b128 off, v[151:154], off offset:16
	scratch_store_b128 off, v[155:158], off offset:32
	v_dual_mov_b32 v182, v26 :: v_dual_mov_b32 v181, v25
	v_dual_mov_b32 v172, v16 :: v_dual_mov_b32 v171, v15
	v_dual_mov_b32 v176, v20 :: v_dual_mov_b32 v175, v19
	v_dual_mov_b32 v174, v18 :: v_dual_mov_b32 v173, v17
	v_dual_mov_b32 v172, v17 :: v_dual_mov_b32 v173, v16
	v_dual_mov_b32 v180, v24 :: v_dual_mov_b32 v179, v23
	v_dual_mov_b32 v178, v22 :: v_dual_mov_b32 v177, v21
	v_dual_mov_b32 v150, v6 :: v_dual_mov_b32 v159, v171
	s_delay_alu instid0(VALU_DEP_4) | instskip(SKIP_1) | instid1(VALU_DEP_4)
	v_dual_mov_b32 v160, v172 :: v_dual_mov_b32 v161, v173
	v_dual_mov_b32 v162, v174 :: v_dual_mov_b32 v163, v175
	;; [unrolled: 1-line block ×4, first 2 shown]
	v_mov_b32_e32 v170, v182
	v_dual_mov_b32 v166, v178 :: v_dual_mov_b32 v167, v179
	v_mov_b32_e32 v162, v18
	v_dual_mov_b32 v40, v41 :: v_dual_mov_b32 v41, v28
	v_mov_b32_e32 v5, v4
	v_mov_b32_e32 v17, v16
	;; [unrolled: 1-line block ×3, first 2 shown]
	v_dual_mov_b32 v137, v149 :: v_dual_mov_b32 v144, v156
	v_dual_mov_b32 v123, v159 :: v_dual_mov_b32 v136, v148
	;; [unrolled: 1-line block ×12, first 2 shown]
	v_mov_b32_e32 v133, v169
	v_dual_mov_b32 v111, v135 :: v_dual_mov_b32 v112, v136
	v_dual_mov_b32 v99, v123 :: v_dual_mov_b32 v100, v124
	;; [unrolled: 1-line block ×12, first 2 shown]
	v_mov_b32_e32 v104, v20
	v_dual_mov_b32 v116, v8 :: v_dual_mov_b32 v75, v99
	v_mov_b32_e32 v87, v111
	v_dual_mov_b32 v93, v117 :: v_dual_mov_b32 v78, v102
	s_delay_alu instid0(VALU_DEP_3)
	v_dual_mov_b32 v81, v105 :: v_dual_mov_b32 v92, v116
	v_dual_mov_b32 v90, v114 :: v_dual_mov_b32 v91, v115
	;; [unrolled: 1-line block ×11, first 2 shown]
	v_mov_b32_e32 v51, v87
	v_dual_mov_b32 v63, v75 :: v_dual_mov_b32 v66, v78
	v_dual_mov_b32 v55, v91 :: v_dual_mov_b32 v58, v94
	;; [unrolled: 1-line block ×14, first 2 shown]
	v_mov_b32_e32 v72, v24
	v_dual_mov_b32 v62, v14 :: v_dual_mov_b32 v71, v23
	v_dual_mov_b32 v70, v22 :: v_dual_mov_b32 v73, v1
	v_mov_b32_e32 v74, v26
.LBB42_67:
	s_or_b32 exec_lo, exec_lo, s2
	v_mov_b32_e32 v3, v42
	v_cmp_lt_f32_e32 vcc_lo, v13, v42
	s_mov_b32 s2, exec_lo
	s_clause 0x2
	scratch_load_b128 v[27:30], off, off
	scratch_load_b128 v[31:34], off, off offset:16
	scratch_load_b128 v[35:38], off, off offset:32
	s_and_b32 s3, s2, vcc_lo
	s_delay_alu instid0(SALU_CYCLE_1)
	s_mov_b32 exec_lo, s3
	s_cbranch_execz .LBB42_69
; %bb.68:
	v_mov_b32_e32 v173, v18
	s_waitcnt vmcnt(2)
	v_mov_b32_e32 v29, v6
	v_dual_mov_b32 v159, v171 :: v_dual_mov_b32 v160, v172
	s_waitcnt vmcnt(0)
	v_dual_mov_b32 v158, v38 :: v_dual_mov_b32 v157, v37
	v_dual_mov_b32 v156, v36 :: v_dual_mov_b32 v147, v27
	;; [unrolled: 1-line block ×6, first 2 shown]
	v_mov_b32_e32 v168, v180
	v_dual_mov_b32 v164, v176 :: v_dual_mov_b32 v165, v177
	v_dual_mov_b32 v170, v182 :: v_dual_mov_b32 v155, v35
	;; [unrolled: 1-line block ×4, first 2 shown]
	v_mov_b32_e32 v150, v5
	v_mov_b32_e32 v169, v181
	v_dual_mov_b32 v162, v17 :: v_dual_mov_b32 v135, v147
	v_dual_mov_b32 v136, v148 :: v_dual_mov_b32 v123, v159
	;; [unrolled: 1-line block ×13, first 2 shown]
	v_mov_b32_e32 v139, v7
	v_dual_mov_b32 v99, v123 :: v_dual_mov_b32 v100, v124
	v_dual_mov_b32 v111, v135 :: v_dual_mov_b32 v114, v138
	v_dual_mov_b32 v112, v136 :: v_dual_mov_b32 v113, v137
	v_dual_mov_b32 v116, v140 :: v_dual_mov_b32 v117, v141
	v_mov_b32_e32 v120, v144
	v_dual_mov_b32 v104, v128 :: v_dual_mov_b32 v105, v129
	v_dual_mov_b32 v110, v134 :: v_dual_mov_b32 v115, v139
	;; [unrolled: 1-line block ×21, first 2 shown]
	v_mov_b32_e32 v93, v9
	v_dual_mov_b32 v63, v75 :: v_dual_mov_b32 v64, v76
	v_dual_mov_b32 v51, v87 :: v_dual_mov_b32 v54, v90
	;; [unrolled: 1-line block ×3, first 2 shown]
	s_delay_alu instid0(VALU_DEP_4)
	v_dual_mov_b32 v58, v94 :: v_dual_mov_b32 v57, v93
	v_dual_mov_b32 v60, v96 :: v_dual_mov_b32 v59, v95
	;; [unrolled: 1-line block ×9, first 2 shown]
	v_mov_b32_e32 v42, v13
	v_dual_mov_b32 v53, v89 :: v_dual_mov_b32 v56, v92
	v_dual_mov_b32 v68, v80 :: v_dual_mov_b32 v59, v11
	v_mov_b32_e32 v62, v14
	v_dual_mov_b32 v61, v2 :: v_dual_mov_b32 v72, v24
	v_dual_mov_b32 v70, v22 :: v_dual_mov_b32 v71, v23
	;; [unrolled: 1-line block ×3, first 2 shown]
	v_mov_b32_e32 v3, v13
	v_mov_b32_e32 v18, v17
	;; [unrolled: 1-line block ×3, first 2 shown]
.LBB42_69:
	s_or_b32 exec_lo, exec_lo, s2
	v_mov_b32_e32 v4, v43
	s_mov_b32 s2, exec_lo
	v_cmpx_lt_f32_e32 v3, v43
	s_cbranch_execz .LBB42_71
; %bb.70:
	v_mov_b32_e32 v174, v19
	s_waitcnt vmcnt(2)
	v_mov_b32_e32 v30, v7
	v_mov_b32_e32 v123, v171
	s_waitcnt vmcnt(0)
	v_dual_mov_b32 v125, v173 :: v_dual_mov_b32 v146, v38
	s_delay_alu instid0(VALU_DEP_3)
	v_dual_mov_b32 v143, v35 :: v_dual_mov_b32 v138, v30
	v_mov_b32_e32 v135, v27
	v_dual_mov_b32 v145, v37 :: v_dual_mov_b32 v142, v34
	v_dual_mov_b32 v139, v31 :: v_dual_mov_b32 v136, v28
	;; [unrolled: 1-line block ×6, first 2 shown]
	v_mov_b32_e32 v139, v6
	v_dual_mov_b32 v127, v18 :: v_dual_mov_b32 v124, v172
	v_dual_mov_b32 v126, v174 :: v_dual_mov_b32 v129, v177
	;; [unrolled: 1-line block ×15, first 2 shown]
	v_mov_b32_e32 v110, v134
	v_mov_b32_e32 v104, v20
	v_dual_mov_b32 v116, v8 :: v_dual_mov_b32 v75, v99
	v_mov_b32_e32 v87, v111
	v_dual_mov_b32 v93, v117 :: v_dual_mov_b32 v78, v102
	s_delay_alu instid0(VALU_DEP_3)
	v_dual_mov_b32 v81, v105 :: v_dual_mov_b32 v92, v116
	v_dual_mov_b32 v80, v104 :: v_dual_mov_b32 v83, v107
	;; [unrolled: 1-line block ×11, first 2 shown]
	v_mov_b32_e32 v63, v75
	s_delay_alu instid0(VALU_DEP_3)
	v_dual_mov_b32 v51, v87 :: v_dual_mov_b32 v54, v90
	v_dual_mov_b32 v71, v83 :: v_dual_mov_b32 v72, v84
	;; [unrolled: 1-line block ×14, first 2 shown]
	v_mov_b32_e32 v68, v80
	v_dual_mov_b32 v58, v10 :: v_dual_mov_b32 v59, v11
	v_dual_mov_b32 v60, v12 :: v_dual_mov_b32 v61, v2
	;; [unrolled: 1-line block ×14, first 2 shown]
	v_mov_b32_e32 v150, v30
	v_dual_mov_b32 v148, v28 :: v_dual_mov_b32 v19, v18
	v_dual_mov_b32 v4, v3 :: v_dual_mov_b32 v7, v6
.LBB42_71:
	s_or_b32 exec_lo, exec_lo, s2
	v_mov_b32_e32 v3, v44
	s_mov_b32 s2, exec_lo
	s_delay_alu instid0(VALU_DEP_2)
	v_cmpx_lt_f32_e32 v4, v44
	s_cbranch_execz .LBB42_73
; %bb.72:
	v_mov_b32_e32 v163, v20
	v_mov_b32_e32 v151, v8
	v_dual_mov_b32 v99, v159 :: v_dual_mov_b32 v102, v162
	v_dual_mov_b32 v111, v147 :: v_dual_mov_b32 v112, v148
	v_dual_mov_b32 v113, v149 :: v_dual_mov_b32 v116, v152
	v_dual_mov_b32 v114, v150 :: v_dual_mov_b32 v117, v153
	v_dual_mov_b32 v120, v156 :: v_dual_mov_b32 v105, v165
	v_dual_mov_b32 v110, v170 :: v_dual_mov_b32 v115, v151
	v_dual_mov_b32 v118, v154 :: v_dual_mov_b32 v119, v155
	v_dual_mov_b32 v122, v158 :: v_dual_mov_b32 v121, v157
	v_dual_mov_b32 v100, v160 :: v_dual_mov_b32 v101, v161
	v_dual_mov_b32 v106, v166 :: v_dual_mov_b32 v103, v163
	v_mov_b32_e32 v108, v168
	v_dual_mov_b32 v104, v164 :: v_dual_mov_b32 v109, v169
	v_mov_b32_e32 v116, v7
	v_mov_b32_e32 v107, v167
	;; [unrolled: 1-line block ×3, first 2 shown]
	v_dual_mov_b32 v87, v111 :: v_dual_mov_b32 v90, v114
	v_dual_mov_b32 v88, v112 :: v_dual_mov_b32 v89, v113
	;; [unrolled: 1-line block ×12, first 2 shown]
	v_mov_b32_e32 v93, v9
	v_mov_b32_e32 v43, v44
	v_dual_mov_b32 v44, v4 :: v_dual_mov_b32 v81, v21
	v_dual_mov_b32 v51, v87 :: v_dual_mov_b32 v56, v92
	;; [unrolled: 1-line block ×15, first 2 shown]
	v_mov_b32_e32 v136, v148
	v_dual_mov_b32 v54, v90 :: v_dual_mov_b32 v59, v11
	v_mov_b32_e32 v62, v14
	v_dual_mov_b32 v61, v2 :: v_dual_mov_b32 v72, v24
	v_dual_mov_b32 v70, v22 :: v_dual_mov_b32 v71, v23
	;; [unrolled: 1-line block ×14, first 2 shown]
	v_mov_b32_e32 v8, v7
.LBB42_73:
	s_or_b32 exec_lo, exec_lo, s2
	v_mov_b32_e32 v4, v45
	s_mov_b32 s2, exec_lo
	v_cmpx_lt_f32_e32 v3, v45
	s_cbranch_execz .LBB42_75
; %bb.74:
	v_mov_b32_e32 v140, v9
	v_dual_mov_b32 v128, v21 :: v_dual_mov_b32 v87, v135
	v_mov_b32_e32 v93, v141
	v_dual_mov_b32 v93, v8 :: v_dual_mov_b32 v94, v142
	v_dual_mov_b32 v96, v144 :: v_dual_mov_b32 v97, v145
	v_mov_b32_e32 v98, v146
	v_dual_mov_b32 v44, v45 :: v_dual_mov_b32 v75, v123
	v_dual_mov_b32 v84, v132 :: v_dual_mov_b32 v85, v133
	;; [unrolled: 1-line block ×8, first 2 shown]
	v_mov_b32_e32 v81, v20
	v_dual_mov_b32 v51, v87 :: v_dual_mov_b32 v52, v88
	v_dual_mov_b32 v76, v124 :: v_dual_mov_b32 v77, v125
	;; [unrolled: 1-line block ×30, first 2 shown]
	v_mov_b32_e32 v120, v144
	v_dual_mov_b32 v122, v146 :: v_dual_mov_b32 v21, v20
	v_dual_mov_b32 v4, v3 :: v_dual_mov_b32 v9, v8
.LBB42_75:
	s_or_b32 exec_lo, exec_lo, s2
	v_mov_b32_e32 v3, v46
	s_mov_b32 s2, exec_lo
	s_delay_alu instid0(VALU_DEP_2)
	v_cmpx_lt_f32_e32 v4, v46
	s_cbranch_execz .LBB42_77
; %bb.76:
	v_mov_b32_e32 v117, v10
	v_dual_mov_b32 v45, v46 :: v_dual_mov_b32 v46, v4
	v_mov_b32_e32 v105, v22
	v_dual_mov_b32 v51, v111 :: v_dual_mov_b32 v54, v114
	v_dual_mov_b32 v56, v116 :: v_dual_mov_b32 v63, v99
	;; [unrolled: 1-line block ×6, first 2 shown]
	v_mov_b32_e32 v58, v9
	v_dual_mov_b32 v61, v121 :: v_dual_mov_b32 v60, v12
	v_dual_mov_b32 v67, v103 :: v_dual_mov_b32 v70, v106
	;; [unrolled: 1-line block ×8, first 2 shown]
	v_mov_b32_e32 v62, v14
	v_dual_mov_b32 v61, v2 :: v_dual_mov_b32 v64, v100
	v_dual_mov_b32 v65, v101 :: v_dual_mov_b32 v68, v104
	;; [unrolled: 1-line block ×15, first 2 shown]
	v_mov_b32_e32 v98, v122
.LBB42_77:
	s_or_b32 exec_lo, exec_lo, s2
	v_mov_b32_e32 v4, v47
	s_mov_b32 s2, exec_lo
	v_cmpx_lt_f32_e32 v3, v47
	s_cbranch_execz .LBB42_79
; %bb.78:
	v_dual_mov_b32 v84, v24 :: v_dual_mov_b32 v85, v1
	v_dual_mov_b32 v94, v11 :: v_dual_mov_b32 v95, v10
	;; [unrolled: 1-line block ×4, first 2 shown]
	v_mov_b32_e32 v86, v26
	v_mov_b32_e32 v46, v47
	v_dual_mov_b32 v47, v3 :: v_dual_mov_b32 v98, v14
	v_dual_mov_b32 v63, v75 :: v_dual_mov_b32 v72, v84
	;; [unrolled: 1-line block ×3, first 2 shown]
	v_mov_b32_e32 v67, v79
	v_dual_mov_b32 v65, v77 :: v_dual_mov_b32 v66, v78
	v_dual_mov_b32 v69, v81 :: v_dual_mov_b32 v68, v80
	;; [unrolled: 1-line block ×9, first 2 shown]
	v_mov_b32_e32 v62, v98
	v_mov_b32_e32 v4, v3
.LBB42_79:
	s_or_b32 exec_lo, exec_lo, s2
	s_delay_alu instid0(VALU_DEP_1)
	v_cmp_lt_f32_e32 vcc_lo, v4, v48
	v_dual_mov_b32 v3, v41 :: v_dual_mov_b32 v8, v46
	v_dual_mov_b32 v5, v43 :: v_dual_mov_b32 v12, v50
	s_waitcnt vmcnt(0)
	v_cndmask_b32_e32 v37, v72, v71, vcc_lo
	v_dual_cndmask_b32 v71, v71, v72 :: v_dual_cndmask_b32 v38, v60, v59
	v_dual_cndmask_b32 v59, v59, v60 :: v_dual_mov_b32 v2, v40
	v_dual_cndmask_b32 v10, v48, v4 :: v_dual_mov_b32 v1, v39
	v_dual_cndmask_b32 v9, v47, v48 :: v_dual_mov_b32 v6, v44
	v_dual_mov_b32 v4, v42 :: v_dual_mov_b32 v7, v45
	v_mov_b32_e32 v11, v49
	s_mov_b32 s2, exec_lo
	v_cmpx_lt_f32_e32 v39, v40
	s_cbranch_execz .LBB42_81
; %bb.80:
	v_dual_mov_b32 v13, v2 :: v_dual_mov_b32 v14, v1
	v_dual_mov_b32 v15, v3 :: v_dual_mov_b32 v16, v4
	;; [unrolled: 1-line block ×6, first 2 shown]
	v_mov_b32_e32 v25, v63
	v_dual_mov_b32 v26, v51 :: v_dual_mov_b32 v1, v13
	v_swap_b32 v63, v64
	v_swap_b32 v51, v52
	v_dual_mov_b32 v2, v14 :: v_dual_mov_b32 v3, v15
	v_dual_mov_b32 v4, v16 :: v_dual_mov_b32 v5, v17
	;; [unrolled: 1-line block ×5, first 2 shown]
	v_mov_b32_e32 v12, v24
	v_mov_b32_e32 v40, v39
.LBB42_81:
	s_or_b32 exec_lo, exec_lo, s2
	v_mov_b32_e32 v60, v38
	v_dual_mov_b32 v72, v37 :: v_dual_mov_b32 v13, v51
	v_dual_mov_b32 v25, v63 :: v_dual_mov_b32 v98, v74
	;; [unrolled: 1-line block ×60, first 2 shown]
	s_mov_b32 s2, exec_lo
	v_dual_mov_b32 v96, v72 :: v_dual_mov_b32 v93, v69
	v_cmpx_lt_f32_e32 v40, v3
	s_cbranch_execz .LBB42_83
; %bb.82:
	v_dual_mov_b32 v134, v62 :: v_dual_mov_b32 v133, v61
	v_dual_mov_b32 v124, v52 :: v_dual_mov_b32 v123, v51
	v_mov_b32_e32 v124, v53
	v_dual_mov_b32 v128, v56 :: v_dual_mov_b32 v127, v55
	v_dual_mov_b32 v132, v60 :: v_dual_mov_b32 v131, v59
	;; [unrolled: 1-line block ×11, first 2 shown]
	v_mov_b32_e32 v141, v69
	v_dual_mov_b32 v136, v65 :: v_dual_mov_b32 v137, v64
	v_dual_mov_b32 v160, v124 :: v_dual_mov_b32 v159, v123
	;; [unrolled: 1-line block ×40, first 2 shown]
	v_mov_b32_e32 v22, v84
	v_dual_mov_b32 v22, v38 :: v_dual_mov_b32 v25, v87
	v_dual_mov_b32 v16, v78 :: v_dual_mov_b32 v19, v81
	;; [unrolled: 1-line block ×16, first 2 shown]
	v_mov_b32_e32 v35, v73
	v_dual_mov_b32 v34, v37 :: v_dual_mov_b32 v39, v40
	v_dual_mov_b32 v36, v74 :: v_dual_mov_b32 v65, v64
	v_mov_b32_e32 v53, v52
.LBB42_83:
	s_or_b32 exec_lo, exec_lo, s2
	v_mov_b32_e32 v40, v4
	s_mov_b32 s2, exec_lo
	v_cmpx_lt_f32_e32 v39, v4
	s_cbranch_execz .LBB42_85
; %bb.84:
	v_mov_b32_e32 v137, v66
	v_mov_b32_e32 v125, v54
	;; [unrolled: 1-line block ×4, first 2 shown]
	v_dual_mov_b32 v170, v134 :: v_dual_mov_b32 v169, v133
	v_dual_mov_b32 v168, v132 :: v_dual_mov_b32 v159, v123
	;; [unrolled: 1-line block ×9, first 2 shown]
	v_mov_b32_e32 v157, v145
	v_dual_mov_b32 v155, v143 :: v_dual_mov_b32 v152, v140
	v_mov_b32_e32 v162, v53
	v_mov_b32_e32 v149, v137
	v_dual_mov_b32 v150, v65 :: v_dual_mov_b32 v111, v159
	v_dual_mov_b32 v112, v160 :: v_dual_mov_b32 v99, v147
	v_dual_mov_b32 v100, v148 :: v_dual_mov_b32 v115, v163
	v_dual_mov_b32 v116, v164 :: v_dual_mov_b32 v103, v151
	v_dual_mov_b32 v104, v152 :: v_dual_mov_b32 v113, v161
	v_dual_mov_b32 v114, v162 :: v_dual_mov_b32 v117, v165
	v_dual_mov_b32 v118, v166 :: v_dual_mov_b32 v119, v167
	v_dual_mov_b32 v120, v168 :: v_dual_mov_b32 v121, v169
	v_dual_mov_b32 v122, v170 :: v_dual_mov_b32 v101, v149
	v_dual_mov_b32 v102, v150 :: v_dual_mov_b32 v105, v153
	v_dual_mov_b32 v106, v154 :: v_dual_mov_b32 v107, v155
	v_dual_mov_b32 v108, v156 :: v_dual_mov_b32 v109, v157
	v_dual_mov_b32 v110, v158 :: v_dual_mov_b32 v103, v67
	v_mov_b32_e32 v115, v55
	v_dual_mov_b32 v87, v99 :: v_dual_mov_b32 v88, v100
	v_dual_mov_b32 v75, v111 :: v_dual_mov_b32 v78, v114
	;; [unrolled: 1-line block ×3, first 2 shown]
	s_delay_alu instid0(VALU_DEP_4)
	v_dual_mov_b32 v80, v116 :: v_dual_mov_b32 v79, v115
	v_dual_mov_b32 v82, v118 :: v_dual_mov_b32 v81, v117
	;; [unrolled: 1-line block ×6, first 2 shown]
	v_mov_b32_e32 v96, v108
	v_dual_mov_b32 v92, v104 :: v_dual_mov_b32 v93, v105
	v_dual_mov_b32 v98, v110 :: v_dual_mov_b32 v95, v107
	v_dual_mov_b32 v80, v56 :: v_dual_mov_b32 v97, v109
	v_dual_mov_b32 v92, v68 :: v_dual_mov_b32 v13, v75
	v_dual_mov_b32 v14, v76 :: v_dual_mov_b32 v25, v87
	v_dual_mov_b32 v26, v88 :: v_dual_mov_b32 v19, v81
	v_dual_mov_b32 v20, v82 :: v_dual_mov_b32 v21, v83
	v_dual_mov_b32 v22, v84 :: v_dual_mov_b32 v23, v85
	v_dual_mov_b32 v24, v86 :: v_dual_mov_b32 v31, v93
	v_dual_mov_b32 v32, v94 :: v_dual_mov_b32 v33, v95
	v_dual_mov_b32 v34, v96 :: v_dual_mov_b32 v35, v97
	v_dual_mov_b32 v36, v98 :: v_dual_mov_b32 v3, v4
	v_dual_mov_b32 v4, v39 :: v_dual_mov_b32 v15, v77
	v_dual_mov_b32 v16, v78 :: v_dual_mov_b32 v17, v79
	v_dual_mov_b32 v18, v80 :: v_dual_mov_b32 v27, v89
	v_dual_mov_b32 v28, v90 :: v_dual_mov_b32 v29, v91
	v_dual_mov_b32 v30, v92 :: v_dual_mov_b32 v19, v57
	v_dual_mov_b32 v20, v58 :: v_dual_mov_b32 v21, v59
	v_dual_mov_b32 v22, v38 :: v_dual_mov_b32 v23, v61
	v_dual_mov_b32 v24, v62 :: v_dual_mov_b32 v31, v69
	v_dual_mov_b32 v32, v70 :: v_dual_mov_b32 v33, v71
	v_mov_b32_e32 v34, v37
	v_dual_mov_b32 v35, v73 :: v_dual_mov_b32 v36, v74
	v_mov_b32_e32 v40, v39
	v_mov_b32_e32 v66, v65
	;; [unrolled: 1-line block ×3, first 2 shown]
.LBB42_85:
	s_or_b32 exec_lo, exec_lo, s2
	v_mov_b32_e32 v39, v5
	s_mov_b32 s2, exec_lo
	v_cmpx_lt_f32_e32 v40, v5
	s_cbranch_execz .LBB42_87
; %bb.86:
	v_mov_b32_e32 v126, v55
	v_mov_b32_e32 v111, v123
	;; [unrolled: 1-line block ×3, first 2 shown]
	v_dual_mov_b32 v115, v54 :: v_dual_mov_b32 v116, v128
	v_dual_mov_b32 v138, v67 :: v_dual_mov_b32 v113, v125
	v_mov_b32_e32 v112, v124
	v_dual_mov_b32 v118, v130 :: v_dual_mov_b32 v119, v131
	v_dual_mov_b32 v120, v132 :: v_dual_mov_b32 v121, v133
	;; [unrolled: 1-line block ×24, first 2 shown]
	v_mov_b32_e32 v22, v84
	v_dual_mov_b32 v22, v38 :: v_dual_mov_b32 v25, v87
	v_dual_mov_b32 v16, v78 :: v_dual_mov_b32 v19, v81
	;; [unrolled: 1-line block ×18, first 2 shown]
	v_mov_b32_e32 v35, v73
	v_dual_mov_b32 v34, v37 :: v_dual_mov_b32 v155, v143
	v_dual_mov_b32 v36, v74 :: v_dual_mov_b32 v157, v145
	;; [unrolled: 1-line block ×12, first 2 shown]
	v_mov_b32_e32 v55, v54
.LBB42_87:
	s_or_b32 exec_lo, exec_lo, s2
	v_mov_b32_e32 v40, v6
	s_mov_b32 s2, exec_lo
	v_cmpx_lt_f32_e32 v39, v6
	s_cbranch_execz .LBB42_89
; %bb.88:
	v_mov_b32_e32 v163, v56
	v_dual_mov_b32 v75, v159 :: v_dual_mov_b32 v80, v164
	v_dual_mov_b32 v80, v55 :: v_dual_mov_b32 v81, v165
	v_dual_mov_b32 v151, v68 :: v_dual_mov_b32 v78, v162
	v_dual_mov_b32 v87, v147 :: v_dual_mov_b32 v90, v150
	v_dual_mov_b32 v77, v161 :: v_dual_mov_b32 v82, v166
	v_dual_mov_b32 v79, v163 :: v_dual_mov_b32 v84, v168
	v_dual_mov_b32 v83, v167 :: v_dual_mov_b32 v86, v170
	v_mov_b32_e32 v85, v169
	v_dual_mov_b32 v89, v149 :: v_dual_mov_b32 v92, v152
	v_dual_mov_b32 v91, v151 :: v_dual_mov_b32 v94, v154
	;; [unrolled: 1-line block ×6, first 2 shown]
	v_mov_b32_e32 v88, v148
	v_mov_b32_e32 v6, v39
	s_delay_alu instid0(VALU_DEP_3) | instskip(NEXT) | instid1(VALU_DEP_3)
	v_dual_mov_b32 v13, v75 :: v_dual_mov_b32 v14, v76
	v_dual_mov_b32 v25, v87 :: v_dual_mov_b32 v26, v88
	;; [unrolled: 1-line block ×30, first 2 shown]
	v_mov_b32_e32 v40, v39
	v_mov_b32_e32 v68, v67
	;; [unrolled: 1-line block ×3, first 2 shown]
.LBB42_89:
	s_or_b32 exec_lo, exec_lo, s2
	v_mov_b32_e32 v39, v7
	s_mov_b32 s2, exec_lo
	v_cmpx_lt_f32_e32 v40, v7
	s_cbranch_execz .LBB42_91
; %bb.90:
	v_mov_b32_e32 v116, v57
	v_dual_mov_b32 v6, v7 :: v_dual_mov_b32 v7, v40
	v_dual_mov_b32 v104, v69 :: v_dual_mov_b32 v13, v111
	v_mov_b32_e32 v22, v120
	v_dual_mov_b32 v22, v38 :: v_dual_mov_b32 v25, v99
	v_mov_b32_e32 v34, v108
	v_dual_mov_b32 v34, v37 :: v_dual_mov_b32 v87, v99
	v_dual_mov_b32 v16, v114 :: v_dual_mov_b32 v19, v117
	;; [unrolled: 1-line block ×12, first 2 shown]
	v_mov_b32_e32 v23, v61
	v_dual_mov_b32 v21, v59 :: v_dual_mov_b32 v24, v62
	v_dual_mov_b32 v27, v101 :: v_dual_mov_b32 v26, v100
	;; [unrolled: 1-line block ×3, first 2 shown]
	v_mov_b32_e32 v35, v73
	v_dual_mov_b32 v33, v71 :: v_dual_mov_b32 v36, v74
	v_dual_mov_b32 v89, v101 :: v_dual_mov_b32 v88, v100
	;; [unrolled: 1-line block ×9, first 2 shown]
	v_mov_b32_e32 v39, v40
	v_mov_b32_e32 v69, v68
	v_dual_mov_b32 v57, v56 :: v_dual_mov_b32 v94, v106
	v_dual_mov_b32 v97, v109 :: v_dual_mov_b32 v82, v118
	;; [unrolled: 1-line block ×3, first 2 shown]
.LBB42_91:
	s_or_b32 exec_lo, exec_lo, s2
	v_mov_b32_e32 v40, v8
	s_mov_b32 s2, exec_lo
	v_cmpx_lt_f32_e32 v39, v8
	s_cbranch_execz .LBB42_93
; %bb.92:
	v_dual_mov_b32 v81, v58 :: v_dual_mov_b32 v82, v57
	v_dual_mov_b32 v83, v59 :: v_dual_mov_b32 v84, v38
	v_dual_mov_b32 v85, v61 :: v_dual_mov_b32 v98, v74
	v_dual_mov_b32 v93, v70 :: v_dual_mov_b32 v94, v69
	v_dual_mov_b32 v95, v71 :: v_dual_mov_b32 v96, v37
	v_dual_mov_b32 v97, v73 :: v_dual_mov_b32 v86, v62
	v_dual_mov_b32 v25, v87 :: v_dual_mov_b32 v26, v88
	v_dual_mov_b32 v13, v75 :: v_dual_mov_b32 v14, v76
	v_dual_mov_b32 v7, v8 :: v_dual_mov_b32 v8, v39
	v_dual_mov_b32 v27, v89 :: v_dual_mov_b32 v28, v90
	v_dual_mov_b32 v29, v91 :: v_dual_mov_b32 v30, v92
	v_dual_mov_b32 v31, v93 :: v_dual_mov_b32 v32, v94
	v_dual_mov_b32 v33, v95 :: v_dual_mov_b32 v34, v96
	v_dual_mov_b32 v35, v97 :: v_dual_mov_b32 v36, v98
	v_dual_mov_b32 v15, v77 :: v_dual_mov_b32 v16, v78
	v_dual_mov_b32 v17, v79 :: v_dual_mov_b32 v18, v80
	v_dual_mov_b32 v19, v81 :: v_dual_mov_b32 v20, v82
	v_dual_mov_b32 v21, v83 :: v_dual_mov_b32 v22, v84
	v_dual_mov_b32 v23, v85 :: v_dual_mov_b32 v24, v86
	v_mov_b32_e32 v40, v39
.LBB42_93:
	s_or_b32 exec_lo, exec_lo, s2
	s_delay_alu instid0(VALU_DEP_1)
	v_cmp_lt_f32_e32 vcc_lo, v40, v9
	v_dual_mov_b32 v38, v2 :: v_dual_mov_b32 v41, v5
	v_dual_mov_b32 v42, v6 :: v_dual_mov_b32 v47, v11
	v_dual_cndmask_b32 v145, v33, v32 :: v_dual_cndmask_b32 v32, v32, v33
	v_dual_cndmask_b32 v146, v21, v20 :: v_dual_mov_b32 v39, v3
	v_dual_cndmask_b32 v20, v20, v21 :: v_dual_cndmask_b32 v45, v9, v40
	v_dual_cndmask_b32 v44, v8, v9 :: v_dual_mov_b32 v37, v1
	v_dual_mov_b32 v40, v4 :: v_dual_mov_b32 v43, v7
	v_mov_b32_e32 v46, v10
	v_mov_b32_e32 v48, v12
	s_mov_b32 s2, exec_lo
	v_cmpx_lt_f32_e32 v1, v2
	s_cbranch_execz .LBB42_95
; %bb.94:
	v_dual_mov_b32 v49, v38 :: v_dual_mov_b32 v50, v37
	v_dual_mov_b32 v51, v39 :: v_dual_mov_b32 v52, v40
	;; [unrolled: 1-line block ×6, first 2 shown]
	v_mov_b32_e32 v3, v25
	v_mov_b32_e32 v4, v13
	v_dual_mov_b32 v37, v49 :: v_dual_mov_b32 v40, v52
	v_swap_b32 v25, v26
	v_swap_b32 v13, v14
	v_dual_mov_b32 v38, v50 :: v_dual_mov_b32 v39, v51
	v_dual_mov_b32 v41, v53 :: v_dual_mov_b32 v42, v54
	;; [unrolled: 1-line block ×5, first 2 shown]
	v_mov_b32_e32 v2, v1
.LBB42_95:
	s_or_b32 exec_lo, exec_lo, s2
	v_mov_b32_e32 v21, v146
	v_dual_mov_b32 v33, v145 :: v_dual_mov_b32 v60, v24
	v_dual_mov_b32 v72, v36 :: v_dual_mov_b32 v61, v25
	;; [unrolled: 1-line block ×43, first 2 shown]
	v_mov_b32_e32 v97, v13
	v_mov_b32_e32 v1, v39
	s_mov_b32 s2, exec_lo
	v_dual_mov_b32 v95, v35 :: v_dual_mov_b32 v94, v34
	v_dual_mov_b32 v93, v33 :: v_dual_mov_b32 v92, v32
	;; [unrolled: 1-line block ×5, first 2 shown]
	v_cmpx_lt_f32_e32 v2, v39
	s_cbranch_execz .LBB42_97
; %bb.96:
	v_dual_mov_b32 v108, v24 :: v_dual_mov_b32 v107, v23
	v_dual_mov_b32 v98, v14 :: v_dual_mov_b32 v97, v13
	v_mov_b32_e32 v98, v15
	v_dual_mov_b32 v104, v20 :: v_dual_mov_b32 v103, v19
	v_dual_mov_b32 v100, v16 :: v_dual_mov_b32 v99, v15
	;; [unrolled: 1-line block ×26, first 2 shown]
	v_mov_b32_e32 v84, v144
	v_dual_mov_b32 v74, v134 :: v_dual_mov_b32 v77, v137
	v_mov_b32_e32 v75, v135
	v_dual_mov_b32 v38, v39 :: v_dual_mov_b32 v85, v121
	v_dual_mov_b32 v76, v136 :: v_dual_mov_b32 v79, v139
	;; [unrolled: 1-line block ×10, first 2 shown]
	v_mov_b32_e32 v39, v2
	v_dual_mov_b32 v49, v73 :: v_dual_mov_b32 v50, v74
	v_dual_mov_b32 v59, v83 :: v_dual_mov_b32 v60, v84
	;; [unrolled: 1-line block ×18, first 2 shown]
	v_mov_b32_e32 v70, v34
	v_dual_mov_b32 v72, v36 :: v_dual_mov_b32 v1, v2
	v_mov_b32_e32 v27, v26
	v_mov_b32_e32 v15, v14
.LBB42_97:
	s_or_b32 exec_lo, exec_lo, s2
	v_mov_b32_e32 v2, v40
	s_mov_b32 s2, exec_lo
	v_cmpx_lt_f32_e32 v1, v40
	s_cbranch_execz .LBB42_99
; %bb.98:
	v_mov_b32_e32 v99, v16
	v_mov_b32_e32 v144, v108
	v_mov_b32_e32 v136, v100
	v_dual_mov_b32 v136, v15 :: v_dual_mov_b32 v111, v28
	v_dual_mov_b32 v142, v106 :: v_dual_mov_b32 v133, v97
	;; [unrolled: 1-line block ×4, first 2 shown]
	v_mov_b32_e32 v135, v99
	v_dual_mov_b32 v125, v113 :: v_dual_mov_b32 v124, v112
	v_mov_b32_e32 v143, v107
	v_dual_mov_b32 v141, v105 :: v_dual_mov_b32 v140, v104
	v_dual_mov_b32 v139, v103 :: v_dual_mov_b32 v138, v102
	;; [unrolled: 1-line block ×18, first 2 shown]
	v_mov_b32_e32 v95, v131
	v_dual_mov_b32 v89, v29 :: v_dual_mov_b32 v88, v124
	v_dual_mov_b32 v49, v73 :: v_dual_mov_b32 v54, v78
	v_mov_b32_e32 v50, v74
	v_dual_mov_b32 v52, v76 :: v_dual_mov_b32 v61, v85
	s_delay_alu instid0(VALU_DEP_4)
	v_dual_mov_b32 v64, v88 :: v_dual_mov_b32 v51, v75
	v_dual_mov_b32 v56, v80 :: v_dual_mov_b32 v53, v77
	;; [unrolled: 1-line block ×12, first 2 shown]
	v_mov_b32_e32 v58, v22
	v_dual_mov_b32 v57, v146 :: v_dual_mov_b32 v60, v24
	v_dual_mov_b32 v59, v23 :: v_dual_mov_b32 v62, v86
	;; [unrolled: 1-line block ×5, first 2 shown]
	v_mov_b32_e32 v2, v1
	v_mov_b32_e32 v28, v27
	;; [unrolled: 1-line block ×3, first 2 shown]
.LBB42_99:
	s_or_b32 exec_lo, exec_lo, s2
	v_mov_b32_e32 v1, v41
	s_mov_b32 s2, exec_lo
	v_cmpx_lt_f32_e32 v2, v41
	s_cbranch_execz .LBB42_101
; %bb.100:
	v_mov_b32_e32 v100, v17
	v_mov_b32_e32 v73, v97
	;; [unrolled: 1-line block ×3, first 2 shown]
	v_dual_mov_b32 v77, v16 :: v_dual_mov_b32 v78, v102
	v_dual_mov_b32 v112, v29 :: v_dual_mov_b32 v75, v99
	;; [unrolled: 1-line block ×3, first 2 shown]
	v_mov_b32_e32 v84, v108
	v_dual_mov_b32 v74, v98 :: v_dual_mov_b32 v85, v109
	v_mov_b32_e32 v86, v110
	v_dual_mov_b32 v76, v100 :: v_dual_mov_b32 v79, v103
	v_dual_mov_b32 v80, v104 :: v_dual_mov_b32 v81, v105
	;; [unrolled: 1-line block ×8, first 2 shown]
	v_mov_b32_e32 v49, v73
	v_dual_mov_b32 v89, v28 :: v_dual_mov_b32 v50, v74
	v_dual_mov_b32 v59, v83 :: v_dual_mov_b32 v60, v84
	v_dual_mov_b32 v60, v24 :: v_dual_mov_b32 v61, v85
	v_dual_mov_b32 v53, v77 :: v_dual_mov_b32 v54, v78
	v_dual_mov_b32 v55, v79 :: v_dual_mov_b32 v56, v80
	v_dual_mov_b32 v57, v81 :: v_dual_mov_b32 v58, v82
	v_dual_mov_b32 v66, v90 :: v_dual_mov_b32 v67, v91
	v_dual_mov_b32 v68, v92 :: v_dual_mov_b32 v69, v93
	v_dual_mov_b32 v70, v94 :: v_dual_mov_b32 v71, v95
	v_dual_mov_b32 v72, v96 :: v_dual_mov_b32 v67, v31
	v_dual_mov_b32 v132, v120 :: v_dual_mov_b32 v127, v115
	v_dual_mov_b32 v144, v108 :: v_dual_mov_b32 v139, v103
	v_dual_mov_b32 v51, v75 :: v_dual_mov_b32 v52, v76
	v_dual_mov_b32 v54, v18 :: v_dual_mov_b32 v55, v19
	v_dual_mov_b32 v56, v20 :: v_dual_mov_b32 v57, v146
	v_dual_mov_b32 v58, v22 :: v_dual_mov_b32 v59, v23
	v_dual_mov_b32 v62, v86 :: v_dual_mov_b32 v63, v87
	v_dual_mov_b32 v64, v88 :: v_dual_mov_b32 v65, v89
	v_dual_mov_b32 v66, v30 :: v_dual_mov_b32 v69, v145
	v_dual_mov_b32 v68, v32 :: v_dual_mov_b32 v71, v35
	v_dual_mov_b32 v70, v34 :: v_dual_mov_b32 v131, v119
	v_dual_mov_b32 v72, v36 :: v_dual_mov_b32 v129, v117
	v_dual_mov_b32 v130, v118 :: v_dual_mov_b32 v125, v113
	v_dual_mov_b32 v128, v116 :: v_dual_mov_b32 v123, v111
	v_dual_mov_b32 v126, v114 :: v_dual_mov_b32 v121, v109
	v_dual_mov_b32 v124, v112 :: v_dual_mov_b32 v143, v107
	v_dual_mov_b32 v122, v110 :: v_dual_mov_b32 v141, v105
	v_dual_mov_b32 v142, v106 :: v_dual_mov_b32 v137, v101
	v_dual_mov_b32 v140, v104 :: v_dual_mov_b32 v135, v99
	v_dual_mov_b32 v138, v102 :: v_dual_mov_b32 v133, v97
	v_dual_mov_b32 v136, v100 :: v_dual_mov_b32 v1, v2
	v_dual_mov_b32 v134, v98 :: v_dual_mov_b32 v29, v28
	v_mov_b32_e32 v17, v16
.LBB42_101:
	s_or_b32 exec_lo, exec_lo, s2
	v_mov_b32_e32 v2, v42
	s_mov_b32 s2, exec_lo
	v_cmpx_lt_f32_e32 v1, v42
	s_cbranch_execz .LBB42_103
; %bb.102:
	v_mov_b32_e32 v137, v18
	v_mov_b32_e32 v125, v30
	v_dual_mov_b32 v41, v42 :: v_dual_mov_b32 v42, v1
	v_dual_mov_b32 v49, v133 :: v_dual_mov_b32 v50, v134
	;; [unrolled: 1-line block ×13, first 2 shown]
	v_mov_b32_e32 v66, v29
	v_dual_mov_b32 v85, v121 :: v_dual_mov_b32 v86, v122
	v_dual_mov_b32 v73, v133 :: v_dual_mov_b32 v74, v134
	;; [unrolled: 1-line block ×4, first 2 shown]
	v_mov_b32_e32 v64, v124
	v_dual_mov_b32 v58, v22 :: v_dual_mov_b32 v59, v23
	v_dual_mov_b32 v67, v31 :: v_dual_mov_b32 v68, v32
	;; [unrolled: 1-line block ×8, first 2 shown]
	v_mov_b32_e32 v2, v1
	v_mov_b32_e32 v30, v29
	v_dual_mov_b32 v18, v17 :: v_dual_mov_b32 v91, v127
	v_dual_mov_b32 v92, v128 :: v_dual_mov_b32 v93, v129
	v_dual_mov_b32 v94, v130 :: v_dual_mov_b32 v95, v131
	v_dual_mov_b32 v96, v132 :: v_dual_mov_b32 v79, v139
	v_dual_mov_b32 v80, v140 :: v_dual_mov_b32 v81, v141
	v_dual_mov_b32 v82, v142 :: v_dual_mov_b32 v83, v143
	v_mov_b32_e32 v84, v144
.LBB42_103:
	s_or_b32 exec_lo, exec_lo, s2
	v_mov_b32_e32 v1, v43
	s_mov_b32 s2, exec_lo
	v_cmpx_lt_f32_e32 v2, v43
	s_cbranch_execz .LBB42_105
; %bb.104:
	v_dual_mov_b32 v94, v34 :: v_dual_mov_b32 v95, v35
	v_dual_mov_b32 v78, v19 :: v_dual_mov_b32 v79, v18
	;; [unrolled: 1-line block ×6, first 2 shown]
	v_mov_b32_e32 v96, v36
	v_dual_mov_b32 v42, v43 :: v_dual_mov_b32 v43, v2
	v_dual_mov_b32 v84, v24 :: v_dual_mov_b32 v61, v85
	;; [unrolled: 1-line block ×14, first 2 shown]
.LBB42_105:
	s_or_b32 exec_lo, exec_lo, s2
	s_delay_alu instid0(VALU_DEP_1)
	v_cmp_lt_f32_e32 vcc_lo, v1, v44
	v_dual_mov_b32 v3, v39 :: v_dual_mov_b32 v10, v46
	v_dual_mov_b32 v5, v41 :: v_dual_mov_b32 v12, v48
	v_dual_cndmask_b32 v121, v68, v67 :: v_dual_mov_b32 v2, v38
	v_dual_cndmask_b32 v67, v67, v68 :: v_dual_cndmask_b32 v122, v56, v55
	v_dual_cndmask_b32 v55, v55, v56 :: v_dual_cndmask_b32 v8, v44, v1
	v_dual_cndmask_b32 v7, v43, v44 :: v_dual_mov_b32 v4, v40
	v_dual_mov_b32 v1, v37 :: v_dual_mov_b32 v6, v42
	v_mov_b32_e32 v9, v45
	v_mov_b32_e32 v11, v47
	s_mov_b32 s2, exec_lo
	v_cmpx_lt_f32_e32 v37, v38
	s_cbranch_execz .LBB42_107
; %bb.106:
	v_dual_mov_b32 v13, v2 :: v_dual_mov_b32 v14, v1
	v_dual_mov_b32 v15, v3 :: v_dual_mov_b32 v16, v4
	;; [unrolled: 1-line block ×6, first 2 shown]
	v_mov_b32_e32 v25, v61
	v_mov_b32_e32 v26, v49
	v_dual_mov_b32 v1, v13 :: v_dual_mov_b32 v4, v16
	v_swap_b32 v61, v62
	v_swap_b32 v49, v50
	v_dual_mov_b32 v2, v14 :: v_dual_mov_b32 v3, v15
	v_dual_mov_b32 v5, v17 :: v_dual_mov_b32 v6, v18
	v_dual_mov_b32 v7, v19 :: v_dual_mov_b32 v8, v20
	v_dual_mov_b32 v9, v21 :: v_dual_mov_b32 v10, v22
	v_dual_mov_b32 v11, v23 :: v_dual_mov_b32 v12, v24
	v_mov_b32_e32 v38, v37
.LBB42_107:
	s_or_b32 exec_lo, exec_lo, s2
	v_mov_b32_e32 v56, v122
	v_mov_b32_e32 v68, v121
	;; [unrolled: 1-line block ×3, first 2 shown]
	v_dual_mov_b32 v27, v51 :: v_dual_mov_b32 v84, v72
	v_mov_b32_e32 v81, v69
	v_dual_mov_b32 v83, v71 :: v_dual_mov_b32 v96, v60
	v_dual_mov_b32 v91, v55 :: v_dual_mov_b32 v120, v72
	;; [unrolled: 1-line block ×31, first 2 shown]
	v_mov_b32_e32 v24, v60
	s_mov_b32 s2, exec_lo
	v_dual_mov_b32 v118, v70 :: v_dual_mov_b32 v115, v67
	v_dual_mov_b32 v116, v68 :: v_dual_mov_b32 v113, v65
	;; [unrolled: 1-line block ×3, first 2 shown]
	v_cmpx_lt_f32_e32 v38, v3
	s_cbranch_execz .LBB42_109
; %bb.108:
	v_dual_mov_b32 v13, v49 :: v_dual_mov_b32 v14, v50
	v_dual_mov_b32 v23, v59 :: v_dual_mov_b32 v24, v60
	;; [unrolled: 1-line block ×30, first 2 shown]
	v_mov_b32_e32 v112, v64
	v_dual_mov_b32 v34, v94 :: v_dual_mov_b32 v35, v95
	v_dual_mov_b32 v35, v59 :: v_dual_mov_b32 v34, v58
	;; [unrolled: 1-line block ×15, first 2 shown]
	v_mov_b32_e32 v81, v69
	v_dual_mov_b32 v80, v121 :: v_dual_mov_b32 v83, v71
	v_mov_b32_e32 v82, v70
	v_dual_mov_b32 v84, v72 :: v_dual_mov_b32 v37, v38
	v_mov_b32_e32 v63, v62
	v_mov_b32_e32 v51, v50
.LBB42_109:
	s_or_b32 exec_lo, exec_lo, s2
	v_mov_b32_e32 v38, v4
	s_mov_b32 s2, exec_lo
	v_cmpx_lt_f32_e32 v37, v4
	s_cbranch_execz .LBB42_111
; %bb.110:
	v_mov_b32_e32 v15, v52
	v_mov_b32_e32 v96, v24
	;; [unrolled: 1-line block ×3, first 2 shown]
	v_dual_mov_b32 v88, v51 :: v_dual_mov_b32 v99, v64
	v_dual_mov_b32 v94, v22 :: v_dual_mov_b32 v85, v13
	;; [unrolled: 1-line block ×3, first 2 shown]
	v_mov_b32_e32 v95, v23
	v_dual_mov_b32 v93, v21 :: v_dual_mov_b32 v92, v20
	v_dual_mov_b32 v91, v19 :: v_dual_mov_b32 v90, v18
	;; [unrolled: 1-line block ×7, first 2 shown]
	v_mov_b32_e32 v87, v15
	v_dual_mov_b32 v111, v99 :: v_dual_mov_b32 v110, v98
	v_dual_mov_b32 v112, v63 :: v_dual_mov_b32 v25, v85
	;; [unrolled: 1-line block ×3, first 2 shown]
	s_delay_alu instid0(VALU_DEP_3)
	v_dual_mov_b32 v74, v110 :: v_dual_mov_b32 v29, v89
	v_dual_mov_b32 v30, v90 :: v_dual_mov_b32 v31, v91
	;; [unrolled: 1-line block ×8, first 2 shown]
	v_mov_b32_e32 v84, v120
	v_dual_mov_b32 v3, v4 :: v_dual_mov_b32 v4, v37
	v_dual_mov_b32 v27, v87 :: v_dual_mov_b32 v28, v88
	;; [unrolled: 1-line block ×11, first 2 shown]
	v_mov_b32_e32 v38, v37
	v_mov_b32_e32 v64, v63
	;; [unrolled: 1-line block ×3, first 2 shown]
.LBB42_111:
	s_or_b32 exec_lo, exec_lo, s2
	v_mov_b32_e32 v16, v5
	s_mov_b32 s2, exec_lo
	v_cmpx_lt_f32_e32 v38, v5
	s_cbranch_execz .LBB42_113
; %bb.112:
	v_mov_b32_e32 v100, v65
	v_mov_b32_e32 v16, v53
	v_dual_mov_b32 v4, v5 :: v_dual_mov_b32 v5, v38
	v_dual_mov_b32 v36, v24 :: v_dual_mov_b32 v33, v21
	;; [unrolled: 1-line block ×3, first 2 shown]
	v_mov_b32_e32 v31, v19
	v_dual_mov_b32 v35, v59 :: v_dual_mov_b32 v34, v58
	v_dual_mov_b32 v73, v97 :: v_dual_mov_b32 v32, v20
	;; [unrolled: 1-line block ×8, first 2 shown]
	v_mov_b32_e32 v77, v64
	v_dual_mov_b32 v84, v108 :: v_dual_mov_b32 v79, v67
	v_dual_mov_b32 v120, v108 :: v_dual_mov_b32 v115, v103
	;; [unrolled: 1-line block ×19, first 2 shown]
	v_mov_b32_e32 v88, v16
	v_dual_mov_b32 v86, v14 :: v_dual_mov_b32 v65, v64
	v_dual_mov_b32 v16, v38 :: v_dual_mov_b32 v53, v52
	;; [unrolled: 1-line block ×3, first 2 shown]
.LBB42_113:
	s_or_b32 exec_lo, exec_lo, s2
	v_mov_b32_e32 v13, v6
	s_mov_b32 s2, exec_lo
	v_cmpx_lt_f32_e32 v16, v6
	s_cbranch_execz .LBB42_115
; %bb.114:
	v_dual_mov_b32 v89, v54 :: v_dual_mov_b32 v90, v53
	v_dual_mov_b32 v91, v55 :: v_dual_mov_b32 v92, v122
	;; [unrolled: 1-line block ×21, first 2 shown]
	v_mov_b32_e32 v13, v16
.LBB42_115:
	s_or_b32 exec_lo, exec_lo, s2
	s_delay_alu instid0(VALU_DEP_1)
	v_cmp_lt_f32_e32 vcc_lo, v13, v7
	v_dual_mov_b32 v14, v2 :: v_dual_mov_b32 v17, v5
	v_dual_mov_b32 v16, v4 :: v_dual_mov_b32 v21, v9
	v_dual_cndmask_b32 v37, v79, v78 :: v_dual_cndmask_b32 v78, v78, v79
	v_cndmask_b32_e32 v38, v31, v30, vcc_lo
	v_dual_cndmask_b32 v30, v30, v31 :: v_dual_cndmask_b32 v19, v7, v13
	v_dual_cndmask_b32 v18, v6, v7 :: v_dual_mov_b32 v15, v3
	v_dual_mov_b32 v13, v1 :: v_dual_mov_b32 v20, v8
	v_dual_mov_b32 v23, v11 :: v_dual_mov_b32 v22, v10
	v_mov_b32_e32 v24, v12
	s_mov_b32 s2, exec_lo
	v_cmpx_lt_f32_e32 v1, v2
	s_cbranch_execz .LBB42_117
; %bb.116:
	v_dual_mov_b32 v2, v14 :: v_dual_mov_b32 v3, v13
	v_dual_mov_b32 v12, v23 :: v_dual_mov_b32 v13, v24
	v_dual_mov_b32 v4, v15 :: v_dual_mov_b32 v5, v16
	v_dual_mov_b32 v6, v17 :: v_dual_mov_b32 v7, v18
	v_dual_mov_b32 v8, v19 :: v_dual_mov_b32 v9, v20
	v_dual_mov_b32 v10, v21 :: v_dual_mov_b32 v11, v22
	v_mov_b32_e32 v24, v13
	v_mov_b32_e32 v31, v73
	v_dual_mov_b32 v39, v25 :: v_dual_mov_b32 v18, v7
	v_swap_b32 v73, v74
	v_swap_b32 v25, v26
	v_dual_mov_b32 v23, v12 :: v_dual_mov_b32 v20, v9
	v_dual_mov_b32 v22, v11 :: v_dual_mov_b32 v21, v10
	;; [unrolled: 1-line block ×4, first 2 shown]
	v_mov_b32_e32 v15, v4
	v_dual_mov_b32 v13, v2 :: v_dual_mov_b32 v2, v1
.LBB42_117:
	s_or_b32 exec_lo, exec_lo, s2
	v_mov_b32_e32 v31, v38
	v_dual_mov_b32 v79, v37 :: v_dual_mov_b32 v50, v36
	v_dual_mov_b32 v51, v73 :: v_dual_mov_b32 v52, v74
	;; [unrolled: 1-line block ×24, first 2 shown]
	v_mov_b32_e32 v85, v25
	v_mov_b32_e32 v1, v15
	s_mov_b32 s2, exec_lo
	v_cmpx_lt_f32_e32 v2, v15
	s_cbranch_execz .LBB42_119
; %bb.118:
	v_dual_mov_b32 v96, v36 :: v_dual_mov_b32 v95, v35
	v_dual_mov_b32 v86, v26 :: v_dual_mov_b32 v85, v25
	;; [unrolled: 1-line block ×8, first 2 shown]
	v_mov_b32_e32 v105, v81
	v_dual_mov_b32 v43, v89 :: v_dual_mov_b32 v44, v90
	v_dual_mov_b32 v100, v76 :: v_dual_mov_b32 v97, v73
	;; [unrolled: 1-line block ×6, first 2 shown]
	v_mov_b32_e32 v98, v74
	v_dual_mov_b32 v98, v75 :: v_dual_mov_b32 v99, v74
	v_dual_mov_b32 v49, v95 :: v_dual_mov_b32 v50, v96
	;; [unrolled: 1-line block ×12, first 2 shown]
	v_mov_b32_e32 v40, v86
	v_dual_mov_b32 v42, v28 :: v_dual_mov_b32 v43, v29
	v_dual_mov_b32 v45, v38 :: v_dual_mov_b32 v46, v32
	;; [unrolled: 1-line block ×9, first 2 shown]
	v_mov_b32_e32 v75, v74
	v_mov_b32_e32 v27, v26
.LBB42_119:
	s_or_b32 exec_lo, exec_lo, s2
	v_mov_b32_e32 v2, v16
	s_mov_b32 s2, exec_lo
	v_cmpx_lt_f32_e32 v1, v16
	s_cbranch_execz .LBB42_121
; %bb.120:
	v_mov_b32_e32 v87, v28
	v_mov_b32_e32 v99, v76
	v_dual_mov_b32 v15, v16 :: v_dual_mov_b32 v16, v1
	v_dual_mov_b32 v39, v85 :: v_dual_mov_b32 v42, v88
	;; [unrolled: 1-line block ×13, first 2 shown]
	v_mov_b32_e32 v56, v78
	v_mov_b32_e32 v40, v86
	v_dual_mov_b32 v42, v27 :: v_dual_mov_b32 v43, v29
	v_dual_mov_b32 v45, v38 :: v_dual_mov_b32 v46, v32
	v_dual_mov_b32 v47, v33 :: v_dual_mov_b32 v50, v36
	v_dual_mov_b32 v49, v35 :: v_dual_mov_b32 v52, v98
	v_dual_mov_b32 v54, v75 :: v_dual_mov_b32 v55, v77
	v_dual_mov_b32 v57, v37 :: v_dual_mov_b32 v58, v80
	v_dual_mov_b32 v59, v81 :: v_dual_mov_b32 v60, v82
	v_dual_mov_b32 v61, v83 :: v_dual_mov_b32 v62, v84
	v_mov_b32_e32 v2, v1
	v_mov_b32_e32 v76, v75
	;; [unrolled: 1-line block ×3, first 2 shown]
.LBB42_121:
	s_or_b32 exec_lo, exec_lo, s2
	v_mov_b32_e32 v1, v17
	s_mov_b32 s2, exec_lo
	v_cmpx_lt_f32_e32 v2, v17
	s_cbranch_execz .LBB42_123
; %bb.122:
	v_dual_mov_b32 v106, v82 :: v_dual_mov_b32 v107, v83
	v_dual_mov_b32 v88, v29 :: v_dual_mov_b32 v89, v28
	;; [unrolled: 1-line block ×8, first 2 shown]
	v_mov_b32_e32 v108, v84
	v_dual_mov_b32 v16, v17 :: v_dual_mov_b32 v17, v2
	v_dual_mov_b32 v96, v36 :: v_dual_mov_b32 v51, v97
	;; [unrolled: 1-line block ×14, first 2 shown]
.LBB42_123:
	s_or_b32 exec_lo, exec_lo, s2
	s_delay_alu instid0(VALU_DEP_1)
	v_cmp_lt_f32_e32 vcc_lo, v1, v18
	v_dual_mov_b32 v27, v13 :: v_dual_mov_b32 v34, v20
	v_dual_mov_b32 v29, v15 :: v_dual_mov_b32 v36, v22
	v_dual_cndmask_b32 v63, v56, v55 :: v_dual_cndmask_b32 v32, v18, v1
	v_dual_cndmask_b32 v55, v55, v56 :: v_dual_cndmask_b32 v64, v44, v43
	v_dual_cndmask_b32 v43, v43, v44 :: v_dual_mov_b32 v28, v14
	v_dual_cndmask_b32 v31, v17, v18 :: v_dual_mov_b32 v30, v16
	v_dual_mov_b32 v33, v19 :: v_dual_mov_b32 v38, v24
	v_mov_b32_e32 v35, v21
	v_mov_b32_e32 v37, v23
	s_mov_b32 s2, exec_lo
	v_cmpx_lt_f32_e32 v13, v14
	s_cbranch_execz .LBB42_125
; %bb.124:
	s_delay_alu instid0(VALU_DEP_2)
	v_dual_mov_b32 v11, v37 :: v_dual_mov_b32 v12, v38
	v_dual_mov_b32 v1, v28 :: v_dual_mov_b32 v2, v27
	;; [unrolled: 1-line block ×7, first 2 shown]
	s_delay_alu instid0(VALU_DEP_2)
	v_dual_mov_b32 v16, v39 :: v_dual_mov_b32 v35, v9
	v_swap_b32 v51, v52
	v_swap_b32 v39, v40
	v_dual_mov_b32 v37, v11 :: v_dual_mov_b32 v36, v10
	v_dual_mov_b32 v34, v8 :: v_dual_mov_b32 v33, v7
	;; [unrolled: 1-line block ×5, first 2 shown]
	v_mov_b32_e32 v14, v13
.LBB42_125:
	s_or_b32 exec_lo, exec_lo, s2
	v_mov_b32_e32 v44, v64
	v_mov_b32_e32 v56, v63
	;; [unrolled: 1-line block ×4, first 2 shown]
	v_dual_mov_b32 v15, v51 :: v_dual_mov_b32 v2, v40
	v_dual_mov_b32 v16, v52 :: v_dual_mov_b32 v17, v53
	;; [unrolled: 1-line block ×11, first 2 shown]
	v_mov_b32_e32 v12, v50
	s_mov_b32 s2, exec_lo
	v_cmpx_lt_f32_e32 v14, v29
	s_cbranch_execz .LBB42_127
; %bb.126:
	v_dual_mov_b32 v1, v39 :: v_dual_mov_b32 v2, v40
	v_dual_mov_b32 v11, v49 :: v_dual_mov_b32 v12, v50
	;; [unrolled: 1-line block ×25, first 2 shown]
	v_mov_b32_e32 v41, v40
.LBB42_127:
	s_or_b32 exec_lo, exec_lo, s2
	v_mov_b32_e32 v39, v30
	s_mov_b32 s2, exec_lo
	v_cmpx_lt_f32_e32 v13, v30
	s_cbranch_execz .LBB42_129
; %bb.128:
	v_dual_mov_b32 v29, v30 :: v_dual_mov_b32 v30, v13
	v_dual_mov_b32 v3, v42 :: v_dual_mov_b32 v4, v41
	;; [unrolled: 1-line block ×11, first 2 shown]
	v_mov_b32_e32 v39, v13
.LBB42_129:
	s_or_b32 exec_lo, exec_lo, s2
	s_delay_alu instid0(VALU_DEP_1)
	v_cmp_lt_f32_e32 vcc_lo, v39, v31
	v_dual_mov_b32 v40, v28 :: v_dual_mov_b32 v45, v33
	v_dual_mov_b32 v44, v32 :: v_dual_mov_b32 v47, v35
	v_dual_cndmask_b32 v13, v19, v18 :: v_dual_cndmask_b32 v18, v18, v19
	v_dual_cndmask_b32 v14, v5, v4 :: v_dual_cndmask_b32 v43, v31, v39
	v_dual_cndmask_b32 v4, v4, v5 :: v_dual_mov_b32 v39, v27
	v_dual_cndmask_b32 v42, v30, v31 :: v_dual_mov_b32 v41, v29
	v_dual_mov_b32 v46, v34 :: v_dual_mov_b32 v49, v37
	v_mov_b32_e32 v48, v36
	v_mov_b32_e32 v50, v38
	s_mov_b32 s2, exec_lo
	v_cmpx_lt_f32_e32 v27, v28
	s_cbranch_execz .LBB42_131
; %bb.130:
	v_dual_mov_b32 v28, v40 :: v_dual_mov_b32 v29, v39
	v_dual_mov_b32 v38, v49 :: v_dual_mov_b32 v39, v50
	;; [unrolled: 1-line block ×7, first 2 shown]
	v_mov_b32_e32 v5, v15
	v_swap_b32 v15, v16
	s_delay_alu instid0(VALU_DEP_4)
	v_mov_b32_e32 v48, v37
	v_swap_b32 v1, v2
	v_dual_mov_b32 v49, v38 :: v_dual_mov_b32 v46, v35
	v_dual_mov_b32 v47, v36 :: v_dual_mov_b32 v44, v33
	;; [unrolled: 1-line block ×4, first 2 shown]
	v_mov_b32_e32 v41, v30
	v_dual_mov_b32 v39, v28 :: v_dual_mov_b32 v28, v27
.LBB42_131:
	s_or_b32 exec_lo, exec_lo, s2
	v_mov_b32_e32 v5, v14
	v_mov_b32_e32 v19, v13
	;; [unrolled: 1-line block ×3, first 2 shown]
	s_mov_b32 s2, exec_lo
	v_cmpx_lt_f32_e32 v28, v41
	s_cbranch_execz .LBB42_133
; %bb.132:
	v_dual_mov_b32 v74, v26 :: v_dual_mov_b32 v73, v25
	v_dual_mov_b32 v62, v12 :: v_dual_mov_b32 v61, v11
	;; [unrolled: 1-line block ×22, first 2 shown]
	v_mov_b32_e32 v74, v26
	v_dual_mov_b32 v40, v41 :: v_dual_mov_b32 v41, v28
	v_dual_mov_b32 v62, v12 :: v_dual_mov_b32 v15, v63
	;; [unrolled: 1-line block ×14, first 2 shown]
.LBB42_133:
	s_or_b32 exec_lo, exec_lo, s2
	s_delay_alu instid0(VALU_DEP_1)
	v_cmp_lt_f32_e32 vcc_lo, v27, v42
	v_dual_mov_b32 v28, v23 :: v_dual_mov_b32 v29, v24
	v_dual_mov_b32 v30, v25 :: v_dual_mov_b32 v31, v26
	v_dual_cndmask_b32 v13, v18, v17 :: v_dual_cndmask_b32 v14, v4, v3
	v_dual_cndmask_b32 v51, v17, v18 :: v_dual_cndmask_b32 v56, v3, v4
	;; [unrolled: 1-line block ×3, first 2 shown]
	v_cmp_lt_f32_e32 vcc_lo, v39, v40
	v_dual_mov_b32 v4, v19 :: v_dual_mov_b32 v17, v20
	v_dual_mov_b32 v18, v21 :: v_dual_mov_b32 v27, v22
	;; [unrolled: 1-line block ×10, first 2 shown]
	v_mov_b32_e32 v59, v50
	s_and_saveexec_b32 s2, vcc_lo
	s_cbranch_execz .LBB42_135
; %bb.134:
	v_dual_mov_b32 v42, v40 :: v_dual_mov_b32 v27, v22
	v_dual_mov_b32 v4, v15 :: v_dual_mov_b32 v17, v20
	;; [unrolled: 1-line block ×3, first 2 shown]
	v_swap_b32 v15, v16
	v_swap_b32 v1, v2
	v_dual_mov_b32 v40, v39 :: v_dual_mov_b32 v29, v24
	v_dual_mov_b32 v4, v19 :: v_dual_mov_b32 v31, v26
	;; [unrolled: 1-line block ×11, first 2 shown]
	v_mov_b32_e32 v54, v46
	v_mov_b32_e32 v58, v49
.LBB42_135:
	s_or_b32 exec_lo, exec_lo, s2
	s_clause 0x1
	s_load_b32 s8, s[0:1], 0x28
	s_load_b128 s[4:7], s[0:1], 0x10
	s_waitcnt lgkmcnt(0)
	s_cmp_lt_i32 s8, 1
	s_cbranch_scc1 .LBB42_141
; %bb.136:
	v_cmp_lt_f32_e32 vcc_lo, v40, v60
	v_dual_mov_b32 v7, 0 :: v_dual_mov_b32 v6, 0
	s_mov_b32 s9, 0x76543210
	s_mov_b32 s10, s8
	v_dual_cndmask_b32 v5, v56, v2 :: v_dual_cndmask_b32 v12, v61, v60
	v_dual_cndmask_b32 v10, v2, v56 :: v_dual_cndmask_b32 v19, v16, v51
	v_cndmask_b32_e32 v2, v60, v40, vcc_lo
	v_cndmask_b32_e32 v8, v51, v16, vcc_lo
	s_delay_alu instid0(VALU_DEP_4) | instskip(NEXT) | instid1(VALU_DEP_1)
	v_cmp_lt_f32_e64 s2, v39, v12
	v_cndmask_b32_e64 v9, v10, v1, s2
	v_cndmask_b32_e64 v10, v1, v10, s2
	;; [unrolled: 1-line block ×6, first 2 shown]
	v_mov_b32_e32 v19, v0
	v_mov_b32_e32 v1, 0
.LBB42_137:                             ; =>This Inner Loop Header: Depth=1
	v_cmp_eq_u32_e32 vcc_lo, 1, v7
	v_cmp_eq_u32_e64 s2, 2, v7
	v_cmp_gt_u32_e64 s3, 12, v7
	v_dual_cndmask_b32 v20, v12, v11 :: v_dual_cndmask_b32 v21, v10, v9
	s_delay_alu instid0(VALU_DEP_1) | instskip(NEXT) | instid1(VALU_DEP_2)
	v_cndmask_b32_e64 v20, v20, v2, s2
	v_cndmask_b32_e64 v21, v21, v5, s2
	v_cndmask_b32_e32 v22, v15, v16, vcc_lo
	v_cmp_eq_u32_e32 vcc_lo, 3, v7
	s_delay_alu instid0(VALU_DEP_3) | instskip(NEXT) | instid1(VALU_DEP_3)
	v_cndmask_b32_e32 v21, v21, v14, vcc_lo
	v_cndmask_b32_e64 v22, v22, v8, s2
	v_cmp_eq_u32_e64 s2, 4, v7
	s_delay_alu instid0(VALU_DEP_2) | instskip(NEXT) | instid1(VALU_DEP_2)
	v_cndmask_b32_e32 v22, v22, v13, vcc_lo
	v_cndmask_b32_e64 v21, v21, v32, s2
	v_cndmask_b32_e32 v20, v20, v3, vcc_lo
	v_cmp_eq_u32_e32 vcc_lo, 5, v7
	s_delay_alu instid0(VALU_DEP_4) | instskip(NEXT) | instid1(VALU_DEP_4)
	v_cndmask_b32_e64 v22, v22, v4, s2
	v_cndmask_b32_e32 v21, v21, v33, vcc_lo
	s_delay_alu instid0(VALU_DEP_4) | instskip(SKIP_1) | instid1(VALU_DEP_4)
	v_cndmask_b32_e64 v20, v20, v42, s2
	v_cmp_eq_u32_e64 s2, 6, v7
	v_cndmask_b32_e32 v22, v22, v17, vcc_lo
	s_delay_alu instid0(VALU_DEP_3) | instskip(SKIP_1) | instid1(VALU_DEP_4)
	v_cndmask_b32_e32 v20, v20, v52, vcc_lo
	v_cmp_eq_u32_e32 vcc_lo, 7, v7
	v_cndmask_b32_e64 v21, v21, v34, s2
	s_delay_alu instid0(VALU_DEP_4) | instskip(NEXT) | instid1(VALU_DEP_4)
	v_cndmask_b32_e64 v22, v22, v18, s2
	v_cndmask_b32_e64 v20, v20, v53, s2
	v_cmp_eq_u32_e64 s2, 8, v7
	s_delay_alu instid0(VALU_DEP_4) | instskip(NEXT) | instid1(VALU_DEP_4)
	v_cndmask_b32_e32 v21, v21, v35, vcc_lo
	v_cndmask_b32_e32 v22, v22, v27, vcc_lo
	s_delay_alu instid0(VALU_DEP_4) | instskip(SKIP_1) | instid1(VALU_DEP_4)
	v_cndmask_b32_e32 v20, v20, v54, vcc_lo
	v_cmp_eq_u32_e32 vcc_lo, 9, v7
	v_cndmask_b32_e64 v21, v21, v36, s2
	s_delay_alu instid0(VALU_DEP_4) | instskip(NEXT) | instid1(VALU_DEP_4)
	v_cndmask_b32_e64 v22, v22, v28, s2
	v_cndmask_b32_e64 v20, v20, v55, s2
	v_cmp_eq_u32_e64 s2, 10, v7
	s_delay_alu instid0(VALU_DEP_4) | instskip(NEXT) | instid1(VALU_DEP_4)
	v_cndmask_b32_e32 v21, v21, v37, vcc_lo
	v_cndmask_b32_e32 v22, v22, v29, vcc_lo
	s_delay_alu instid0(VALU_DEP_4) | instskip(SKIP_1) | instid1(VALU_DEP_4)
	v_cndmask_b32_e32 v20, v20, v57, vcc_lo
	v_cmp_eq_u32_e32 vcc_lo, 11, v7
	v_cndmask_b32_e64 v21, v21, v38, s2
	s_delay_alu instid0(VALU_DEP_3) | instskip(NEXT) | instid1(VALU_DEP_1)
	v_cndmask_b32_e64 v20, v20, v58, s2
	v_dual_cndmask_b32 v21, v21, v41 :: v_dual_cndmask_b32 v20, v20, v59
	s_delay_alu instid0(VALU_DEP_1)
	v_cndmask_b32_e64 v20, 0xff800000, v20, s3
	;;#ASMSTART
	v_max_f32 v23, v20, v20 quad_perm:[1,0,3,2] row_mask:0xf bank_mask:0xf bound_ctrl:1
	;;#ASMEND
	;;#ASMSTART
	v_max_f32 v24, v23, v23 quad_perm:[2,3,0,1] row_mask:0xf bank_mask:0xf bound_ctrl:1
	;;#ASMEND
	;;#ASMSTART
	v_max_f32 v23, v24, v24 row_half_mirror row_mask:0xf bank_mask:0xf bound_ctrl:1
	;;#ASMEND
	;;#ASMSTART
	v_max_f32 v24, v23, v23 row_mirror row_mask:0xf bank_mask:0xf bound_ctrl:1
	;;#ASMEND
	v_permlanex16_b32 v23, v24, s9, 0xfedcba98 op_sel:[1,1]
	s_delay_alu instid0(VALU_DEP_1) | instskip(NEXT) | instid1(VALU_DEP_1)
	v_dual_max_f32 v24, v24, v24 :: v_dual_max_f32 v23, v23, v23
	v_max_f32_e32 v23, v24, v23
	v_cndmask_b32_e64 v22, v22, v30, s2
	s_delay_alu instid0(VALU_DEP_2) | instskip(SKIP_1) | instid1(VALU_DEP_2)
	v_cmp_eq_f32_e64 s2, v20, v23
	v_cndmask_b32_e64 v20, 0, v21, s3
	s_ctz_i32_b32 s11, s2
	s_cmp_lg_u32 s2, 0
	s_cselect_b32 s2, s11, 0
	s_add_i32 s10, s10, -1
	v_readlane_b32 s11, v20, s2
	v_cndmask_b32_e32 v20, v22, v31, vcc_lo
	s_delay_alu instid0(VALU_DEP_2)
	v_cmp_eq_u32_e32 vcc_lo, s11, v21
	s_and_b32 s2, s11, 31
	s_and_b32 vcc_lo, s3, vcc_lo
	s_cmp_eq_u32 s10, 0
	v_cndmask_b32_e32 v20, 0, v20, vcc_lo
	v_add_co_ci_u32_e32 v7, vcc_lo, 0, v7, vcc_lo
	s_delay_alu instid0(VALU_DEP_2) | instskip(SKIP_2) | instid1(VALU_DEP_2)
	v_readlane_b32 s3, v20, s2
	v_cmp_eq_u32_e64 s2, 0, v19
	v_add_nc_u32_e32 v19, -1, v19
	v_cndmask_b32_e64 v6, v6, s3, s2
	v_cndmask_b32_e64 v1, v1, s11, s2
	s_cbranch_scc0 .LBB42_137
; %bb.138:
	s_mov_b32 s2, exec_lo
	v_cmpx_gt_i32_e64 s8, v0
	s_cbranch_execz .LBB42_140
.LBB42_139:
	s_clause 0x1
	s_load_b64 s[2:3], s[0:1], 0x20
	s_load_b32 s8, s[0:1], 0x30
	s_ashr_i32 s0, s15, 31
	s_waitcnt lgkmcnt(0)
	s_mul_i32 s1, s15, s3
	s_mul_hi_u32 s3, s15, s2
	s_mul_i32 s0, s0, s2
	s_add_i32 s1, s3, s1
	v_mul_f32_e32 v0, s8, v6
	s_add_i32 s1, s1, s0
	s_mul_i32 s0, s15, s2
	s_delay_alu instid0(SALU_CYCLE_1) | instskip(NEXT) | instid1(SALU_CYCLE_1)
	s_lshl_b64 s[0:1], s[0:1], 2
	s_add_u32 s2, s4, s0
	s_addc_u32 s3, s5, s1
	s_add_u32 s0, s6, s0
	s_addc_u32 s1, s7, s1
	s_clause 0x1
	global_store_b32 v183, v0, s[2:3]
	global_store_b32 v183, v1, s[0:1]
.LBB42_140:
	s_endpgm
.LBB42_141:
	v_dual_mov_b32 v1, 0 :: v_dual_mov_b32 v6, 0
	s_mov_b32 s2, exec_lo
	v_cmpx_gt_i32_e64 s8, v0
	s_cbranch_execnz .LBB42_139
	s_branch .LBB42_140
	.section	.rodata,"a",@progbits
	.p2align	6, 0x0
	.amdhsa_kernel _ZN5aiter24topk_softplus_kernel_optIf6__halfLi384ELb0ELi1EEEvPKT_PKT0_PfPimiif
		.amdhsa_group_segment_fixed_size 0
		.amdhsa_private_segment_fixed_size 196
		.amdhsa_kernarg_size 52
		.amdhsa_user_sgpr_count 15
		.amdhsa_user_sgpr_dispatch_ptr 0
		.amdhsa_user_sgpr_queue_ptr 0
		.amdhsa_user_sgpr_kernarg_segment_ptr 1
		.amdhsa_user_sgpr_dispatch_id 0
		.amdhsa_user_sgpr_private_segment_size 0
		.amdhsa_wavefront_size32 1
		.amdhsa_uses_dynamic_stack 0
		.amdhsa_enable_private_segment 1
		.amdhsa_system_sgpr_workgroup_id_x 1
		.amdhsa_system_sgpr_workgroup_id_y 0
		.amdhsa_system_sgpr_workgroup_id_z 0
		.amdhsa_system_sgpr_workgroup_info 0
		.amdhsa_system_vgpr_workitem_id 0
		.amdhsa_next_free_vgpr 184
		.amdhsa_next_free_sgpr 16
		.amdhsa_reserve_vcc 1
		.amdhsa_float_round_mode_32 0
		.amdhsa_float_round_mode_16_64 0
		.amdhsa_float_denorm_mode_32 3
		.amdhsa_float_denorm_mode_16_64 3
		.amdhsa_dx10_clamp 1
		.amdhsa_ieee_mode 1
		.amdhsa_fp16_overflow 0
		.amdhsa_workgroup_processor_mode 1
		.amdhsa_memory_ordered 1
		.amdhsa_forward_progress 0
		.amdhsa_shared_vgpr_count 0
		.amdhsa_exception_fp_ieee_invalid_op 0
		.amdhsa_exception_fp_denorm_src 0
		.amdhsa_exception_fp_ieee_div_zero 0
		.amdhsa_exception_fp_ieee_overflow 0
		.amdhsa_exception_fp_ieee_underflow 0
		.amdhsa_exception_fp_ieee_inexact 0
		.amdhsa_exception_int_div_zero 0
	.end_amdhsa_kernel
	.section	.text._ZN5aiter24topk_softplus_kernel_optIf6__halfLi384ELb0ELi1EEEvPKT_PKT0_PfPimiif,"axG",@progbits,_ZN5aiter24topk_softplus_kernel_optIf6__halfLi384ELb0ELi1EEEvPKT_PKT0_PfPimiif,comdat
.Lfunc_end42:
	.size	_ZN5aiter24topk_softplus_kernel_optIf6__halfLi384ELb0ELi1EEEvPKT_PKT0_PfPimiif, .Lfunc_end42-_ZN5aiter24topk_softplus_kernel_optIf6__halfLi384ELb0ELi1EEEvPKT_PKT0_PfPimiif
                                        ; -- End function
	.section	.AMDGPU.csdata,"",@progbits
; Kernel info:
; codeLenInByte = 27912
; NumSgprs: 18
; NumVgprs: 184
; ScratchSize: 196
; MemoryBound: 0
; FloatMode: 240
; IeeeMode: 1
; LDSByteSize: 0 bytes/workgroup (compile time only)
; SGPRBlocks: 2
; VGPRBlocks: 22
; NumSGPRsForWavesPerEU: 18
; NumVGPRsForWavesPerEU: 184
; Occupancy: 8
; WaveLimiterHint : 0
; COMPUTE_PGM_RSRC2:SCRATCH_EN: 1
; COMPUTE_PGM_RSRC2:USER_SGPR: 15
; COMPUTE_PGM_RSRC2:TRAP_HANDLER: 0
; COMPUTE_PGM_RSRC2:TGID_X_EN: 1
; COMPUTE_PGM_RSRC2:TGID_Y_EN: 0
; COMPUTE_PGM_RSRC2:TGID_Z_EN: 0
; COMPUTE_PGM_RSRC2:TIDIG_COMP_CNT: 0
	.section	.text._ZN5aiter20topk_softplus_kernelIf6__halfDv4_fLb1ELi1EEEvPKT_PKT0_PfPimiiif,"axG",@progbits,_ZN5aiter20topk_softplus_kernelIf6__halfDv4_fLb1ELi1EEEvPKT_PKT0_PfPimiiif,comdat
	.protected	_ZN5aiter20topk_softplus_kernelIf6__halfDv4_fLb1ELi1EEEvPKT_PKT0_PfPimiiif ; -- Begin function _ZN5aiter20topk_softplus_kernelIf6__halfDv4_fLb1ELi1EEEvPKT_PKT0_PfPimiiif
	.globl	_ZN5aiter20topk_softplus_kernelIf6__halfDv4_fLb1ELi1EEEvPKT_PKT0_PfPimiiif
	.p2align	8
	.type	_ZN5aiter20topk_softplus_kernelIf6__halfDv4_fLb1ELi1EEEvPKT_PKT0_PfPimiiif,@function
_ZN5aiter20topk_softplus_kernelIf6__halfDv4_fLb1ELi1EEEvPKT_PKT0_PfPimiiif: ; @_ZN5aiter20topk_softplus_kernelIf6__halfDv4_fLb1ELi1EEEvPKT_PKT0_PfPimiiif
; %bb.0:
	s_clause 0x1
	s_load_b64 s[12:13], s[0:1], 0x28
	s_load_b256 s[4:11], s[0:1], 0x0
	v_lshlrev_b32_e32 v11, 2, v0
	s_waitcnt lgkmcnt(0)
	s_ashr_i32 s2, s12, 31
	s_mul_i32 s16, s15, s12
	s_lshr_b32 s2, s2, 30
	s_ashr_i32 s17, s16, 31
	s_add_i32 s2, s12, s2
	s_delay_alu instid0(SALU_CYCLE_1) | instskip(NEXT) | instid1(SALU_CYCLE_1)
	s_ashr_i32 s14, s2, 2
	v_cmp_gt_i32_e64 s2, s14, v0
	s_delay_alu instid0(VALU_DEP_1)
	s_and_saveexec_b32 s18, s2
	s_cbranch_execz .LBB43_11
; %bb.1:
	s_load_b32 s3, s[0:1], 0x44
	s_cmp_lg_u64 s[6:7], 0
	v_dual_mov_b32 v6, 0 :: v_dual_lshlrev_b32 v1, 4, v0
	s_cselect_b32 s19, -1, 0
	v_lshlrev_b32_e32 v5, 2, v0
	s_delay_alu instid0(VALU_DEP_2)
	v_dual_mov_b32 v13, v0 :: v_dual_add_nc_u32 v12, 0, v1
	s_waitcnt lgkmcnt(0)
	s_and_b32 s20, s3, 0xffff
	s_add_u32 s21, s6, 2
	s_addc_u32 s22, s7, 0
	s_add_u32 s23, s6, 4
	s_addc_u32 s24, s7, 0
	;; [unrolled: 2-line block ×3, first 2 shown]
	s_lshl_b64 s[28:29], s[16:17], 2
	s_delay_alu instid0(SALU_CYCLE_1) | instskip(SKIP_2) | instid1(VALU_DEP_1)
	s_add_u32 s3, s4, s28
	s_addc_u32 s27, s5, s29
	v_add_co_u32 v7, s3, s3, v1
	v_add_co_ci_u32_e64 v8, null, s27, 0, s3
	s_mov_b32 s27, 0
	s_lshl_b32 s28, s20, 4
	s_lshl_b32 s29, s20, 2
	s_branch .LBB43_3
.LBB43_2:                               ;   in Loop: Header=BB43_3 Depth=1
	v_add_nc_u32_e32 v13, s20, v13
	v_add_co_u32 v7, s3, v7, s28
	ds_store_b128 v12, v[1:4]
	v_add_co_ci_u32_e64 v8, s3, 0, v8, s3
	v_cmp_le_i32_e32 vcc_lo, s14, v13
	v_add_nc_u32_e32 v5, s29, v5
	v_add_nc_u32_e32 v12, s28, v12
	s_or_b32 s27, vcc_lo, s27
	s_delay_alu instid0(SALU_CYCLE_1)
	s_and_not1_b32 exec_lo, exec_lo, s27
	s_cbranch_execz .LBB43_11
.LBB43_3:                               ; =>This Inner Loop Header: Depth=1
	global_load_b128 v[1:4], v[7:8], off
	s_waitcnt vmcnt(0)
	v_mul_f32_e32 v9, 0xbfb8aa3b, v1
	s_delay_alu instid0(VALU_DEP_1) | instskip(SKIP_3) | instid1(VALU_DEP_2)
	v_cmp_gt_f32_e32 vcc_lo, 0xc2fc0000, v9
	v_cndmask_b32_e64 v10, 0, 0x42800000, vcc_lo
	v_cndmask_b32_e64 v9, 1.0, 0x1f800000, vcc_lo
	s_and_not1_b32 vcc_lo, exec_lo, s19
	v_fmac_f32_e32 v10, 0xbfb8aa3b, v1
	s_delay_alu instid0(VALU_DEP_1) | instskip(SKIP_3) | instid1(VALU_DEP_2)
	v_exp_f32_e32 v1, v10
	s_waitcnt_depctr 0xfff
	v_fma_f32 v1, v1, v9, 1.0
	v_lshlrev_b64 v[9:10], 1, v[5:6]
	v_rcp_f32_e32 v1, v1
	s_cbranch_vccnz .LBB43_5
; %bb.4:                                ;   in Loop: Header=BB43_3 Depth=1
	s_delay_alu instid0(VALU_DEP_1) | instskip(NEXT) | instid1(VALU_DEP_2)
	v_add_co_u32 v14, vcc_lo, s6, v9
	v_add_co_ci_u32_e32 v15, vcc_lo, s7, v10, vcc_lo
	global_load_u16 v14, v[14:15], off
	s_waitcnt vmcnt(0)
	v_cvt_f32_f16_e32 v14, v14
	s_delay_alu instid0(VALU_DEP_1)
	v_add_f32_e32 v1, v1, v14
.LBB43_5:                               ;   in Loop: Header=BB43_3 Depth=1
	v_mul_f32_e32 v14, 0xbfb8aa3b, v2
	s_delay_alu instid0(VALU_DEP_1) | instskip(SKIP_3) | instid1(VALU_DEP_2)
	v_cmp_gt_f32_e32 vcc_lo, 0xc2fc0000, v14
	v_cndmask_b32_e64 v15, 0, 0x42800000, vcc_lo
	v_cndmask_b32_e64 v14, 1.0, 0x1f800000, vcc_lo
	s_and_not1_b32 vcc_lo, exec_lo, s19
	v_fmac_f32_e32 v15, 0xbfb8aa3b, v2
	s_delay_alu instid0(VALU_DEP_1) | instskip(SKIP_2) | instid1(VALU_DEP_1)
	v_exp_f32_e32 v2, v15
	s_waitcnt_depctr 0xfff
	v_fma_f32 v2, v2, v14, 1.0
	v_rcp_f32_e32 v2, v2
	s_cbranch_vccnz .LBB43_7
; %bb.6:                                ;   in Loop: Header=BB43_3 Depth=1
	v_add_co_u32 v14, vcc_lo, s21, v9
	v_add_co_ci_u32_e32 v15, vcc_lo, s22, v10, vcc_lo
	global_load_u16 v14, v[14:15], off
	s_waitcnt vmcnt(0)
	v_cvt_f32_f16_e32 v14, v14
	s_delay_alu instid0(VALU_DEP_1)
	v_add_f32_e32 v2, v2, v14
.LBB43_7:                               ;   in Loop: Header=BB43_3 Depth=1
	v_mul_f32_e32 v14, 0xbfb8aa3b, v3
	s_delay_alu instid0(VALU_DEP_1) | instskip(SKIP_3) | instid1(VALU_DEP_2)
	v_cmp_gt_f32_e32 vcc_lo, 0xc2fc0000, v14
	v_cndmask_b32_e64 v15, 0, 0x42800000, vcc_lo
	v_cndmask_b32_e64 v14, 1.0, 0x1f800000, vcc_lo
	s_and_not1_b32 vcc_lo, exec_lo, s19
	v_fmac_f32_e32 v15, 0xbfb8aa3b, v3
	s_delay_alu instid0(VALU_DEP_1) | instskip(SKIP_2) | instid1(VALU_DEP_1)
	v_exp_f32_e32 v3, v15
	s_waitcnt_depctr 0xfff
	v_fma_f32 v3, v3, v14, 1.0
	v_rcp_f32_e32 v3, v3
	s_cbranch_vccnz .LBB43_9
; %bb.8:                                ;   in Loop: Header=BB43_3 Depth=1
	v_add_co_u32 v14, vcc_lo, s23, v9
	v_add_co_ci_u32_e32 v15, vcc_lo, s24, v10, vcc_lo
	global_load_u16 v14, v[14:15], off
	s_waitcnt vmcnt(0)
	v_cvt_f32_f16_e32 v14, v14
	s_delay_alu instid0(VALU_DEP_1)
	v_add_f32_e32 v3, v3, v14
.LBB43_9:                               ;   in Loop: Header=BB43_3 Depth=1
	v_mul_f32_e32 v14, 0xbfb8aa3b, v4
	s_delay_alu instid0(VALU_DEP_1) | instskip(SKIP_3) | instid1(VALU_DEP_2)
	v_cmp_gt_f32_e32 vcc_lo, 0xc2fc0000, v14
	v_cndmask_b32_e64 v15, 0, 0x42800000, vcc_lo
	v_cndmask_b32_e64 v14, 1.0, 0x1f800000, vcc_lo
	s_and_not1_b32 vcc_lo, exec_lo, s19
	v_fmac_f32_e32 v15, 0xbfb8aa3b, v4
	s_delay_alu instid0(VALU_DEP_1) | instskip(SKIP_2) | instid1(VALU_DEP_1)
	v_exp_f32_e32 v4, v15
	s_waitcnt_depctr 0xfff
	v_fma_f32 v4, v4, v14, 1.0
	v_rcp_f32_e32 v4, v4
	s_cbranch_vccnz .LBB43_2
; %bb.10:                               ;   in Loop: Header=BB43_3 Depth=1
	v_add_co_u32 v9, vcc_lo, s25, v9
	v_add_co_ci_u32_e32 v10, vcc_lo, s26, v10, vcc_lo
	global_load_u16 v9, v[9:10], off
	s_waitcnt vmcnt(0)
	v_cvt_f32_f16_e32 v9, v9
	s_delay_alu instid0(VALU_DEP_1)
	v_add_f32_e32 v4, v4, v9
	s_branch .LBB43_2
.LBB43_11:
	s_or_b32 exec_lo, exec_lo, s18
	v_lshl_add_u32 v1, s14, 2, v0
	s_mov_b32 s3, exec_lo
	s_delay_alu instid0(VALU_DEP_1)
	v_cmpx_gt_i32_e64 s12, v1
	s_cbranch_execz .LBB43_16
; %bb.12:
	s_load_b32 s18, s[0:1], 0x44
	s_lshl_b64 s[16:17], s[16:17], 2
	v_lshlrev_b32_e32 v2, 2, v0
	s_add_u32 s4, s4, s16
	s_addc_u32 s5, s5, s17
	s_cmp_lg_u64 s[6:7], 0
	s_cselect_b32 s16, -1, 0
	s_lshl_b32 s17, s14, 4
	s_delay_alu instid0(SALU_CYCLE_1)
	v_add3_u32 v3, 0, s17, v2
	s_waitcnt lgkmcnt(0)
	s_and_b32 s17, s18, 0xffff
	s_mov_b32 s18, 0
	s_lshl_b32 s19, s17, 2
	s_set_inst_prefetch_distance 0x1
	s_branch .LBB43_14
	.p2align	6
.LBB43_13:                              ;   in Loop: Header=BB43_14 Depth=1
	v_add_nc_u32_e32 v1, s17, v1
	v_add_nc_u32_e32 v3, s19, v3
	s_delay_alu instid0(VALU_DEP_2) | instskip(SKIP_1) | instid1(SALU_CYCLE_1)
	v_cmp_le_i32_e32 vcc_lo, s12, v1
	s_or_b32 s18, vcc_lo, s18
	s_and_not1_b32 exec_lo, exec_lo, s18
	s_cbranch_execz .LBB43_16
.LBB43_14:                              ; =>This Inner Loop Header: Depth=1
	v_ashrrev_i32_e32 v2, 31, v1
	s_delay_alu instid0(VALU_DEP_1) | instskip(NEXT) | instid1(VALU_DEP_1)
	v_lshlrev_b64 v[4:5], 2, v[1:2]
	v_add_co_u32 v4, vcc_lo, s4, v4
	s_delay_alu instid0(VALU_DEP_2) | instskip(SKIP_3) | instid1(VALU_DEP_1)
	v_add_co_ci_u32_e32 v5, vcc_lo, s5, v5, vcc_lo
	global_load_b32 v4, v[4:5], off
	s_waitcnt vmcnt(0)
	v_mul_f32_e32 v5, 0xbfb8aa3b, v4
	v_cmp_gt_f32_e32 vcc_lo, 0xc2fc0000, v5
	v_cndmask_b32_e64 v5, 0, 0x42800000, vcc_lo
	s_delay_alu instid0(VALU_DEP_1) | instskip(NEXT) | instid1(VALU_DEP_1)
	v_fmac_f32_e32 v5, 0xbfb8aa3b, v4
	v_exp_f32_e32 v4, v5
	v_cndmask_b32_e64 v5, 1.0, 0x1f800000, vcc_lo
	s_and_not1_b32 vcc_lo, exec_lo, s16
	s_waitcnt_depctr 0xfff
	v_fma_f32 v4, v4, v5, 1.0
	s_delay_alu instid0(VALU_DEP_1)
	v_rcp_f32_e32 v4, v4
	ds_store_b32 v3, v4
	s_cbranch_vccnz .LBB43_13
; %bb.15:                               ;   in Loop: Header=BB43_14 Depth=1
	v_lshlrev_b64 v[5:6], 1, v[1:2]
	s_delay_alu instid0(VALU_DEP_1) | instskip(NEXT) | instid1(VALU_DEP_2)
	v_add_co_u32 v5, vcc_lo, s6, v5
	v_add_co_ci_u32_e32 v6, vcc_lo, s7, v6, vcc_lo
	global_load_u16 v2, v[5:6], off
	s_waitcnt vmcnt(0)
	v_cvt_f32_f16_e32 v2, v2
	s_delay_alu instid0(VALU_DEP_1)
	v_add_f32_e32 v2, v4, v2
	ds_store_b32 v3, v2
	s_branch .LBB43_13
.LBB43_16:
	s_set_inst_prefetch_distance 0x2
	s_or_b32 exec_lo, exec_lo, s3
	v_mov_b32_e32 v2, 0
	s_cmp_lt_i32 s13, 1
	s_waitcnt lgkmcnt(0)
	s_barrier
	buffer_gl0_inv
	s_cbranch_scc1 .LBB43_25
; %bb.17:
	s_add_u32 s4, s0, 56
	s_addc_u32 s5, s1, 0
	v_lshl_add_u32 v4, v0, 4, 0
	v_dual_mov_b32 v2, 0 :: v_dual_mov_b32 v5, 0
	v_dual_mov_b32 v6, 0xff800000 :: v_dual_mov_b32 v1, 0
	v_mov_b32_e32 v3, 0
	s_cmp_lg_u64 s[6:7], 0
	s_mov_b32 s18, 0
	s_cselect_b32 s12, -1, 0
	s_mov_b32 s19, 0x76543210
	s_branch .LBB43_19
.LBB43_18:                              ;   in Loop: Header=BB43_19 Depth=1
	v_cmp_eq_u32_e32 vcc_lo, s18, v0
	s_delay_alu instid0(VALU_DEP_2) | instskip(NEXT) | instid1(VALU_DEP_2)
	s_lshl_b32 s3, s16, 2
	v_add_f32_e32 v3, v3, v9
	s_add_i32 s3, s3, 0
	s_add_i32 s18, s18, 1
	v_cndmask_b32_e64 v1, v1, s16, vcc_lo
	v_dual_mov_b32 v7, s3 :: v_dual_cndmask_b32 v2, v2, v9
	s_cmp_eq_u32 s18, s13
	ds_store_b32 v7, v6
	s_cbranch_scc1 .LBB43_26
.LBB43_19:                              ; =>This Loop Header: Depth=1
                                        ;     Child Loop BB43_21 Depth 2
	v_dual_mov_b32 v7, s18 :: v_dual_mov_b32 v8, 0xff800000
	s_and_saveexec_b32 s16, s2
	s_cbranch_execz .LBB43_23
; %bb.20:                               ;   in Loop: Header=BB43_19 Depth=1
	s_load_b32 s3, s[4:5], 0xc
	v_dual_mov_b32 v7, s18 :: v_dual_mov_b32 v8, 0xff800000
	v_dual_mov_b32 v9, v4 :: v_dual_mov_b32 v10, v11
	v_mov_b32_e32 v12, v0
	s_mov_b32 s21, 0
	s_waitcnt lgkmcnt(0)
	s_and_b32 s17, s3, 0xffff
	s_delay_alu instid0(SALU_CYCLE_1)
	s_lshl_b32 s20, s17, 2
	s_lshl_b32 s22, s17, 4
	.p2align	6
.LBB43_21:                              ;   Parent Loop BB43_19 Depth=1
                                        ; =>  This Inner Loop Header: Depth=2
	ds_load_b128 v[13:16], v9
	v_add_nc_u32_e32 v9, s22, v9
	s_waitcnt lgkmcnt(0)
	v_cmp_gt_f32_e32 vcc_lo, v13, v8
	v_dual_cndmask_b32 v8, v8, v13 :: v_dual_add_nc_u32 v13, 1, v10
	v_cndmask_b32_e32 v7, v7, v10, vcc_lo
	s_delay_alu instid0(VALU_DEP_2) | instskip(NEXT) | instid1(VALU_DEP_2)
	v_cmp_gt_f32_e32 vcc_lo, v14, v8
	v_dual_cndmask_b32 v8, v8, v14 :: v_dual_cndmask_b32 v7, v7, v13
	s_delay_alu instid0(VALU_DEP_1) | instskip(SKIP_4) | instid1(VALU_DEP_3)
	v_cmp_gt_f32_e32 vcc_lo, v15, v8
	v_dual_cndmask_b32 v8, v8, v15 :: v_dual_add_nc_u32 v13, 3, v10
	v_add_nc_u32_e32 v14, 2, v10
	v_add_nc_u32_e32 v12, s17, v12
	;; [unrolled: 1-line block ×3, first 2 shown]
	v_cndmask_b32_e32 v7, v7, v14, vcc_lo
	v_cmp_gt_f32_e32 vcc_lo, v16, v8
	s_delay_alu instid0(VALU_DEP_4) | instskip(NEXT) | instid1(VALU_DEP_3)
	v_cmp_le_i32_e64 s3, s14, v12
	v_dual_cndmask_b32 v8, v8, v16 :: v_dual_cndmask_b32 v7, v7, v13
	s_delay_alu instid0(VALU_DEP_2) | instskip(NEXT) | instid1(SALU_CYCLE_1)
	s_or_b32 s21, s3, s21
	s_and_not1_b32 exec_lo, exec_lo, s21
	s_cbranch_execnz .LBB43_21
; %bb.22:                               ;   in Loop: Header=BB43_19 Depth=1
	s_or_b32 exec_lo, exec_lo, s21
.LBB43_23:                              ;   in Loop: Header=BB43_19 Depth=1
	s_delay_alu instid0(SALU_CYCLE_1)
	s_or_b32 exec_lo, exec_lo, s16
	;;#ASMSTART
	v_max_f32 v9, v8, v8 quad_perm:[1,0,3,2] row_mask:0xf bank_mask:0xf bound_ctrl:1
	;;#ASMEND
	;;#ASMSTART
	v_max_f32 v10, v9, v9 quad_perm:[2,3,0,1] row_mask:0xf bank_mask:0xf bound_ctrl:1
	;;#ASMEND
	;;#ASMSTART
	v_max_f32 v9, v10, v10 row_half_mirror row_mask:0xf bank_mask:0xf bound_ctrl:1
	;;#ASMEND
	;;#ASMSTART
	v_max_f32 v10, v9, v9 row_mirror row_mask:0xf bank_mask:0xf bound_ctrl:1
	;;#ASMEND
	v_permlanex16_b32 v9, v10, s19, 0xfedcba98 op_sel:[1,1]
	s_delay_alu instid0(VALU_DEP_1) | instskip(NEXT) | instid1(VALU_DEP_1)
	v_dual_max_f32 v10, v10, v10 :: v_dual_max_f32 v9, v9, v9
	v_max_f32_e32 v9, v10, v9
	s_delay_alu instid0(VALU_DEP_1)
	v_cmp_eq_f32_e32 vcc_lo, v8, v9
	s_ctz_i32_b32 s3, vcc_lo
	s_cmp_lg_u32 vcc_lo, 0
	s_cselect_b32 s3, s3, 0
	s_and_b32 vcc_lo, exec_lo, s12
	v_readlane_b32 s16, v7, s3
	s_cbranch_vccz .LBB43_18
; %bb.24:                               ;   in Loop: Header=BB43_19 Depth=1
	s_delay_alu instid0(VALU_DEP_1) | instskip(NEXT) | instid1(SALU_CYCLE_1)
	s_ashr_i32 s17, s16, 31
	s_lshl_b64 s[20:21], s[16:17], 1
	s_delay_alu instid0(SALU_CYCLE_1) | instskip(SKIP_4) | instid1(VALU_DEP_1)
	s_add_u32 s20, s6, s20
	s_addc_u32 s21, s7, s21
	global_load_u16 v7, v5, s[20:21]
	s_waitcnt vmcnt(0)
	v_cvt_f32_f16_e32 v7, v7
	v_sub_f32_e32 v9, v9, v7
	s_branch .LBB43_18
.LBB43_25:
	v_mov_b32_e32 v1, 0
	v_mov_b32_e32 v3, 0
.LBB43_26:
	s_mov_b32 s2, exec_lo
	v_cmpx_gt_i32_e64 s13, v0
	s_cbranch_execz .LBB43_29
; %bb.27:
	s_clause 0x1
	s_load_b32 s2, s[0:1], 0x34
	s_load_b32 s3, s[0:1], 0x44
	v_max_f32_e32 v3, v3, v3
	s_load_b64 s[0:1], s[0:1], 0x20
	s_ashr_i32 s4, s15, 31
	s_delay_alu instid0(VALU_DEP_1) | instskip(SKIP_1) | instid1(VALU_DEP_1)
	v_max_f32_e32 v3, 0x1e3ce508, v3
	s_waitcnt lgkmcnt(0)
	v_div_scale_f32 v4, null, v3, v3, s2
	v_div_scale_f32 v7, vcc_lo, s2, v3, s2
	s_mul_i32 s1, s15, s1
	s_delay_alu instid0(VALU_DEP_2) | instskip(SKIP_4) | instid1(VALU_DEP_1)
	v_rcp_f32_e32 v5, v4
	s_mul_i32 s4, s4, s0
	s_and_b32 s3, s3, 0xffff
	s_waitcnt_depctr 0xfff
	v_fma_f32 v6, -v4, v5, 1.0
	v_fmac_f32_e32 v5, v6, v5
	s_delay_alu instid0(VALU_DEP_1) | instskip(NEXT) | instid1(VALU_DEP_1)
	v_mul_f32_e32 v6, v7, v5
	v_fma_f32 v8, -v4, v6, v7
	s_delay_alu instid0(VALU_DEP_1) | instskip(NEXT) | instid1(VALU_DEP_1)
	v_fmac_f32_e32 v6, v8, v5
	v_fma_f32 v4, -v4, v6, v7
	s_delay_alu instid0(VALU_DEP_1) | instskip(NEXT) | instid1(VALU_DEP_1)
	v_div_fmas_f32 v4, v4, v5, v6
	v_div_fixup_f32 v3, v4, v3, s2
	s_mul_hi_u32 s2, s15, s0
	s_delay_alu instid0(SALU_CYCLE_1) | instskip(SKIP_1) | instid1(VALU_DEP_1)
	s_add_i32 s1, s2, s1
	s_mul_i32 s2, s15, s0
	v_mul_f32_e32 v2, v2, v3
	s_add_i32 s1, s1, s4
	s_mov_b32 s4, 0
	.p2align	6
.LBB43_28:                              ; =>This Inner Loop Header: Depth=1
	v_ashrrev_i32_e32 v4, 31, v0
	v_add_co_u32 v3, vcc_lo, s2, v0
	v_add_nc_u32_e32 v0, s3, v0
	s_delay_alu instid0(VALU_DEP_3) | instskip(NEXT) | instid1(VALU_DEP_2)
	v_add_co_ci_u32_e32 v4, vcc_lo, s1, v4, vcc_lo
	v_cmp_le_i32_e32 vcc_lo, s13, v0
	s_delay_alu instid0(VALU_DEP_2) | instskip(SKIP_1) | instid1(VALU_DEP_1)
	v_lshlrev_b64 v[3:4], 2, v[3:4]
	s_or_b32 s4, vcc_lo, s4
	v_add_co_u32 v5, s0, s8, v3
	s_delay_alu instid0(VALU_DEP_1) | instskip(SKIP_1) | instid1(VALU_DEP_1)
	v_add_co_ci_u32_e64 v6, s0, s9, v4, s0
	v_add_co_u32 v3, s0, s10, v3
	v_add_co_ci_u32_e64 v4, s0, s11, v4, s0
	global_store_b32 v[5:6], v2, off
	global_store_b32 v[3:4], v1, off
	s_and_not1_b32 exec_lo, exec_lo, s4
	s_cbranch_execnz .LBB43_28
.LBB43_29:
	s_nop 0
	s_sendmsg sendmsg(MSG_DEALLOC_VGPRS)
	s_endpgm
	.section	.rodata,"a",@progbits
	.p2align	6, 0x0
	.amdhsa_kernel _ZN5aiter20topk_softplus_kernelIf6__halfDv4_fLb1ELi1EEEvPKT_PKT0_PfPimiiif
		.amdhsa_group_segment_fixed_size 0
		.amdhsa_private_segment_fixed_size 0
		.amdhsa_kernarg_size 312
		.amdhsa_user_sgpr_count 15
		.amdhsa_user_sgpr_dispatch_ptr 0
		.amdhsa_user_sgpr_queue_ptr 0
		.amdhsa_user_sgpr_kernarg_segment_ptr 1
		.amdhsa_user_sgpr_dispatch_id 0
		.amdhsa_user_sgpr_private_segment_size 0
		.amdhsa_wavefront_size32 1
		.amdhsa_uses_dynamic_stack 0
		.amdhsa_enable_private_segment 0
		.amdhsa_system_sgpr_workgroup_id_x 1
		.amdhsa_system_sgpr_workgroup_id_y 0
		.amdhsa_system_sgpr_workgroup_id_z 0
		.amdhsa_system_sgpr_workgroup_info 0
		.amdhsa_system_vgpr_workitem_id 0
		.amdhsa_next_free_vgpr 17
		.amdhsa_next_free_sgpr 30
		.amdhsa_reserve_vcc 1
		.amdhsa_float_round_mode_32 0
		.amdhsa_float_round_mode_16_64 0
		.amdhsa_float_denorm_mode_32 3
		.amdhsa_float_denorm_mode_16_64 3
		.amdhsa_dx10_clamp 1
		.amdhsa_ieee_mode 1
		.amdhsa_fp16_overflow 0
		.amdhsa_workgroup_processor_mode 1
		.amdhsa_memory_ordered 1
		.amdhsa_forward_progress 0
		.amdhsa_shared_vgpr_count 0
		.amdhsa_exception_fp_ieee_invalid_op 0
		.amdhsa_exception_fp_denorm_src 0
		.amdhsa_exception_fp_ieee_div_zero 0
		.amdhsa_exception_fp_ieee_overflow 0
		.amdhsa_exception_fp_ieee_underflow 0
		.amdhsa_exception_fp_ieee_inexact 0
		.amdhsa_exception_int_div_zero 0
	.end_amdhsa_kernel
	.section	.text._ZN5aiter20topk_softplus_kernelIf6__halfDv4_fLb1ELi1EEEvPKT_PKT0_PfPimiiif,"axG",@progbits,_ZN5aiter20topk_softplus_kernelIf6__halfDv4_fLb1ELi1EEEvPKT_PKT0_PfPimiiif,comdat
.Lfunc_end43:
	.size	_ZN5aiter20topk_softplus_kernelIf6__halfDv4_fLb1ELi1EEEvPKT_PKT0_PfPimiiif, .Lfunc_end43-_ZN5aiter20topk_softplus_kernelIf6__halfDv4_fLb1ELi1EEEvPKT_PKT0_PfPimiiif
                                        ; -- End function
	.section	.AMDGPU.csdata,"",@progbits
; Kernel info:
; codeLenInByte = 1984
; NumSgprs: 32
; NumVgprs: 17
; ScratchSize: 0
; MemoryBound: 0
; FloatMode: 240
; IeeeMode: 1
; LDSByteSize: 0 bytes/workgroup (compile time only)
; SGPRBlocks: 3
; VGPRBlocks: 2
; NumSGPRsForWavesPerEU: 32
; NumVGPRsForWavesPerEU: 17
; Occupancy: 16
; WaveLimiterHint : 0
; COMPUTE_PGM_RSRC2:SCRATCH_EN: 0
; COMPUTE_PGM_RSRC2:USER_SGPR: 15
; COMPUTE_PGM_RSRC2:TRAP_HANDLER: 0
; COMPUTE_PGM_RSRC2:TGID_X_EN: 1
; COMPUTE_PGM_RSRC2:TGID_Y_EN: 0
; COMPUTE_PGM_RSRC2:TGID_Z_EN: 0
; COMPUTE_PGM_RSRC2:TIDIG_COMP_CNT: 0
	.section	.text._ZN5aiter20topk_softplus_kernelIf6__halfDv4_fLb0ELi1EEEvPKT_PKT0_PfPimiiif,"axG",@progbits,_ZN5aiter20topk_softplus_kernelIf6__halfDv4_fLb0ELi1EEEvPKT_PKT0_PfPimiiif,comdat
	.protected	_ZN5aiter20topk_softplus_kernelIf6__halfDv4_fLb0ELi1EEEvPKT_PKT0_PfPimiiif ; -- Begin function _ZN5aiter20topk_softplus_kernelIf6__halfDv4_fLb0ELi1EEEvPKT_PKT0_PfPimiiif
	.globl	_ZN5aiter20topk_softplus_kernelIf6__halfDv4_fLb0ELi1EEEvPKT_PKT0_PfPimiiif
	.p2align	8
	.type	_ZN5aiter20topk_softplus_kernelIf6__halfDv4_fLb0ELi1EEEvPKT_PKT0_PfPimiiif,@function
_ZN5aiter20topk_softplus_kernelIf6__halfDv4_fLb0ELi1EEEvPKT_PKT0_PfPimiiif: ; @_ZN5aiter20topk_softplus_kernelIf6__halfDv4_fLb0ELi1EEEvPKT_PKT0_PfPimiiif
; %bb.0:
	s_clause 0x1
	s_load_b64 s[12:13], s[0:1], 0x28
	s_load_b256 s[4:11], s[0:1], 0x0
	v_lshlrev_b32_e32 v11, 2, v0
	s_waitcnt lgkmcnt(0)
	s_ashr_i32 s2, s12, 31
	s_mul_i32 s16, s15, s12
	s_lshr_b32 s2, s2, 30
	s_ashr_i32 s17, s16, 31
	s_add_i32 s2, s12, s2
	s_delay_alu instid0(SALU_CYCLE_1) | instskip(NEXT) | instid1(SALU_CYCLE_1)
	s_ashr_i32 s14, s2, 2
	v_cmp_gt_i32_e64 s2, s14, v0
	s_delay_alu instid0(VALU_DEP_1)
	s_and_saveexec_b32 s18, s2
	s_cbranch_execz .LBB44_11
; %bb.1:
	s_load_b32 s3, s[0:1], 0x44
	s_cmp_lg_u64 s[6:7], 0
	v_dual_mov_b32 v6, 0 :: v_dual_lshlrev_b32 v1, 4, v0
	s_cselect_b32 s19, -1, 0
	v_lshlrev_b32_e32 v5, 2, v0
	s_delay_alu instid0(VALU_DEP_2)
	v_dual_mov_b32 v13, v0 :: v_dual_add_nc_u32 v12, 0, v1
	s_waitcnt lgkmcnt(0)
	s_and_b32 s20, s3, 0xffff
	s_add_u32 s21, s6, 2
	s_addc_u32 s22, s7, 0
	s_add_u32 s23, s6, 4
	s_addc_u32 s24, s7, 0
	;; [unrolled: 2-line block ×3, first 2 shown]
	s_lshl_b64 s[28:29], s[16:17], 2
	s_delay_alu instid0(SALU_CYCLE_1) | instskip(SKIP_2) | instid1(VALU_DEP_1)
	s_add_u32 s3, s4, s28
	s_addc_u32 s27, s5, s29
	v_add_co_u32 v7, s3, s3, v1
	v_add_co_ci_u32_e64 v8, null, s27, 0, s3
	s_mov_b32 s27, 0
	s_lshl_b32 s28, s20, 4
	s_lshl_b32 s29, s20, 2
	s_branch .LBB44_3
.LBB44_2:                               ;   in Loop: Header=BB44_3 Depth=1
	v_add_nc_u32_e32 v13, s20, v13
	v_add_co_u32 v7, s3, v7, s28
	ds_store_b128 v12, v[1:4]
	v_add_co_ci_u32_e64 v8, s3, 0, v8, s3
	v_cmp_le_i32_e32 vcc_lo, s14, v13
	v_add_nc_u32_e32 v5, s29, v5
	v_add_nc_u32_e32 v12, s28, v12
	s_or_b32 s27, vcc_lo, s27
	s_delay_alu instid0(SALU_CYCLE_1)
	s_and_not1_b32 exec_lo, exec_lo, s27
	s_cbranch_execz .LBB44_11
.LBB44_3:                               ; =>This Inner Loop Header: Depth=1
	global_load_b128 v[1:4], v[7:8], off
	s_waitcnt vmcnt(0)
	v_mul_f32_e32 v9, 0xbfb8aa3b, v1
	s_delay_alu instid0(VALU_DEP_1) | instskip(SKIP_3) | instid1(VALU_DEP_2)
	v_cmp_gt_f32_e32 vcc_lo, 0xc2fc0000, v9
	v_cndmask_b32_e64 v10, 0, 0x42800000, vcc_lo
	v_cndmask_b32_e64 v9, 1.0, 0x1f800000, vcc_lo
	s_and_not1_b32 vcc_lo, exec_lo, s19
	v_fmac_f32_e32 v10, 0xbfb8aa3b, v1
	s_delay_alu instid0(VALU_DEP_1) | instskip(SKIP_3) | instid1(VALU_DEP_2)
	v_exp_f32_e32 v1, v10
	s_waitcnt_depctr 0xfff
	v_fma_f32 v1, v1, v9, 1.0
	v_lshlrev_b64 v[9:10], 1, v[5:6]
	v_rcp_f32_e32 v1, v1
	s_cbranch_vccnz .LBB44_5
; %bb.4:                                ;   in Loop: Header=BB44_3 Depth=1
	s_delay_alu instid0(VALU_DEP_1) | instskip(NEXT) | instid1(VALU_DEP_2)
	v_add_co_u32 v14, vcc_lo, s6, v9
	v_add_co_ci_u32_e32 v15, vcc_lo, s7, v10, vcc_lo
	global_load_u16 v14, v[14:15], off
	s_waitcnt vmcnt(0)
	v_cvt_f32_f16_e32 v14, v14
	s_delay_alu instid0(VALU_DEP_1)
	v_add_f32_e32 v1, v1, v14
.LBB44_5:                               ;   in Loop: Header=BB44_3 Depth=1
	v_mul_f32_e32 v14, 0xbfb8aa3b, v2
	s_delay_alu instid0(VALU_DEP_1) | instskip(SKIP_3) | instid1(VALU_DEP_2)
	v_cmp_gt_f32_e32 vcc_lo, 0xc2fc0000, v14
	v_cndmask_b32_e64 v15, 0, 0x42800000, vcc_lo
	v_cndmask_b32_e64 v14, 1.0, 0x1f800000, vcc_lo
	s_and_not1_b32 vcc_lo, exec_lo, s19
	v_fmac_f32_e32 v15, 0xbfb8aa3b, v2
	s_delay_alu instid0(VALU_DEP_1) | instskip(SKIP_2) | instid1(VALU_DEP_1)
	v_exp_f32_e32 v2, v15
	s_waitcnt_depctr 0xfff
	v_fma_f32 v2, v2, v14, 1.0
	v_rcp_f32_e32 v2, v2
	s_cbranch_vccnz .LBB44_7
; %bb.6:                                ;   in Loop: Header=BB44_3 Depth=1
	v_add_co_u32 v14, vcc_lo, s21, v9
	v_add_co_ci_u32_e32 v15, vcc_lo, s22, v10, vcc_lo
	global_load_u16 v14, v[14:15], off
	s_waitcnt vmcnt(0)
	v_cvt_f32_f16_e32 v14, v14
	s_delay_alu instid0(VALU_DEP_1)
	v_add_f32_e32 v2, v2, v14
.LBB44_7:                               ;   in Loop: Header=BB44_3 Depth=1
	v_mul_f32_e32 v14, 0xbfb8aa3b, v3
	s_delay_alu instid0(VALU_DEP_1) | instskip(SKIP_3) | instid1(VALU_DEP_2)
	v_cmp_gt_f32_e32 vcc_lo, 0xc2fc0000, v14
	v_cndmask_b32_e64 v15, 0, 0x42800000, vcc_lo
	v_cndmask_b32_e64 v14, 1.0, 0x1f800000, vcc_lo
	s_and_not1_b32 vcc_lo, exec_lo, s19
	v_fmac_f32_e32 v15, 0xbfb8aa3b, v3
	s_delay_alu instid0(VALU_DEP_1) | instskip(SKIP_2) | instid1(VALU_DEP_1)
	v_exp_f32_e32 v3, v15
	s_waitcnt_depctr 0xfff
	v_fma_f32 v3, v3, v14, 1.0
	v_rcp_f32_e32 v3, v3
	s_cbranch_vccnz .LBB44_9
; %bb.8:                                ;   in Loop: Header=BB44_3 Depth=1
	v_add_co_u32 v14, vcc_lo, s23, v9
	v_add_co_ci_u32_e32 v15, vcc_lo, s24, v10, vcc_lo
	global_load_u16 v14, v[14:15], off
	s_waitcnt vmcnt(0)
	v_cvt_f32_f16_e32 v14, v14
	s_delay_alu instid0(VALU_DEP_1)
	v_add_f32_e32 v3, v3, v14
.LBB44_9:                               ;   in Loop: Header=BB44_3 Depth=1
	v_mul_f32_e32 v14, 0xbfb8aa3b, v4
	s_delay_alu instid0(VALU_DEP_1) | instskip(SKIP_3) | instid1(VALU_DEP_2)
	v_cmp_gt_f32_e32 vcc_lo, 0xc2fc0000, v14
	v_cndmask_b32_e64 v15, 0, 0x42800000, vcc_lo
	v_cndmask_b32_e64 v14, 1.0, 0x1f800000, vcc_lo
	s_and_not1_b32 vcc_lo, exec_lo, s19
	v_fmac_f32_e32 v15, 0xbfb8aa3b, v4
	s_delay_alu instid0(VALU_DEP_1) | instskip(SKIP_2) | instid1(VALU_DEP_1)
	v_exp_f32_e32 v4, v15
	s_waitcnt_depctr 0xfff
	v_fma_f32 v4, v4, v14, 1.0
	v_rcp_f32_e32 v4, v4
	s_cbranch_vccnz .LBB44_2
; %bb.10:                               ;   in Loop: Header=BB44_3 Depth=1
	v_add_co_u32 v9, vcc_lo, s25, v9
	v_add_co_ci_u32_e32 v10, vcc_lo, s26, v10, vcc_lo
	global_load_u16 v9, v[9:10], off
	s_waitcnt vmcnt(0)
	v_cvt_f32_f16_e32 v9, v9
	s_delay_alu instid0(VALU_DEP_1)
	v_add_f32_e32 v4, v4, v9
	s_branch .LBB44_2
.LBB44_11:
	s_or_b32 exec_lo, exec_lo, s18
	v_lshl_add_u32 v1, s14, 2, v0
	s_mov_b32 s3, exec_lo
	s_delay_alu instid0(VALU_DEP_1)
	v_cmpx_gt_i32_e64 s12, v1
	s_cbranch_execz .LBB44_16
; %bb.12:
	s_load_b32 s18, s[0:1], 0x44
	s_lshl_b64 s[16:17], s[16:17], 2
	v_lshlrev_b32_e32 v2, 2, v0
	s_add_u32 s4, s4, s16
	s_addc_u32 s5, s5, s17
	s_cmp_lg_u64 s[6:7], 0
	s_cselect_b32 s16, -1, 0
	s_lshl_b32 s17, s14, 4
	s_delay_alu instid0(SALU_CYCLE_1)
	v_add3_u32 v3, 0, s17, v2
	s_waitcnt lgkmcnt(0)
	s_and_b32 s17, s18, 0xffff
	s_mov_b32 s18, 0
	s_lshl_b32 s19, s17, 2
	s_set_inst_prefetch_distance 0x1
	s_branch .LBB44_14
	.p2align	6
.LBB44_13:                              ;   in Loop: Header=BB44_14 Depth=1
	v_add_nc_u32_e32 v1, s17, v1
	v_add_nc_u32_e32 v3, s19, v3
	s_delay_alu instid0(VALU_DEP_2) | instskip(SKIP_1) | instid1(SALU_CYCLE_1)
	v_cmp_le_i32_e32 vcc_lo, s12, v1
	s_or_b32 s18, vcc_lo, s18
	s_and_not1_b32 exec_lo, exec_lo, s18
	s_cbranch_execz .LBB44_16
.LBB44_14:                              ; =>This Inner Loop Header: Depth=1
	v_ashrrev_i32_e32 v2, 31, v1
	s_delay_alu instid0(VALU_DEP_1) | instskip(NEXT) | instid1(VALU_DEP_1)
	v_lshlrev_b64 v[4:5], 2, v[1:2]
	v_add_co_u32 v4, vcc_lo, s4, v4
	s_delay_alu instid0(VALU_DEP_2) | instskip(SKIP_3) | instid1(VALU_DEP_1)
	v_add_co_ci_u32_e32 v5, vcc_lo, s5, v5, vcc_lo
	global_load_b32 v4, v[4:5], off
	s_waitcnt vmcnt(0)
	v_mul_f32_e32 v5, 0xbfb8aa3b, v4
	v_cmp_gt_f32_e32 vcc_lo, 0xc2fc0000, v5
	v_cndmask_b32_e64 v5, 0, 0x42800000, vcc_lo
	s_delay_alu instid0(VALU_DEP_1) | instskip(NEXT) | instid1(VALU_DEP_1)
	v_fmac_f32_e32 v5, 0xbfb8aa3b, v4
	v_exp_f32_e32 v4, v5
	v_cndmask_b32_e64 v5, 1.0, 0x1f800000, vcc_lo
	s_and_not1_b32 vcc_lo, exec_lo, s16
	s_waitcnt_depctr 0xfff
	v_fma_f32 v4, v4, v5, 1.0
	s_delay_alu instid0(VALU_DEP_1)
	v_rcp_f32_e32 v4, v4
	ds_store_b32 v3, v4
	s_cbranch_vccnz .LBB44_13
; %bb.15:                               ;   in Loop: Header=BB44_14 Depth=1
	v_lshlrev_b64 v[5:6], 1, v[1:2]
	s_delay_alu instid0(VALU_DEP_1) | instskip(NEXT) | instid1(VALU_DEP_2)
	v_add_co_u32 v5, vcc_lo, s6, v5
	v_add_co_ci_u32_e32 v6, vcc_lo, s7, v6, vcc_lo
	global_load_u16 v2, v[5:6], off
	s_waitcnt vmcnt(0)
	v_cvt_f32_f16_e32 v2, v2
	s_delay_alu instid0(VALU_DEP_1)
	v_add_f32_e32 v2, v4, v2
	ds_store_b32 v3, v2
	s_branch .LBB44_13
.LBB44_16:
	s_set_inst_prefetch_distance 0x2
	s_or_b32 exec_lo, exec_lo, s3
	s_cmp_lt_i32 s13, 1
	s_waitcnt lgkmcnt(0)
	s_barrier
	buffer_gl0_inv
	s_cbranch_scc1 .LBB44_25
; %bb.17:
	s_add_u32 s4, s0, 56
	s_addc_u32 s5, s1, 0
	v_lshl_add_u32 v3, v0, 4, 0
	v_dual_mov_b32 v4, 0 :: v_dual_mov_b32 v1, 0
	v_dual_mov_b32 v5, 0xff800000 :: v_dual_mov_b32 v2, 0
	s_cmp_lg_u64 s[6:7], 0
	s_mov_b32 s18, 0
	s_cselect_b32 s12, -1, 0
	s_mov_b32 s19, 0x76543210
	s_branch .LBB44_19
.LBB44_18:                              ;   in Loop: Header=BB44_19 Depth=1
	v_cmp_eq_u32_e32 vcc_lo, s18, v0
	s_delay_alu instid0(VALU_DEP_2)
	s_lshl_b32 s3, s16, 2
	s_add_i32 s18, s18, 1
	s_add_i32 s3, s3, 0
	s_cmp_eq_u32 s18, s13
	v_cndmask_b32_e64 v1, v1, s16, vcc_lo
	v_mov_b32_e32 v6, s3
	v_cndmask_b32_e32 v2, v2, v8, vcc_lo
	ds_store_b32 v6, v5
	s_cbranch_scc1 .LBB44_26
.LBB44_19:                              ; =>This Loop Header: Depth=1
                                        ;     Child Loop BB44_21 Depth 2
	v_dual_mov_b32 v6, s18 :: v_dual_mov_b32 v7, 0xff800000
	s_and_saveexec_b32 s16, s2
	s_cbranch_execz .LBB44_23
; %bb.20:                               ;   in Loop: Header=BB44_19 Depth=1
	s_load_b32 s3, s[4:5], 0xc
	v_dual_mov_b32 v6, s18 :: v_dual_mov_b32 v7, 0xff800000
	v_mov_b32_e32 v8, v3
	v_dual_mov_b32 v9, v11 :: v_dual_mov_b32 v10, v0
	s_mov_b32 s21, 0
	s_waitcnt lgkmcnt(0)
	s_and_b32 s17, s3, 0xffff
	s_delay_alu instid0(SALU_CYCLE_1)
	s_lshl_b32 s20, s17, 2
	s_lshl_b32 s22, s17, 4
	.p2align	6
.LBB44_21:                              ;   Parent Loop BB44_19 Depth=1
                                        ; =>  This Inner Loop Header: Depth=2
	ds_load_b128 v[12:15], v8
	v_add_nc_u32_e32 v8, s22, v8
	s_waitcnt lgkmcnt(0)
	v_cmp_gt_f32_e32 vcc_lo, v12, v7
	v_dual_cndmask_b32 v7, v7, v12 :: v_dual_add_nc_u32 v12, 1, v9
	v_cndmask_b32_e32 v6, v6, v9, vcc_lo
	s_delay_alu instid0(VALU_DEP_2) | instskip(NEXT) | instid1(VALU_DEP_2)
	v_cmp_gt_f32_e32 vcc_lo, v13, v7
	v_dual_cndmask_b32 v7, v7, v13 :: v_dual_cndmask_b32 v6, v6, v12
	v_add_nc_u32_e32 v12, 3, v9
	v_add_nc_u32_e32 v13, 2, v9
	;; [unrolled: 1-line block ×3, first 2 shown]
	s_delay_alu instid0(VALU_DEP_4) | instskip(NEXT) | instid1(VALU_DEP_3)
	v_cmp_gt_f32_e32 vcc_lo, v14, v7
	v_dual_cndmask_b32 v7, v7, v14 :: v_dual_cndmask_b32 v6, v6, v13
	s_delay_alu instid0(VALU_DEP_1) | instskip(SKIP_1) | instid1(VALU_DEP_1)
	v_cmp_gt_f32_e32 vcc_lo, v15, v7
	v_dual_cndmask_b32 v7, v7, v15 :: v_dual_add_nc_u32 v10, s17, v10
	v_cmp_le_i32_e64 s3, s14, v10
	s_delay_alu instid0(VALU_DEP_4) | instskip(NEXT) | instid1(VALU_DEP_2)
	v_cndmask_b32_e32 v6, v6, v12, vcc_lo
	s_or_b32 s21, s3, s21
	s_delay_alu instid0(SALU_CYCLE_1)
	s_and_not1_b32 exec_lo, exec_lo, s21
	s_cbranch_execnz .LBB44_21
; %bb.22:                               ;   in Loop: Header=BB44_19 Depth=1
	s_or_b32 exec_lo, exec_lo, s21
.LBB44_23:                              ;   in Loop: Header=BB44_19 Depth=1
	s_delay_alu instid0(SALU_CYCLE_1)
	s_or_b32 exec_lo, exec_lo, s16
	;;#ASMSTART
	v_max_f32 v8, v7, v7 quad_perm:[1,0,3,2] row_mask:0xf bank_mask:0xf bound_ctrl:1
	;;#ASMEND
	;;#ASMSTART
	v_max_f32 v9, v8, v8 quad_perm:[2,3,0,1] row_mask:0xf bank_mask:0xf bound_ctrl:1
	;;#ASMEND
	;;#ASMSTART
	v_max_f32 v8, v9, v9 row_half_mirror row_mask:0xf bank_mask:0xf bound_ctrl:1
	;;#ASMEND
	;;#ASMSTART
	v_max_f32 v9, v8, v8 row_mirror row_mask:0xf bank_mask:0xf bound_ctrl:1
	;;#ASMEND
	v_permlanex16_b32 v8, v9, s19, 0xfedcba98 op_sel:[1,1]
	s_delay_alu instid0(VALU_DEP_1) | instskip(NEXT) | instid1(VALU_DEP_1)
	v_dual_max_f32 v9, v9, v9 :: v_dual_max_f32 v8, v8, v8
	v_max_f32_e32 v8, v9, v8
	s_delay_alu instid0(VALU_DEP_1)
	v_cmp_eq_f32_e32 vcc_lo, v7, v8
	s_ctz_i32_b32 s3, vcc_lo
	s_cmp_lg_u32 vcc_lo, 0
	s_cselect_b32 s3, s3, 0
	s_and_b32 vcc_lo, exec_lo, s12
	v_readlane_b32 s16, v6, s3
	s_cbranch_vccz .LBB44_18
; %bb.24:                               ;   in Loop: Header=BB44_19 Depth=1
	s_delay_alu instid0(VALU_DEP_1) | instskip(NEXT) | instid1(SALU_CYCLE_1)
	s_ashr_i32 s17, s16, 31
	s_lshl_b64 s[20:21], s[16:17], 1
	s_delay_alu instid0(SALU_CYCLE_1) | instskip(SKIP_4) | instid1(VALU_DEP_1)
	s_add_u32 s20, s6, s20
	s_addc_u32 s21, s7, s21
	global_load_u16 v6, v4, s[20:21]
	s_waitcnt vmcnt(0)
	v_cvt_f32_f16_e32 v6, v6
	v_sub_f32_e32 v8, v8, v6
	s_branch .LBB44_18
.LBB44_25:
	v_dual_mov_b32 v2, 0 :: v_dual_mov_b32 v1, 0
.LBB44_26:
	s_mov_b32 s2, exec_lo
	v_cmpx_gt_i32_e64 s13, v0
	s_cbranch_execz .LBB44_29
; %bb.27:
	s_clause 0x2
	s_load_b32 s4, s[0:1], 0x34
	s_load_b64 s[2:3], s[0:1], 0x20
	s_load_b32 s0, s[0:1], 0x44
	s_ashr_i32 s1, s15, 31
	s_waitcnt lgkmcnt(0)
	v_mul_f32_e32 v2, s4, v2
	s_mul_i32 s3, s15, s3
	s_mul_hi_u32 s4, s15, s2
	s_mul_i32 s5, s1, s2
	s_add_i32 s3, s4, s3
	s_mul_i32 s1, s15, s2
	s_and_b32 s2, s0, 0xffff
	s_add_i32 s3, s3, s5
	s_mov_b32 s4, 0
	.p2align	6
.LBB44_28:                              ; =>This Inner Loop Header: Depth=1
	v_ashrrev_i32_e32 v4, 31, v0
	v_add_co_u32 v3, vcc_lo, s1, v0
	v_add_nc_u32_e32 v0, s2, v0
	s_delay_alu instid0(VALU_DEP_3) | instskip(NEXT) | instid1(VALU_DEP_2)
	v_add_co_ci_u32_e32 v4, vcc_lo, s3, v4, vcc_lo
	v_cmp_le_i32_e32 vcc_lo, s13, v0
	s_delay_alu instid0(VALU_DEP_2) | instskip(SKIP_1) | instid1(VALU_DEP_1)
	v_lshlrev_b64 v[3:4], 2, v[3:4]
	s_or_b32 s4, vcc_lo, s4
	v_add_co_u32 v5, s0, s8, v3
	s_delay_alu instid0(VALU_DEP_1) | instskip(SKIP_1) | instid1(VALU_DEP_1)
	v_add_co_ci_u32_e64 v6, s0, s9, v4, s0
	v_add_co_u32 v3, s0, s10, v3
	v_add_co_ci_u32_e64 v4, s0, s11, v4, s0
	global_store_b32 v[5:6], v2, off
	global_store_b32 v[3:4], v1, off
	s_and_not1_b32 exec_lo, exec_lo, s4
	s_cbranch_execnz .LBB44_28
.LBB44_29:
	s_nop 0
	s_sendmsg sendmsg(MSG_DEALLOC_VGPRS)
	s_endpgm
	.section	.rodata,"a",@progbits
	.p2align	6, 0x0
	.amdhsa_kernel _ZN5aiter20topk_softplus_kernelIf6__halfDv4_fLb0ELi1EEEvPKT_PKT0_PfPimiiif
		.amdhsa_group_segment_fixed_size 0
		.amdhsa_private_segment_fixed_size 0
		.amdhsa_kernarg_size 312
		.amdhsa_user_sgpr_count 15
		.amdhsa_user_sgpr_dispatch_ptr 0
		.amdhsa_user_sgpr_queue_ptr 0
		.amdhsa_user_sgpr_kernarg_segment_ptr 1
		.amdhsa_user_sgpr_dispatch_id 0
		.amdhsa_user_sgpr_private_segment_size 0
		.amdhsa_wavefront_size32 1
		.amdhsa_uses_dynamic_stack 0
		.amdhsa_enable_private_segment 0
		.amdhsa_system_sgpr_workgroup_id_x 1
		.amdhsa_system_sgpr_workgroup_id_y 0
		.amdhsa_system_sgpr_workgroup_id_z 0
		.amdhsa_system_sgpr_workgroup_info 0
		.amdhsa_system_vgpr_workitem_id 0
		.amdhsa_next_free_vgpr 16
		.amdhsa_next_free_sgpr 30
		.amdhsa_reserve_vcc 1
		.amdhsa_float_round_mode_32 0
		.amdhsa_float_round_mode_16_64 0
		.amdhsa_float_denorm_mode_32 3
		.amdhsa_float_denorm_mode_16_64 3
		.amdhsa_dx10_clamp 1
		.amdhsa_ieee_mode 1
		.amdhsa_fp16_overflow 0
		.amdhsa_workgroup_processor_mode 1
		.amdhsa_memory_ordered 1
		.amdhsa_forward_progress 0
		.amdhsa_shared_vgpr_count 0
		.amdhsa_exception_fp_ieee_invalid_op 0
		.amdhsa_exception_fp_denorm_src 0
		.amdhsa_exception_fp_ieee_div_zero 0
		.amdhsa_exception_fp_ieee_overflow 0
		.amdhsa_exception_fp_ieee_underflow 0
		.amdhsa_exception_fp_ieee_inexact 0
		.amdhsa_exception_int_div_zero 0
	.end_amdhsa_kernel
	.section	.text._ZN5aiter20topk_softplus_kernelIf6__halfDv4_fLb0ELi1EEEvPKT_PKT0_PfPimiiif,"axG",@progbits,_ZN5aiter20topk_softplus_kernelIf6__halfDv4_fLb0ELi1EEEvPKT_PKT0_PfPimiiif,comdat
.Lfunc_end44:
	.size	_ZN5aiter20topk_softplus_kernelIf6__halfDv4_fLb0ELi1EEEvPKT_PKT0_PfPimiiif, .Lfunc_end44-_ZN5aiter20topk_softplus_kernelIf6__halfDv4_fLb0ELi1EEEvPKT_PKT0_PfPimiiif
                                        ; -- End function
	.section	.AMDGPU.csdata,"",@progbits
; Kernel info:
; codeLenInByte = 1864
; NumSgprs: 32
; NumVgprs: 16
; ScratchSize: 0
; MemoryBound: 0
; FloatMode: 240
; IeeeMode: 1
; LDSByteSize: 0 bytes/workgroup (compile time only)
; SGPRBlocks: 3
; VGPRBlocks: 1
; NumSGPRsForWavesPerEU: 32
; NumVGPRsForWavesPerEU: 16
; Occupancy: 16
; WaveLimiterHint : 0
; COMPUTE_PGM_RSRC2:SCRATCH_EN: 0
; COMPUTE_PGM_RSRC2:USER_SGPR: 15
; COMPUTE_PGM_RSRC2:TRAP_HANDLER: 0
; COMPUTE_PGM_RSRC2:TGID_X_EN: 1
; COMPUTE_PGM_RSRC2:TGID_Y_EN: 0
; COMPUTE_PGM_RSRC2:TGID_Z_EN: 0
; COMPUTE_PGM_RSRC2:TIDIG_COMP_CNT: 0
	.section	.text._ZN5aiter20topk_softplus_kernelIf6__halfDv2_fLb1ELi1EEEvPKT_PKT0_PfPimiiif,"axG",@progbits,_ZN5aiter20topk_softplus_kernelIf6__halfDv2_fLb1ELi1EEEvPKT_PKT0_PfPimiiif,comdat
	.protected	_ZN5aiter20topk_softplus_kernelIf6__halfDv2_fLb1ELi1EEEvPKT_PKT0_PfPimiiif ; -- Begin function _ZN5aiter20topk_softplus_kernelIf6__halfDv2_fLb1ELi1EEEvPKT_PKT0_PfPimiiif
	.globl	_ZN5aiter20topk_softplus_kernelIf6__halfDv2_fLb1ELi1EEEvPKT_PKT0_PfPimiiif
	.p2align	8
	.type	_ZN5aiter20topk_softplus_kernelIf6__halfDv2_fLb1ELi1EEEvPKT_PKT0_PfPimiiif,@function
_ZN5aiter20topk_softplus_kernelIf6__halfDv2_fLb1ELi1EEEvPKT_PKT0_PfPimiiif: ; @_ZN5aiter20topk_softplus_kernelIf6__halfDv2_fLb1ELi1EEEvPKT_PKT0_PfPimiiif
; %bb.0:
	s_clause 0x1
	s_load_b64 s[12:13], s[0:1], 0x28
	s_load_b256 s[4:11], s[0:1], 0x0
	s_waitcnt lgkmcnt(0)
	s_lshr_b32 s2, s12, 31
	s_mul_i32 s16, s15, s12
	s_add_i32 s2, s12, s2
	s_ashr_i32 s17, s16, 31
	s_ashr_i32 s14, s2, 1
	s_delay_alu instid0(SALU_CYCLE_1) | instskip(NEXT) | instid1(VALU_DEP_1)
	v_cmp_gt_i32_e64 s2, s14, v0
	s_and_saveexec_b32 s18, s2
	s_cbranch_execz .LBB45_7
; %bb.1:
	s_load_b32 s3, s[0:1], 0x44
	v_lshlrev_b32_e32 v1, 2, v0
	s_cmp_lg_u64 s[6:7], 0
	v_dual_mov_b32 v8, v0 :: v_dual_lshlrev_b32 v3, 3, v0
	s_cselect_b32 s19, -1, 0
	s_delay_alu instid0(VALU_DEP_2) | instskip(SKIP_3) | instid1(VALU_DEP_3)
	v_add_co_u32 v1, s20, v1, s6
	s_lshl_b64 s[22:23], s[16:17], 2
	v_add_co_ci_u32_e64 v2, null, 0, s7, s20
	v_add_nc_u32_e32 v7, 0, v3
	v_add_co_u32 v1, vcc_lo, v1, 2
	s_delay_alu instid0(VALU_DEP_3)
	v_add_co_ci_u32_e32 v2, vcc_lo, 0, v2, vcc_lo
	s_waitcnt lgkmcnt(0)
	s_and_b32 s20, s3, 0xffff
	s_add_u32 s3, s4, s22
	s_addc_u32 s21, s5, s23
	v_add_co_u32 v3, s3, s3, v3
	s_delay_alu instid0(VALU_DEP_1)
	v_add_co_ci_u32_e64 v4, null, s21, 0, s3
	s_mov_b32 s21, 0
	s_lshl_b32 s22, s20, 3
	s_lshl_b32 s23, s20, 2
	s_branch .LBB45_3
.LBB45_2:                               ;   in Loop: Header=BB45_3 Depth=1
	v_add_nc_u32_e32 v8, s20, v8
	v_add_co_u32 v3, vcc_lo, v3, s22
	v_add_co_ci_u32_e32 v4, vcc_lo, 0, v4, vcc_lo
	s_delay_alu instid0(VALU_DEP_3)
	v_cmp_le_i32_e32 vcc_lo, s14, v8
	v_add_co_u32 v1, s3, v1, s23
	ds_store_b64 v7, v[5:6]
	v_add_co_ci_u32_e64 v2, s3, 0, v2, s3
	v_add_nc_u32_e32 v7, s22, v7
	s_or_b32 s21, vcc_lo, s21
	s_delay_alu instid0(SALU_CYCLE_1)
	s_and_not1_b32 exec_lo, exec_lo, s21
	s_cbranch_execz .LBB45_7
.LBB45_3:                               ; =>This Inner Loop Header: Depth=1
	global_load_b64 v[5:6], v[3:4], off
	s_waitcnt vmcnt(0)
	v_mul_f32_e32 v9, 0xbfb8aa3b, v5
	s_delay_alu instid0(VALU_DEP_1) | instskip(SKIP_3) | instid1(VALU_DEP_2)
	v_cmp_gt_f32_e32 vcc_lo, 0xc2fc0000, v9
	v_cndmask_b32_e64 v10, 0, 0x42800000, vcc_lo
	v_cndmask_b32_e64 v9, 1.0, 0x1f800000, vcc_lo
	s_and_not1_b32 vcc_lo, exec_lo, s19
	v_fmac_f32_e32 v10, 0xbfb8aa3b, v5
	s_delay_alu instid0(VALU_DEP_1) | instskip(SKIP_2) | instid1(VALU_DEP_1)
	v_exp_f32_e32 v5, v10
	s_waitcnt_depctr 0xfff
	v_fma_f32 v5, v5, v9, 1.0
	v_rcp_f32_e32 v5, v5
	s_cbranch_vccnz .LBB45_5
; %bb.4:                                ;   in Loop: Header=BB45_3 Depth=1
	global_load_u16 v9, v[1:2], off offset:-2
	s_waitcnt vmcnt(0)
	v_cvt_f32_f16_e32 v9, v9
	s_delay_alu instid0(VALU_DEP_1)
	v_add_f32_e32 v5, v5, v9
.LBB45_5:                               ;   in Loop: Header=BB45_3 Depth=1
	v_mul_f32_e32 v9, 0xbfb8aa3b, v6
	s_delay_alu instid0(VALU_DEP_1) | instskip(SKIP_3) | instid1(VALU_DEP_2)
	v_cmp_gt_f32_e32 vcc_lo, 0xc2fc0000, v9
	v_cndmask_b32_e64 v10, 0, 0x42800000, vcc_lo
	v_cndmask_b32_e64 v9, 1.0, 0x1f800000, vcc_lo
	s_and_not1_b32 vcc_lo, exec_lo, s19
	v_fmac_f32_e32 v10, 0xbfb8aa3b, v6
	s_delay_alu instid0(VALU_DEP_1) | instskip(SKIP_2) | instid1(VALU_DEP_1)
	v_exp_f32_e32 v6, v10
	s_waitcnt_depctr 0xfff
	v_fma_f32 v6, v6, v9, 1.0
	v_rcp_f32_e32 v6, v6
	s_cbranch_vccnz .LBB45_2
; %bb.6:                                ;   in Loop: Header=BB45_3 Depth=1
	global_load_u16 v9, v[1:2], off
	s_waitcnt vmcnt(0)
	v_cvt_f32_f16_e32 v9, v9
	s_delay_alu instid0(VALU_DEP_1)
	v_add_f32_e32 v6, v6, v9
	s_branch .LBB45_2
.LBB45_7:
	s_or_b32 exec_lo, exec_lo, s18
	v_lshl_add_u32 v1, s14, 1, v0
	s_mov_b32 s3, exec_lo
	s_delay_alu instid0(VALU_DEP_1)
	v_cmpx_gt_i32_e64 s12, v1
	s_cbranch_execz .LBB45_12
; %bb.8:
	s_load_b32 s18, s[0:1], 0x44
	s_lshl_b64 s[16:17], s[16:17], 2
	v_lshlrev_b32_e32 v2, 2, v0
	s_add_u32 s4, s4, s16
	s_addc_u32 s5, s5, s17
	s_cmp_lg_u64 s[6:7], 0
	s_cselect_b32 s16, -1, 0
	s_lshl_b32 s17, s14, 3
	s_delay_alu instid0(SALU_CYCLE_1)
	v_add3_u32 v3, 0, s17, v2
	s_waitcnt lgkmcnt(0)
	s_and_b32 s17, s18, 0xffff
	s_mov_b32 s18, 0
	s_lshl_b32 s19, s17, 2
	s_set_inst_prefetch_distance 0x1
	s_branch .LBB45_10
	.p2align	6
.LBB45_9:                               ;   in Loop: Header=BB45_10 Depth=1
	v_add_nc_u32_e32 v1, s17, v1
	v_add_nc_u32_e32 v3, s19, v3
	s_delay_alu instid0(VALU_DEP_2) | instskip(SKIP_1) | instid1(SALU_CYCLE_1)
	v_cmp_le_i32_e32 vcc_lo, s12, v1
	s_or_b32 s18, vcc_lo, s18
	s_and_not1_b32 exec_lo, exec_lo, s18
	s_cbranch_execz .LBB45_12
.LBB45_10:                              ; =>This Inner Loop Header: Depth=1
	v_ashrrev_i32_e32 v2, 31, v1
	s_delay_alu instid0(VALU_DEP_1) | instskip(NEXT) | instid1(VALU_DEP_1)
	v_lshlrev_b64 v[4:5], 2, v[1:2]
	v_add_co_u32 v4, vcc_lo, s4, v4
	s_delay_alu instid0(VALU_DEP_2) | instskip(SKIP_3) | instid1(VALU_DEP_1)
	v_add_co_ci_u32_e32 v5, vcc_lo, s5, v5, vcc_lo
	global_load_b32 v4, v[4:5], off
	s_waitcnt vmcnt(0)
	v_mul_f32_e32 v5, 0xbfb8aa3b, v4
	v_cmp_gt_f32_e32 vcc_lo, 0xc2fc0000, v5
	v_cndmask_b32_e64 v5, 0, 0x42800000, vcc_lo
	s_delay_alu instid0(VALU_DEP_1) | instskip(NEXT) | instid1(VALU_DEP_1)
	v_fmac_f32_e32 v5, 0xbfb8aa3b, v4
	v_exp_f32_e32 v4, v5
	v_cndmask_b32_e64 v5, 1.0, 0x1f800000, vcc_lo
	s_and_not1_b32 vcc_lo, exec_lo, s16
	s_waitcnt_depctr 0xfff
	v_fma_f32 v4, v4, v5, 1.0
	s_delay_alu instid0(VALU_DEP_1)
	v_rcp_f32_e32 v4, v4
	ds_store_b32 v3, v4
	s_cbranch_vccnz .LBB45_9
; %bb.11:                               ;   in Loop: Header=BB45_10 Depth=1
	v_lshlrev_b64 v[5:6], 1, v[1:2]
	s_delay_alu instid0(VALU_DEP_1) | instskip(NEXT) | instid1(VALU_DEP_2)
	v_add_co_u32 v5, vcc_lo, s6, v5
	v_add_co_ci_u32_e32 v6, vcc_lo, s7, v6, vcc_lo
	global_load_u16 v2, v[5:6], off
	s_waitcnt vmcnt(0)
	v_cvt_f32_f16_e32 v2, v2
	s_delay_alu instid0(VALU_DEP_1)
	v_add_f32_e32 v2, v4, v2
	ds_store_b32 v3, v2
	s_branch .LBB45_9
.LBB45_12:
	s_set_inst_prefetch_distance 0x2
	s_or_b32 exec_lo, exec_lo, s3
	v_mov_b32_e32 v2, 0
	s_cmp_lt_i32 s13, 1
	s_waitcnt lgkmcnt(0)
	s_barrier
	buffer_gl0_inv
	s_cbranch_scc1 .LBB45_21
; %bb.13:
	s_add_u32 s4, s0, 56
	s_addc_u32 s5, s1, 0
	v_dual_mov_b32 v7, 0xff800000 :: v_dual_lshlrev_b32 v4, 1, v0
	v_lshl_add_u32 v5, v0, 3, 0
	v_dual_mov_b32 v2, 0 :: v_dual_mov_b32 v1, 0
	v_dual_mov_b32 v6, 0 :: v_dual_mov_b32 v3, 0
	s_cmp_lg_u64 s[6:7], 0
	s_mov_b32 s18, 0
	s_cselect_b32 s12, -1, 0
	s_mov_b32 s19, 0x76543210
	s_branch .LBB45_15
.LBB45_14:                              ;   in Loop: Header=BB45_15 Depth=1
	v_cmp_eq_u32_e32 vcc_lo, s18, v0
	s_delay_alu instid0(VALU_DEP_2)
	s_lshl_b32 s3, s16, 2
	s_add_i32 s18, s18, 1
	s_add_i32 s3, s3, 0
	v_add_f32_e32 v3, v3, v10
	v_cndmask_b32_e64 v1, v1, s16, vcc_lo
	v_mov_b32_e32 v8, s3
	v_cndmask_b32_e32 v2, v2, v10, vcc_lo
	s_cmp_eq_u32 s18, s13
	ds_store_b32 v8, v7
	s_cbranch_scc1 .LBB45_22
.LBB45_15:                              ; =>This Loop Header: Depth=1
                                        ;     Child Loop BB45_17 Depth 2
	v_dual_mov_b32 v8, s18 :: v_dual_mov_b32 v9, 0xff800000
	s_and_saveexec_b32 s16, s2
	s_cbranch_execz .LBB45_19
; %bb.16:                               ;   in Loop: Header=BB45_15 Depth=1
	s_load_b32 s3, s[4:5], 0xc
	v_dual_mov_b32 v8, s18 :: v_dual_mov_b32 v9, 0xff800000
	v_dual_mov_b32 v10, v5 :: v_dual_mov_b32 v11, v4
	v_mov_b32_e32 v12, v0
	s_mov_b32 s21, 0
	s_waitcnt lgkmcnt(0)
	s_and_b32 s17, s3, 0xffff
	s_delay_alu instid0(SALU_CYCLE_1)
	s_lshl_b32 s20, s17, 1
	s_lshl_b32 s22, s17, 3
	.p2align	6
.LBB45_17:                              ;   Parent Loop BB45_15 Depth=1
                                        ; =>  This Inner Loop Header: Depth=2
	ds_load_b64 v[13:14], v10
	v_add_nc_u32_e32 v10, s22, v10
	v_add_nc_u32_e32 v12, s17, v12
	s_delay_alu instid0(VALU_DEP_1) | instskip(NEXT) | instid1(VALU_DEP_1)
	v_cmp_le_i32_e64 s3, s14, v12
	s_or_b32 s21, s3, s21
	s_waitcnt lgkmcnt(0)
	v_cmp_gt_f32_e32 vcc_lo, v13, v9
	v_cndmask_b32_e32 v9, v9, v13, vcc_lo
	v_add_nc_u32_e32 v13, 1, v11
	v_cndmask_b32_e32 v8, v8, v11, vcc_lo
	s_delay_alu instid0(VALU_DEP_3) | instskip(SKIP_1) | instid1(VALU_DEP_3)
	v_cmp_gt_f32_e32 vcc_lo, v14, v9
	v_cndmask_b32_e32 v9, v9, v14, vcc_lo
	v_dual_cndmask_b32 v8, v8, v13 :: v_dual_add_nc_u32 v11, s20, v11
	s_and_not1_b32 exec_lo, exec_lo, s21
	s_cbranch_execnz .LBB45_17
; %bb.18:                               ;   in Loop: Header=BB45_15 Depth=1
	s_or_b32 exec_lo, exec_lo, s21
.LBB45_19:                              ;   in Loop: Header=BB45_15 Depth=1
	s_delay_alu instid0(SALU_CYCLE_1)
	s_or_b32 exec_lo, exec_lo, s16
	;;#ASMSTART
	v_max_f32 v10, v9, v9 quad_perm:[1,0,3,2] row_mask:0xf bank_mask:0xf bound_ctrl:1
	;;#ASMEND
	;;#ASMSTART
	v_max_f32 v11, v10, v10 quad_perm:[2,3,0,1] row_mask:0xf bank_mask:0xf bound_ctrl:1
	;;#ASMEND
	;;#ASMSTART
	v_max_f32 v10, v11, v11 row_half_mirror row_mask:0xf bank_mask:0xf bound_ctrl:1
	;;#ASMEND
	;;#ASMSTART
	v_max_f32 v11, v10, v10 row_mirror row_mask:0xf bank_mask:0xf bound_ctrl:1
	;;#ASMEND
	v_permlanex16_b32 v10, v11, s19, 0xfedcba98 op_sel:[1,1]
	s_delay_alu instid0(VALU_DEP_1) | instskip(NEXT) | instid1(VALU_DEP_1)
	v_dual_max_f32 v11, v11, v11 :: v_dual_max_f32 v10, v10, v10
	v_max_f32_e32 v10, v11, v10
	s_delay_alu instid0(VALU_DEP_1)
	v_cmp_eq_f32_e32 vcc_lo, v9, v10
	s_ctz_i32_b32 s3, vcc_lo
	s_cmp_lg_u32 vcc_lo, 0
	s_cselect_b32 s3, s3, 0
	s_and_b32 vcc_lo, exec_lo, s12
	v_readlane_b32 s16, v8, s3
	s_cbranch_vccz .LBB45_14
; %bb.20:                               ;   in Loop: Header=BB45_15 Depth=1
	s_delay_alu instid0(VALU_DEP_1) | instskip(NEXT) | instid1(SALU_CYCLE_1)
	s_ashr_i32 s17, s16, 31
	s_lshl_b64 s[20:21], s[16:17], 1
	s_delay_alu instid0(SALU_CYCLE_1) | instskip(SKIP_4) | instid1(VALU_DEP_1)
	s_add_u32 s20, s6, s20
	s_addc_u32 s21, s7, s21
	global_load_u16 v8, v6, s[20:21]
	s_waitcnt vmcnt(0)
	v_cvt_f32_f16_e32 v8, v8
	v_sub_f32_e32 v10, v10, v8
	s_branch .LBB45_14
.LBB45_21:
	v_mov_b32_e32 v1, 0
	v_mov_b32_e32 v3, 0
.LBB45_22:
	s_mov_b32 s2, exec_lo
	v_cmpx_gt_i32_e64 s13, v0
	s_cbranch_execz .LBB45_25
; %bb.23:
	s_clause 0x1
	s_load_b32 s2, s[0:1], 0x34
	s_load_b32 s3, s[0:1], 0x44
	v_max_f32_e32 v3, v3, v3
	s_load_b64 s[0:1], s[0:1], 0x20
	s_ashr_i32 s4, s15, 31
	s_delay_alu instid0(VALU_DEP_1) | instskip(SKIP_1) | instid1(VALU_DEP_1)
	v_max_f32_e32 v3, 0x1e3ce508, v3
	s_waitcnt lgkmcnt(0)
	v_div_scale_f32 v4, null, v3, v3, s2
	v_div_scale_f32 v7, vcc_lo, s2, v3, s2
	s_mul_i32 s1, s15, s1
	s_delay_alu instid0(VALU_DEP_2) | instskip(SKIP_4) | instid1(VALU_DEP_1)
	v_rcp_f32_e32 v5, v4
	s_mul_i32 s4, s4, s0
	s_and_b32 s3, s3, 0xffff
	s_waitcnt_depctr 0xfff
	v_fma_f32 v6, -v4, v5, 1.0
	v_fmac_f32_e32 v5, v6, v5
	s_delay_alu instid0(VALU_DEP_1) | instskip(NEXT) | instid1(VALU_DEP_1)
	v_mul_f32_e32 v6, v7, v5
	v_fma_f32 v8, -v4, v6, v7
	s_delay_alu instid0(VALU_DEP_1) | instskip(NEXT) | instid1(VALU_DEP_1)
	v_fmac_f32_e32 v6, v8, v5
	v_fma_f32 v4, -v4, v6, v7
	s_delay_alu instid0(VALU_DEP_1) | instskip(NEXT) | instid1(VALU_DEP_1)
	v_div_fmas_f32 v4, v4, v5, v6
	v_div_fixup_f32 v3, v4, v3, s2
	s_mul_hi_u32 s2, s15, s0
	s_delay_alu instid0(SALU_CYCLE_1) | instskip(SKIP_1) | instid1(VALU_DEP_1)
	s_add_i32 s1, s2, s1
	s_mul_i32 s2, s15, s0
	v_mul_f32_e32 v2, v2, v3
	s_add_i32 s1, s1, s4
	s_mov_b32 s4, 0
	.p2align	6
.LBB45_24:                              ; =>This Inner Loop Header: Depth=1
	v_ashrrev_i32_e32 v4, 31, v0
	v_add_co_u32 v3, vcc_lo, s2, v0
	v_add_nc_u32_e32 v0, s3, v0
	s_delay_alu instid0(VALU_DEP_3) | instskip(NEXT) | instid1(VALU_DEP_2)
	v_add_co_ci_u32_e32 v4, vcc_lo, s1, v4, vcc_lo
	v_cmp_le_i32_e32 vcc_lo, s13, v0
	s_delay_alu instid0(VALU_DEP_2) | instskip(SKIP_1) | instid1(VALU_DEP_1)
	v_lshlrev_b64 v[3:4], 2, v[3:4]
	s_or_b32 s4, vcc_lo, s4
	v_add_co_u32 v5, s0, s8, v3
	s_delay_alu instid0(VALU_DEP_1) | instskip(SKIP_1) | instid1(VALU_DEP_1)
	v_add_co_ci_u32_e64 v6, s0, s9, v4, s0
	v_add_co_u32 v3, s0, s10, v3
	v_add_co_ci_u32_e64 v4, s0, s11, v4, s0
	global_store_b32 v[5:6], v2, off
	global_store_b32 v[3:4], v1, off
	s_and_not1_b32 exec_lo, exec_lo, s4
	s_cbranch_execnz .LBB45_24
.LBB45_25:
	s_nop 0
	s_sendmsg sendmsg(MSG_DEALLOC_VGPRS)
	s_endpgm
	.section	.rodata,"a",@progbits
	.p2align	6, 0x0
	.amdhsa_kernel _ZN5aiter20topk_softplus_kernelIf6__halfDv2_fLb1ELi1EEEvPKT_PKT0_PfPimiiif
		.amdhsa_group_segment_fixed_size 0
		.amdhsa_private_segment_fixed_size 0
		.amdhsa_kernarg_size 312
		.amdhsa_user_sgpr_count 15
		.amdhsa_user_sgpr_dispatch_ptr 0
		.amdhsa_user_sgpr_queue_ptr 0
		.amdhsa_user_sgpr_kernarg_segment_ptr 1
		.amdhsa_user_sgpr_dispatch_id 0
		.amdhsa_user_sgpr_private_segment_size 0
		.amdhsa_wavefront_size32 1
		.amdhsa_uses_dynamic_stack 0
		.amdhsa_enable_private_segment 0
		.amdhsa_system_sgpr_workgroup_id_x 1
		.amdhsa_system_sgpr_workgroup_id_y 0
		.amdhsa_system_sgpr_workgroup_id_z 0
		.amdhsa_system_sgpr_workgroup_info 0
		.amdhsa_system_vgpr_workitem_id 0
		.amdhsa_next_free_vgpr 15
		.amdhsa_next_free_sgpr 24
		.amdhsa_reserve_vcc 1
		.amdhsa_float_round_mode_32 0
		.amdhsa_float_round_mode_16_64 0
		.amdhsa_float_denorm_mode_32 3
		.amdhsa_float_denorm_mode_16_64 3
		.amdhsa_dx10_clamp 1
		.amdhsa_ieee_mode 1
		.amdhsa_fp16_overflow 0
		.amdhsa_workgroup_processor_mode 1
		.amdhsa_memory_ordered 1
		.amdhsa_forward_progress 0
		.amdhsa_shared_vgpr_count 0
		.amdhsa_exception_fp_ieee_invalid_op 0
		.amdhsa_exception_fp_denorm_src 0
		.amdhsa_exception_fp_ieee_div_zero 0
		.amdhsa_exception_fp_ieee_overflow 0
		.amdhsa_exception_fp_ieee_underflow 0
		.amdhsa_exception_fp_ieee_inexact 0
		.amdhsa_exception_int_div_zero 0
	.end_amdhsa_kernel
	.section	.text._ZN5aiter20topk_softplus_kernelIf6__halfDv2_fLb1ELi1EEEvPKT_PKT0_PfPimiiif,"axG",@progbits,_ZN5aiter20topk_softplus_kernelIf6__halfDv2_fLb1ELi1EEEvPKT_PKT0_PfPimiiif,comdat
.Lfunc_end45:
	.size	_ZN5aiter20topk_softplus_kernelIf6__halfDv2_fLb1ELi1EEEvPKT_PKT0_PfPimiiif, .Lfunc_end45-_ZN5aiter20topk_softplus_kernelIf6__halfDv2_fLb1ELi1EEEvPKT_PKT0_PfPimiiif
                                        ; -- End function
	.section	.AMDGPU.csdata,"",@progbits
; Kernel info:
; codeLenInByte = 1676
; NumSgprs: 26
; NumVgprs: 15
; ScratchSize: 0
; MemoryBound: 0
; FloatMode: 240
; IeeeMode: 1
; LDSByteSize: 0 bytes/workgroup (compile time only)
; SGPRBlocks: 3
; VGPRBlocks: 1
; NumSGPRsForWavesPerEU: 26
; NumVGPRsForWavesPerEU: 15
; Occupancy: 16
; WaveLimiterHint : 0
; COMPUTE_PGM_RSRC2:SCRATCH_EN: 0
; COMPUTE_PGM_RSRC2:USER_SGPR: 15
; COMPUTE_PGM_RSRC2:TRAP_HANDLER: 0
; COMPUTE_PGM_RSRC2:TGID_X_EN: 1
; COMPUTE_PGM_RSRC2:TGID_Y_EN: 0
; COMPUTE_PGM_RSRC2:TGID_Z_EN: 0
; COMPUTE_PGM_RSRC2:TIDIG_COMP_CNT: 0
	.section	.text._ZN5aiter20topk_softplus_kernelIf6__halfDv2_fLb0ELi1EEEvPKT_PKT0_PfPimiiif,"axG",@progbits,_ZN5aiter20topk_softplus_kernelIf6__halfDv2_fLb0ELi1EEEvPKT_PKT0_PfPimiiif,comdat
	.protected	_ZN5aiter20topk_softplus_kernelIf6__halfDv2_fLb0ELi1EEEvPKT_PKT0_PfPimiiif ; -- Begin function _ZN5aiter20topk_softplus_kernelIf6__halfDv2_fLb0ELi1EEEvPKT_PKT0_PfPimiiif
	.globl	_ZN5aiter20topk_softplus_kernelIf6__halfDv2_fLb0ELi1EEEvPKT_PKT0_PfPimiiif
	.p2align	8
	.type	_ZN5aiter20topk_softplus_kernelIf6__halfDv2_fLb0ELi1EEEvPKT_PKT0_PfPimiiif,@function
_ZN5aiter20topk_softplus_kernelIf6__halfDv2_fLb0ELi1EEEvPKT_PKT0_PfPimiiif: ; @_ZN5aiter20topk_softplus_kernelIf6__halfDv2_fLb0ELi1EEEvPKT_PKT0_PfPimiiif
; %bb.0:
	s_clause 0x1
	s_load_b64 s[12:13], s[0:1], 0x28
	s_load_b256 s[4:11], s[0:1], 0x0
	s_waitcnt lgkmcnt(0)
	s_lshr_b32 s2, s12, 31
	s_mul_i32 s16, s15, s12
	s_add_i32 s2, s12, s2
	s_ashr_i32 s17, s16, 31
	s_ashr_i32 s14, s2, 1
	s_delay_alu instid0(SALU_CYCLE_1) | instskip(NEXT) | instid1(VALU_DEP_1)
	v_cmp_gt_i32_e64 s2, s14, v0
	s_and_saveexec_b32 s18, s2
	s_cbranch_execz .LBB46_7
; %bb.1:
	s_load_b32 s3, s[0:1], 0x44
	v_lshlrev_b32_e32 v1, 2, v0
	s_cmp_lg_u64 s[6:7], 0
	v_dual_mov_b32 v8, v0 :: v_dual_lshlrev_b32 v3, 3, v0
	s_cselect_b32 s19, -1, 0
	s_delay_alu instid0(VALU_DEP_2) | instskip(SKIP_3) | instid1(VALU_DEP_3)
	v_add_co_u32 v1, s20, v1, s6
	s_lshl_b64 s[22:23], s[16:17], 2
	v_add_co_ci_u32_e64 v2, null, 0, s7, s20
	v_add_nc_u32_e32 v7, 0, v3
	v_add_co_u32 v1, vcc_lo, v1, 2
	s_delay_alu instid0(VALU_DEP_3)
	v_add_co_ci_u32_e32 v2, vcc_lo, 0, v2, vcc_lo
	s_waitcnt lgkmcnt(0)
	s_and_b32 s20, s3, 0xffff
	s_add_u32 s3, s4, s22
	s_addc_u32 s21, s5, s23
	v_add_co_u32 v3, s3, s3, v3
	s_delay_alu instid0(VALU_DEP_1)
	v_add_co_ci_u32_e64 v4, null, s21, 0, s3
	s_mov_b32 s21, 0
	s_lshl_b32 s22, s20, 3
	s_lshl_b32 s23, s20, 2
	s_branch .LBB46_3
.LBB46_2:                               ;   in Loop: Header=BB46_3 Depth=1
	v_add_nc_u32_e32 v8, s20, v8
	v_add_co_u32 v3, vcc_lo, v3, s22
	v_add_co_ci_u32_e32 v4, vcc_lo, 0, v4, vcc_lo
	s_delay_alu instid0(VALU_DEP_3)
	v_cmp_le_i32_e32 vcc_lo, s14, v8
	v_add_co_u32 v1, s3, v1, s23
	ds_store_b64 v7, v[5:6]
	v_add_co_ci_u32_e64 v2, s3, 0, v2, s3
	v_add_nc_u32_e32 v7, s22, v7
	s_or_b32 s21, vcc_lo, s21
	s_delay_alu instid0(SALU_CYCLE_1)
	s_and_not1_b32 exec_lo, exec_lo, s21
	s_cbranch_execz .LBB46_7
.LBB46_3:                               ; =>This Inner Loop Header: Depth=1
	global_load_b64 v[5:6], v[3:4], off
	s_waitcnt vmcnt(0)
	v_mul_f32_e32 v9, 0xbfb8aa3b, v5
	s_delay_alu instid0(VALU_DEP_1) | instskip(SKIP_3) | instid1(VALU_DEP_2)
	v_cmp_gt_f32_e32 vcc_lo, 0xc2fc0000, v9
	v_cndmask_b32_e64 v10, 0, 0x42800000, vcc_lo
	v_cndmask_b32_e64 v9, 1.0, 0x1f800000, vcc_lo
	s_and_not1_b32 vcc_lo, exec_lo, s19
	v_fmac_f32_e32 v10, 0xbfb8aa3b, v5
	s_delay_alu instid0(VALU_DEP_1) | instskip(SKIP_2) | instid1(VALU_DEP_1)
	v_exp_f32_e32 v5, v10
	s_waitcnt_depctr 0xfff
	v_fma_f32 v5, v5, v9, 1.0
	v_rcp_f32_e32 v5, v5
	s_cbranch_vccnz .LBB46_5
; %bb.4:                                ;   in Loop: Header=BB46_3 Depth=1
	global_load_u16 v9, v[1:2], off offset:-2
	s_waitcnt vmcnt(0)
	v_cvt_f32_f16_e32 v9, v9
	s_delay_alu instid0(VALU_DEP_1)
	v_add_f32_e32 v5, v5, v9
.LBB46_5:                               ;   in Loop: Header=BB46_3 Depth=1
	v_mul_f32_e32 v9, 0xbfb8aa3b, v6
	s_delay_alu instid0(VALU_DEP_1) | instskip(SKIP_3) | instid1(VALU_DEP_2)
	v_cmp_gt_f32_e32 vcc_lo, 0xc2fc0000, v9
	v_cndmask_b32_e64 v10, 0, 0x42800000, vcc_lo
	v_cndmask_b32_e64 v9, 1.0, 0x1f800000, vcc_lo
	s_and_not1_b32 vcc_lo, exec_lo, s19
	v_fmac_f32_e32 v10, 0xbfb8aa3b, v6
	s_delay_alu instid0(VALU_DEP_1) | instskip(SKIP_2) | instid1(VALU_DEP_1)
	v_exp_f32_e32 v6, v10
	s_waitcnt_depctr 0xfff
	v_fma_f32 v6, v6, v9, 1.0
	v_rcp_f32_e32 v6, v6
	s_cbranch_vccnz .LBB46_2
; %bb.6:                                ;   in Loop: Header=BB46_3 Depth=1
	global_load_u16 v9, v[1:2], off
	s_waitcnt vmcnt(0)
	v_cvt_f32_f16_e32 v9, v9
	s_delay_alu instid0(VALU_DEP_1)
	v_add_f32_e32 v6, v6, v9
	s_branch .LBB46_2
.LBB46_7:
	s_or_b32 exec_lo, exec_lo, s18
	v_lshl_add_u32 v1, s14, 1, v0
	s_mov_b32 s3, exec_lo
	s_delay_alu instid0(VALU_DEP_1)
	v_cmpx_gt_i32_e64 s12, v1
	s_cbranch_execz .LBB46_12
; %bb.8:
	s_load_b32 s18, s[0:1], 0x44
	s_lshl_b64 s[16:17], s[16:17], 2
	v_lshlrev_b32_e32 v2, 2, v0
	s_add_u32 s4, s4, s16
	s_addc_u32 s5, s5, s17
	s_cmp_lg_u64 s[6:7], 0
	s_cselect_b32 s16, -1, 0
	s_lshl_b32 s17, s14, 3
	s_delay_alu instid0(SALU_CYCLE_1)
	v_add3_u32 v3, 0, s17, v2
	s_waitcnt lgkmcnt(0)
	s_and_b32 s17, s18, 0xffff
	s_mov_b32 s18, 0
	s_lshl_b32 s19, s17, 2
	s_set_inst_prefetch_distance 0x1
	s_branch .LBB46_10
	.p2align	6
.LBB46_9:                               ;   in Loop: Header=BB46_10 Depth=1
	v_add_nc_u32_e32 v1, s17, v1
	v_add_nc_u32_e32 v3, s19, v3
	s_delay_alu instid0(VALU_DEP_2) | instskip(SKIP_1) | instid1(SALU_CYCLE_1)
	v_cmp_le_i32_e32 vcc_lo, s12, v1
	s_or_b32 s18, vcc_lo, s18
	s_and_not1_b32 exec_lo, exec_lo, s18
	s_cbranch_execz .LBB46_12
.LBB46_10:                              ; =>This Inner Loop Header: Depth=1
	v_ashrrev_i32_e32 v2, 31, v1
	s_delay_alu instid0(VALU_DEP_1) | instskip(NEXT) | instid1(VALU_DEP_1)
	v_lshlrev_b64 v[4:5], 2, v[1:2]
	v_add_co_u32 v4, vcc_lo, s4, v4
	s_delay_alu instid0(VALU_DEP_2) | instskip(SKIP_3) | instid1(VALU_DEP_1)
	v_add_co_ci_u32_e32 v5, vcc_lo, s5, v5, vcc_lo
	global_load_b32 v4, v[4:5], off
	s_waitcnt vmcnt(0)
	v_mul_f32_e32 v5, 0xbfb8aa3b, v4
	v_cmp_gt_f32_e32 vcc_lo, 0xc2fc0000, v5
	v_cndmask_b32_e64 v5, 0, 0x42800000, vcc_lo
	s_delay_alu instid0(VALU_DEP_1) | instskip(NEXT) | instid1(VALU_DEP_1)
	v_fmac_f32_e32 v5, 0xbfb8aa3b, v4
	v_exp_f32_e32 v4, v5
	v_cndmask_b32_e64 v5, 1.0, 0x1f800000, vcc_lo
	s_and_not1_b32 vcc_lo, exec_lo, s16
	s_waitcnt_depctr 0xfff
	v_fma_f32 v4, v4, v5, 1.0
	s_delay_alu instid0(VALU_DEP_1)
	v_rcp_f32_e32 v4, v4
	ds_store_b32 v3, v4
	s_cbranch_vccnz .LBB46_9
; %bb.11:                               ;   in Loop: Header=BB46_10 Depth=1
	v_lshlrev_b64 v[5:6], 1, v[1:2]
	s_delay_alu instid0(VALU_DEP_1) | instskip(NEXT) | instid1(VALU_DEP_2)
	v_add_co_u32 v5, vcc_lo, s6, v5
	v_add_co_ci_u32_e32 v6, vcc_lo, s7, v6, vcc_lo
	global_load_u16 v2, v[5:6], off
	s_waitcnt vmcnt(0)
	v_cvt_f32_f16_e32 v2, v2
	s_delay_alu instid0(VALU_DEP_1)
	v_add_f32_e32 v2, v4, v2
	ds_store_b32 v3, v2
	s_branch .LBB46_9
.LBB46_12:
	s_set_inst_prefetch_distance 0x2
	s_or_b32 exec_lo, exec_lo, s3
	s_cmp_lt_i32 s13, 1
	s_waitcnt lgkmcnt(0)
	s_barrier
	buffer_gl0_inv
	s_cbranch_scc1 .LBB46_21
; %bb.13:
	s_add_u32 s4, s0, 56
	s_addc_u32 s5, s1, 0
	v_dual_mov_b32 v6, 0xff800000 :: v_dual_lshlrev_b32 v3, 1, v0
	v_lshl_add_u32 v4, v0, 3, 0
	v_dual_mov_b32 v5, 0 :: v_dual_mov_b32 v2, 0
	v_mov_b32_e32 v1, 0
	s_cmp_lg_u64 s[6:7], 0
	s_mov_b32 s18, 0
	s_cselect_b32 s12, -1, 0
	s_mov_b32 s19, 0x76543210
	s_branch .LBB46_15
.LBB46_14:                              ;   in Loop: Header=BB46_15 Depth=1
	v_cmp_eq_u32_e32 vcc_lo, s18, v0
	s_delay_alu instid0(VALU_DEP_2)
	s_lshl_b32 s3, s16, 2
	s_add_i32 s18, s18, 1
	s_add_i32 s3, s3, 0
	s_cmp_eq_u32 s18, s13
	v_cndmask_b32_e64 v1, v1, s16, vcc_lo
	v_dual_mov_b32 v7, s3 :: v_dual_cndmask_b32 v2, v2, v9
	ds_store_b32 v7, v6
	s_cbranch_scc1 .LBB46_22
.LBB46_15:                              ; =>This Loop Header: Depth=1
                                        ;     Child Loop BB46_17 Depth 2
	v_dual_mov_b32 v7, s18 :: v_dual_mov_b32 v8, 0xff800000
	s_and_saveexec_b32 s16, s2
	s_cbranch_execz .LBB46_19
; %bb.16:                               ;   in Loop: Header=BB46_15 Depth=1
	s_load_b32 s3, s[4:5], 0xc
	v_dual_mov_b32 v7, s18 :: v_dual_mov_b32 v8, 0xff800000
	v_dual_mov_b32 v9, v4 :: v_dual_mov_b32 v10, v3
	v_mov_b32_e32 v11, v0
	s_mov_b32 s21, 0
	s_waitcnt lgkmcnt(0)
	s_and_b32 s17, s3, 0xffff
	s_delay_alu instid0(SALU_CYCLE_1)
	s_lshl_b32 s20, s17, 1
	s_lshl_b32 s22, s17, 3
	.p2align	6
.LBB46_17:                              ;   Parent Loop BB46_15 Depth=1
                                        ; =>  This Inner Loop Header: Depth=2
	ds_load_b64 v[12:13], v9
	v_add_nc_u32_e32 v9, s22, v9
	v_add_nc_u32_e32 v11, s17, v11
	s_delay_alu instid0(VALU_DEP_1) | instskip(NEXT) | instid1(VALU_DEP_1)
	v_cmp_le_i32_e64 s3, s14, v11
	s_or_b32 s21, s3, s21
	s_waitcnt lgkmcnt(0)
	v_cmp_gt_f32_e32 vcc_lo, v12, v8
	v_cndmask_b32_e32 v8, v8, v12, vcc_lo
	v_add_nc_u32_e32 v12, 1, v10
	v_cndmask_b32_e32 v7, v7, v10, vcc_lo
	s_delay_alu instid0(VALU_DEP_3) | instskip(SKIP_1) | instid1(VALU_DEP_3)
	v_cmp_gt_f32_e32 vcc_lo, v13, v8
	v_cndmask_b32_e32 v8, v8, v13, vcc_lo
	v_dual_cndmask_b32 v7, v7, v12 :: v_dual_add_nc_u32 v10, s20, v10
	s_and_not1_b32 exec_lo, exec_lo, s21
	s_cbranch_execnz .LBB46_17
; %bb.18:                               ;   in Loop: Header=BB46_15 Depth=1
	s_or_b32 exec_lo, exec_lo, s21
.LBB46_19:                              ;   in Loop: Header=BB46_15 Depth=1
	s_delay_alu instid0(SALU_CYCLE_1)
	s_or_b32 exec_lo, exec_lo, s16
	;;#ASMSTART
	v_max_f32 v9, v8, v8 quad_perm:[1,0,3,2] row_mask:0xf bank_mask:0xf bound_ctrl:1
	;;#ASMEND
	;;#ASMSTART
	v_max_f32 v10, v9, v9 quad_perm:[2,3,0,1] row_mask:0xf bank_mask:0xf bound_ctrl:1
	;;#ASMEND
	;;#ASMSTART
	v_max_f32 v9, v10, v10 row_half_mirror row_mask:0xf bank_mask:0xf bound_ctrl:1
	;;#ASMEND
	;;#ASMSTART
	v_max_f32 v10, v9, v9 row_mirror row_mask:0xf bank_mask:0xf bound_ctrl:1
	;;#ASMEND
	v_permlanex16_b32 v9, v10, s19, 0xfedcba98 op_sel:[1,1]
	s_delay_alu instid0(VALU_DEP_1) | instskip(NEXT) | instid1(VALU_DEP_1)
	v_dual_max_f32 v10, v10, v10 :: v_dual_max_f32 v9, v9, v9
	v_max_f32_e32 v9, v10, v9
	s_delay_alu instid0(VALU_DEP_1)
	v_cmp_eq_f32_e32 vcc_lo, v8, v9
	s_ctz_i32_b32 s3, vcc_lo
	s_cmp_lg_u32 vcc_lo, 0
	s_cselect_b32 s3, s3, 0
	s_and_b32 vcc_lo, exec_lo, s12
	v_readlane_b32 s16, v7, s3
	s_cbranch_vccz .LBB46_14
; %bb.20:                               ;   in Loop: Header=BB46_15 Depth=1
	s_delay_alu instid0(VALU_DEP_1) | instskip(NEXT) | instid1(SALU_CYCLE_1)
	s_ashr_i32 s17, s16, 31
	s_lshl_b64 s[20:21], s[16:17], 1
	s_delay_alu instid0(SALU_CYCLE_1) | instskip(SKIP_4) | instid1(VALU_DEP_1)
	s_add_u32 s20, s6, s20
	s_addc_u32 s21, s7, s21
	global_load_u16 v7, v5, s[20:21]
	s_waitcnt vmcnt(0)
	v_cvt_f32_f16_e32 v7, v7
	v_sub_f32_e32 v9, v9, v7
	s_branch .LBB46_14
.LBB46_21:
	v_dual_mov_b32 v2, 0 :: v_dual_mov_b32 v1, 0
.LBB46_22:
	s_mov_b32 s2, exec_lo
	v_cmpx_gt_i32_e64 s13, v0
	s_cbranch_execz .LBB46_25
; %bb.23:
	s_clause 0x2
	s_load_b32 s4, s[0:1], 0x34
	s_load_b64 s[2:3], s[0:1], 0x20
	s_load_b32 s0, s[0:1], 0x44
	s_ashr_i32 s1, s15, 31
	s_waitcnt lgkmcnt(0)
	v_mul_f32_e32 v2, s4, v2
	s_mul_i32 s3, s15, s3
	s_mul_hi_u32 s4, s15, s2
	s_mul_i32 s5, s1, s2
	s_add_i32 s3, s4, s3
	s_mul_i32 s1, s15, s2
	s_and_b32 s2, s0, 0xffff
	s_add_i32 s3, s3, s5
	s_mov_b32 s4, 0
	.p2align	6
.LBB46_24:                              ; =>This Inner Loop Header: Depth=1
	v_ashrrev_i32_e32 v4, 31, v0
	v_add_co_u32 v3, vcc_lo, s1, v0
	v_add_nc_u32_e32 v0, s2, v0
	s_delay_alu instid0(VALU_DEP_3) | instskip(NEXT) | instid1(VALU_DEP_2)
	v_add_co_ci_u32_e32 v4, vcc_lo, s3, v4, vcc_lo
	v_cmp_le_i32_e32 vcc_lo, s13, v0
	s_delay_alu instid0(VALU_DEP_2) | instskip(SKIP_1) | instid1(VALU_DEP_1)
	v_lshlrev_b64 v[3:4], 2, v[3:4]
	s_or_b32 s4, vcc_lo, s4
	v_add_co_u32 v5, s0, s8, v3
	s_delay_alu instid0(VALU_DEP_1) | instskip(SKIP_1) | instid1(VALU_DEP_1)
	v_add_co_ci_u32_e64 v6, s0, s9, v4, s0
	v_add_co_u32 v3, s0, s10, v3
	v_add_co_ci_u32_e64 v4, s0, s11, v4, s0
	global_store_b32 v[5:6], v2, off
	global_store_b32 v[3:4], v1, off
	s_and_not1_b32 exec_lo, exec_lo, s4
	s_cbranch_execnz .LBB46_24
.LBB46_25:
	s_nop 0
	s_sendmsg sendmsg(MSG_DEALLOC_VGPRS)
	s_endpgm
	.section	.rodata,"a",@progbits
	.p2align	6, 0x0
	.amdhsa_kernel _ZN5aiter20topk_softplus_kernelIf6__halfDv2_fLb0ELi1EEEvPKT_PKT0_PfPimiiif
		.amdhsa_group_segment_fixed_size 0
		.amdhsa_private_segment_fixed_size 0
		.amdhsa_kernarg_size 312
		.amdhsa_user_sgpr_count 15
		.amdhsa_user_sgpr_dispatch_ptr 0
		.amdhsa_user_sgpr_queue_ptr 0
		.amdhsa_user_sgpr_kernarg_segment_ptr 1
		.amdhsa_user_sgpr_dispatch_id 0
		.amdhsa_user_sgpr_private_segment_size 0
		.amdhsa_wavefront_size32 1
		.amdhsa_uses_dynamic_stack 0
		.amdhsa_enable_private_segment 0
		.amdhsa_system_sgpr_workgroup_id_x 1
		.amdhsa_system_sgpr_workgroup_id_y 0
		.amdhsa_system_sgpr_workgroup_id_z 0
		.amdhsa_system_sgpr_workgroup_info 0
		.amdhsa_system_vgpr_workitem_id 0
		.amdhsa_next_free_vgpr 14
		.amdhsa_next_free_sgpr 24
		.amdhsa_reserve_vcc 1
		.amdhsa_float_round_mode_32 0
		.amdhsa_float_round_mode_16_64 0
		.amdhsa_float_denorm_mode_32 3
		.amdhsa_float_denorm_mode_16_64 3
		.amdhsa_dx10_clamp 1
		.amdhsa_ieee_mode 1
		.amdhsa_fp16_overflow 0
		.amdhsa_workgroup_processor_mode 1
		.amdhsa_memory_ordered 1
		.amdhsa_forward_progress 0
		.amdhsa_shared_vgpr_count 0
		.amdhsa_exception_fp_ieee_invalid_op 0
		.amdhsa_exception_fp_denorm_src 0
		.amdhsa_exception_fp_ieee_div_zero 0
		.amdhsa_exception_fp_ieee_overflow 0
		.amdhsa_exception_fp_ieee_underflow 0
		.amdhsa_exception_fp_ieee_inexact 0
		.amdhsa_exception_int_div_zero 0
	.end_amdhsa_kernel
	.section	.text._ZN5aiter20topk_softplus_kernelIf6__halfDv2_fLb0ELi1EEEvPKT_PKT0_PfPimiiif,"axG",@progbits,_ZN5aiter20topk_softplus_kernelIf6__halfDv2_fLb0ELi1EEEvPKT_PKT0_PfPimiiif,comdat
.Lfunc_end46:
	.size	_ZN5aiter20topk_softplus_kernelIf6__halfDv2_fLb0ELi1EEEvPKT_PKT0_PfPimiiif, .Lfunc_end46-_ZN5aiter20topk_softplus_kernelIf6__halfDv2_fLb0ELi1EEEvPKT_PKT0_PfPimiiif
                                        ; -- End function
	.section	.AMDGPU.csdata,"",@progbits
; Kernel info:
; codeLenInByte = 1552
; NumSgprs: 26
; NumVgprs: 14
; ScratchSize: 0
; MemoryBound: 0
; FloatMode: 240
; IeeeMode: 1
; LDSByteSize: 0 bytes/workgroup (compile time only)
; SGPRBlocks: 3
; VGPRBlocks: 1
; NumSGPRsForWavesPerEU: 26
; NumVGPRsForWavesPerEU: 14
; Occupancy: 16
; WaveLimiterHint : 0
; COMPUTE_PGM_RSRC2:SCRATCH_EN: 0
; COMPUTE_PGM_RSRC2:USER_SGPR: 15
; COMPUTE_PGM_RSRC2:TRAP_HANDLER: 0
; COMPUTE_PGM_RSRC2:TGID_X_EN: 1
; COMPUTE_PGM_RSRC2:TGID_Y_EN: 0
; COMPUTE_PGM_RSRC2:TGID_Z_EN: 0
; COMPUTE_PGM_RSRC2:TIDIG_COMP_CNT: 0
	.section	.text._ZN5aiter20topk_softplus_kernelIf6__halfDv1_fLb1ELi1EEEvPKT_PKT0_PfPimiiif,"axG",@progbits,_ZN5aiter20topk_softplus_kernelIf6__halfDv1_fLb1ELi1EEEvPKT_PKT0_PfPimiiif,comdat
	.protected	_ZN5aiter20topk_softplus_kernelIf6__halfDv1_fLb1ELi1EEEvPKT_PKT0_PfPimiiif ; -- Begin function _ZN5aiter20topk_softplus_kernelIf6__halfDv1_fLb1ELi1EEEvPKT_PKT0_PfPimiiif
	.globl	_ZN5aiter20topk_softplus_kernelIf6__halfDv1_fLb1ELi1EEEvPKT_PKT0_PfPimiiif
	.p2align	8
	.type	_ZN5aiter20topk_softplus_kernelIf6__halfDv1_fLb1ELi1EEEvPKT_PKT0_PfPimiiif,@function
_ZN5aiter20topk_softplus_kernelIf6__halfDv1_fLb1ELi1EEEvPKT_PKT0_PfPimiiif: ; @_ZN5aiter20topk_softplus_kernelIf6__halfDv1_fLb1ELi1EEEvPKT_PKT0_PfPimiiif
; %bb.0:
	s_clause 0x1
	s_load_b64 s[12:13], s[0:1], 0x28
	s_load_b256 s[4:11], s[0:1], 0x0
	v_lshl_add_u32 v3, v0, 2, 0
	s_waitcnt lgkmcnt(0)
	s_mul_i32 s16, s15, s12
	v_cmp_gt_i32_e64 s2, s12, v0
	s_ashr_i32 s17, s16, 31
	s_delay_alu instid0(SALU_CYCLE_1) | instskip(NEXT) | instid1(SALU_CYCLE_1)
	s_lshl_b64 s[16:17], s[16:17], 2
	s_add_u32 s3, s4, s16
	s_addc_u32 s4, s5, s17
	s_and_saveexec_b32 s5, s2
	s_cbranch_execz .LBB47_5
; %bb.1:
	s_load_b32 s16, s[0:1], 0x44
	s_cmp_lg_u64 s[6:7], 0
	v_lshl_add_u32 v4, v0, 2, 0
	v_mov_b32_e32 v1, v0
	s_cselect_b32 s14, -1, 0
	s_mov_b32 s17, 0
	s_waitcnt lgkmcnt(0)
	s_and_b32 s16, s16, 0xffff
	s_delay_alu instid0(SALU_CYCLE_1)
	s_lshl_b32 s18, s16, 2
	s_set_inst_prefetch_distance 0x1
	s_branch .LBB47_3
	.p2align	6
.LBB47_2:                               ;   in Loop: Header=BB47_3 Depth=1
	v_add_nc_u32_e32 v1, s16, v1
	ds_store_b32 v4, v5
	v_add_nc_u32_e32 v4, s18, v4
	v_cmp_le_i32_e32 vcc_lo, s12, v1
	s_or_b32 s17, vcc_lo, s17
	s_delay_alu instid0(SALU_CYCLE_1)
	s_and_not1_b32 exec_lo, exec_lo, s17
	s_cbranch_execz .LBB47_5
.LBB47_3:                               ; =>This Inner Loop Header: Depth=1
	v_ashrrev_i32_e32 v2, 31, v1
	s_delay_alu instid0(VALU_DEP_1) | instskip(NEXT) | instid1(VALU_DEP_1)
	v_lshlrev_b64 v[5:6], 2, v[1:2]
	v_add_co_u32 v5, vcc_lo, s3, v5
	s_delay_alu instid0(VALU_DEP_2) | instskip(SKIP_3) | instid1(VALU_DEP_1)
	v_add_co_ci_u32_e32 v6, vcc_lo, s4, v6, vcc_lo
	global_load_b32 v5, v[5:6], off
	s_waitcnt vmcnt(0)
	v_mul_f32_e32 v6, 0xbfb8aa3b, v5
	v_cmp_gt_f32_e32 vcc_lo, 0xc2fc0000, v6
	v_cndmask_b32_e64 v6, 0, 0x42800000, vcc_lo
	s_delay_alu instid0(VALU_DEP_1) | instskip(NEXT) | instid1(VALU_DEP_1)
	v_fmac_f32_e32 v6, 0xbfb8aa3b, v5
	v_exp_f32_e32 v5, v6
	v_cndmask_b32_e64 v6, 1.0, 0x1f800000, vcc_lo
	s_and_not1_b32 vcc_lo, exec_lo, s14
	s_waitcnt_depctr 0xfff
	v_fma_f32 v5, v5, v6, 1.0
	s_delay_alu instid0(VALU_DEP_1)
	v_rcp_f32_e32 v5, v5
	s_cbranch_vccnz .LBB47_2
; %bb.4:                                ;   in Loop: Header=BB47_3 Depth=1
	v_lshlrev_b64 v[6:7], 1, v[1:2]
	s_delay_alu instid0(VALU_DEP_1) | instskip(NEXT) | instid1(VALU_DEP_2)
	v_add_co_u32 v6, vcc_lo, s6, v6
	v_add_co_ci_u32_e32 v7, vcc_lo, s7, v7, vcc_lo
	global_load_u16 v2, v[6:7], off
	s_waitcnt vmcnt(0)
	v_cvt_f32_f16_e32 v2, v2
	s_delay_alu instid0(VALU_DEP_1)
	v_add_f32_e32 v5, v5, v2
	s_branch .LBB47_2
.LBB47_5:
	s_set_inst_prefetch_distance 0x2
	s_or_b32 exec_lo, exec_lo, s5
	v_add_nc_u32_e32 v1, s12, v0
	s_mov_b32 s5, exec_lo
	s_delay_alu instid0(VALU_DEP_1)
	v_cmpx_gt_i32_e64 s12, v1
	s_cbranch_execz .LBB47_10
; %bb.6:
	s_load_b32 s16, s[0:1], 0x44
	s_cmp_lg_u64 s[6:7], 0
	v_lshl_add_u32 v4, v1, 2, 0
	s_cselect_b32 s14, -1, 0
	s_mov_b32 s17, 0
	s_waitcnt lgkmcnt(0)
	s_and_b32 s16, s16, 0xffff
	s_delay_alu instid0(SALU_CYCLE_1)
	s_lshl_b32 s18, s16, 2
	s_set_inst_prefetch_distance 0x1
	s_branch .LBB47_8
	.p2align	6
.LBB47_7:                               ;   in Loop: Header=BB47_8 Depth=1
	v_add_nc_u32_e32 v1, s16, v1
	v_add_nc_u32_e32 v4, s18, v4
	s_delay_alu instid0(VALU_DEP_2) | instskip(SKIP_1) | instid1(SALU_CYCLE_1)
	v_cmp_le_i32_e32 vcc_lo, s12, v1
	s_or_b32 s17, vcc_lo, s17
	s_and_not1_b32 exec_lo, exec_lo, s17
	s_cbranch_execz .LBB47_10
.LBB47_8:                               ; =>This Inner Loop Header: Depth=1
	v_ashrrev_i32_e32 v2, 31, v1
	s_delay_alu instid0(VALU_DEP_1) | instskip(NEXT) | instid1(VALU_DEP_1)
	v_lshlrev_b64 v[5:6], 2, v[1:2]
	v_add_co_u32 v5, vcc_lo, s3, v5
	s_delay_alu instid0(VALU_DEP_2) | instskip(SKIP_3) | instid1(VALU_DEP_1)
	v_add_co_ci_u32_e32 v6, vcc_lo, s4, v6, vcc_lo
	global_load_b32 v5, v[5:6], off
	s_waitcnt vmcnt(0)
	v_mul_f32_e32 v6, 0xbfb8aa3b, v5
	v_cmp_gt_f32_e32 vcc_lo, 0xc2fc0000, v6
	v_cndmask_b32_e64 v6, 0, 0x42800000, vcc_lo
	s_delay_alu instid0(VALU_DEP_1) | instskip(NEXT) | instid1(VALU_DEP_1)
	v_fmac_f32_e32 v6, 0xbfb8aa3b, v5
	v_exp_f32_e32 v5, v6
	v_cndmask_b32_e64 v6, 1.0, 0x1f800000, vcc_lo
	s_and_not1_b32 vcc_lo, exec_lo, s14
	s_waitcnt_depctr 0xfff
	v_fma_f32 v5, v5, v6, 1.0
	s_delay_alu instid0(VALU_DEP_1)
	v_rcp_f32_e32 v5, v5
	ds_store_b32 v4, v5
	s_cbranch_vccnz .LBB47_7
; %bb.9:                                ;   in Loop: Header=BB47_8 Depth=1
	v_lshlrev_b64 v[6:7], 1, v[1:2]
	s_delay_alu instid0(VALU_DEP_1) | instskip(NEXT) | instid1(VALU_DEP_2)
	v_add_co_u32 v6, vcc_lo, s6, v6
	v_add_co_ci_u32_e32 v7, vcc_lo, s7, v7, vcc_lo
	global_load_u16 v2, v[6:7], off
	s_waitcnt vmcnt(0)
	v_cvt_f32_f16_e32 v2, v2
	s_delay_alu instid0(VALU_DEP_1)
	v_add_f32_e32 v2, v5, v2
	ds_store_b32 v4, v2
	s_branch .LBB47_7
.LBB47_10:
	s_set_inst_prefetch_distance 0x2
	s_or_b32 exec_lo, exec_lo, s5
	v_mov_b32_e32 v2, 0
	s_cmp_lt_i32 s13, 1
	s_waitcnt lgkmcnt(0)
	s_barrier
	buffer_gl0_inv
	s_cbranch_scc1 .LBB47_19
; %bb.11:
	s_add_u32 s4, s0, 56
	s_addc_u32 s5, s1, 0
	v_dual_mov_b32 v2, 0 :: v_dual_mov_b32 v5, 0
	v_dual_mov_b32 v6, 0xff800000 :: v_dual_mov_b32 v1, 0
	v_mov_b32_e32 v4, 0
	s_cmp_lg_u64 s[6:7], 0
	s_mov_b32 s14, 0
	s_cselect_b32 s3, -1, 0
	s_mov_b32 s18, 0x76543210
	s_branch .LBB47_13
.LBB47_12:                              ;   in Loop: Header=BB47_13 Depth=1
	v_cmp_eq_u32_e32 vcc_lo, s14, v0
	s_delay_alu instid0(VALU_DEP_2) | instskip(NEXT) | instid1(VALU_DEP_2)
	s_lshl_b32 s17, s16, 2
	v_add_f32_e32 v4, v4, v9
	s_add_i32 s17, s17, 0
	s_add_i32 s14, s14, 1
	v_cndmask_b32_e64 v1, v1, s16, vcc_lo
	v_dual_mov_b32 v7, s17 :: v_dual_cndmask_b32 v2, v2, v9
	s_cmp_eq_u32 s14, s13
	ds_store_b32 v7, v6
	s_cbranch_scc1 .LBB47_20
.LBB47_13:                              ; =>This Loop Header: Depth=1
                                        ;     Child Loop BB47_15 Depth 2
	v_dual_mov_b32 v7, s14 :: v_dual_mov_b32 v8, 0xff800000
	s_and_saveexec_b32 s16, s2
	s_cbranch_execz .LBB47_17
; %bb.14:                               ;   in Loop: Header=BB47_13 Depth=1
	s_load_b32 s17, s[4:5], 0xc
	v_dual_mov_b32 v7, s14 :: v_dual_mov_b32 v8, 0xff800000
	v_dual_mov_b32 v9, v3 :: v_dual_mov_b32 v10, v0
	s_mov_b32 s19, 0
	s_waitcnt lgkmcnt(0)
	s_and_b32 s17, s17, 0xffff
	s_delay_alu instid0(SALU_CYCLE_1)
	s_lshl_b32 s20, s17, 2
.LBB47_15:                              ;   Parent Loop BB47_13 Depth=1
                                        ; =>  This Inner Loop Header: Depth=2
	ds_load_b32 v11, v9
	v_add_nc_u32_e32 v9, s20, v9
	s_waitcnt lgkmcnt(0)
	v_cmp_gt_f32_e32 vcc_lo, v11, v8
	v_dual_cndmask_b32 v8, v8, v11 :: v_dual_cndmask_b32 v7, v7, v10
	v_add_nc_u32_e32 v10, s17, v10
	s_delay_alu instid0(VALU_DEP_1) | instskip(SKIP_1) | instid1(SALU_CYCLE_1)
	v_cmp_le_i32_e32 vcc_lo, s12, v10
	s_or_b32 s19, vcc_lo, s19
	s_and_not1_b32 exec_lo, exec_lo, s19
	s_cbranch_execnz .LBB47_15
; %bb.16:                               ;   in Loop: Header=BB47_13 Depth=1
	s_or_b32 exec_lo, exec_lo, s19
.LBB47_17:                              ;   in Loop: Header=BB47_13 Depth=1
	s_delay_alu instid0(SALU_CYCLE_1)
	s_or_b32 exec_lo, exec_lo, s16
	;;#ASMSTART
	v_max_f32 v9, v8, v8 quad_perm:[1,0,3,2] row_mask:0xf bank_mask:0xf bound_ctrl:1
	;;#ASMEND
	;;#ASMSTART
	v_max_f32 v10, v9, v9 quad_perm:[2,3,0,1] row_mask:0xf bank_mask:0xf bound_ctrl:1
	;;#ASMEND
	;;#ASMSTART
	v_max_f32 v9, v10, v10 row_half_mirror row_mask:0xf bank_mask:0xf bound_ctrl:1
	;;#ASMEND
	;;#ASMSTART
	v_max_f32 v10, v9, v9 row_mirror row_mask:0xf bank_mask:0xf bound_ctrl:1
	;;#ASMEND
	v_permlanex16_b32 v9, v10, s18, 0xfedcba98 op_sel:[1,1]
	s_delay_alu instid0(VALU_DEP_1) | instskip(NEXT) | instid1(VALU_DEP_1)
	v_dual_max_f32 v10, v10, v10 :: v_dual_max_f32 v9, v9, v9
	v_max_f32_e32 v9, v10, v9
	s_delay_alu instid0(VALU_DEP_1)
	v_cmp_eq_f32_e32 vcc_lo, v8, v9
	s_ctz_i32_b32 s16, vcc_lo
	s_cmp_lg_u32 vcc_lo, 0
	s_cselect_b32 s16, s16, 0
	s_and_b32 vcc_lo, exec_lo, s3
	v_readlane_b32 s16, v7, s16
	s_cbranch_vccz .LBB47_12
; %bb.18:                               ;   in Loop: Header=BB47_13 Depth=1
	s_delay_alu instid0(VALU_DEP_1) | instskip(NEXT) | instid1(SALU_CYCLE_1)
	s_ashr_i32 s17, s16, 31
	s_lshl_b64 s[20:21], s[16:17], 1
	s_delay_alu instid0(SALU_CYCLE_1) | instskip(SKIP_4) | instid1(VALU_DEP_1)
	s_add_u32 s20, s6, s20
	s_addc_u32 s21, s7, s21
	global_load_u16 v7, v5, s[20:21]
	s_waitcnt vmcnt(0)
	v_cvt_f32_f16_e32 v7, v7
	v_sub_f32_e32 v9, v9, v7
	s_branch .LBB47_12
.LBB47_19:
	v_dual_mov_b32 v1, 0 :: v_dual_mov_b32 v4, 0
.LBB47_20:
	s_mov_b32 s2, exec_lo
	v_cmpx_gt_i32_e64 s13, v0
	s_cbranch_execz .LBB47_23
; %bb.21:
	s_clause 0x1
	s_load_b32 s2, s[0:1], 0x34
	s_load_b32 s3, s[0:1], 0x44
	v_max_f32_e32 v3, v4, v4
	s_load_b64 s[0:1], s[0:1], 0x20
	s_ashr_i32 s4, s15, 31
	s_delay_alu instid0(VALU_DEP_1) | instskip(SKIP_1) | instid1(VALU_DEP_1)
	v_max_f32_e32 v3, 0x1e3ce508, v3
	s_waitcnt lgkmcnt(0)
	v_div_scale_f32 v4, null, v3, v3, s2
	v_div_scale_f32 v7, vcc_lo, s2, v3, s2
	s_mul_i32 s1, s15, s1
	s_delay_alu instid0(VALU_DEP_2) | instskip(SKIP_4) | instid1(VALU_DEP_1)
	v_rcp_f32_e32 v5, v4
	s_mul_i32 s4, s4, s0
	s_and_b32 s3, s3, 0xffff
	s_waitcnt_depctr 0xfff
	v_fma_f32 v6, -v4, v5, 1.0
	v_fmac_f32_e32 v5, v6, v5
	s_delay_alu instid0(VALU_DEP_1) | instskip(NEXT) | instid1(VALU_DEP_1)
	v_mul_f32_e32 v6, v7, v5
	v_fma_f32 v8, -v4, v6, v7
	s_delay_alu instid0(VALU_DEP_1) | instskip(NEXT) | instid1(VALU_DEP_1)
	v_fmac_f32_e32 v6, v8, v5
	v_fma_f32 v4, -v4, v6, v7
	s_delay_alu instid0(VALU_DEP_1) | instskip(NEXT) | instid1(VALU_DEP_1)
	v_div_fmas_f32 v4, v4, v5, v6
	v_div_fixup_f32 v3, v4, v3, s2
	s_mul_hi_u32 s2, s15, s0
	s_delay_alu instid0(SALU_CYCLE_1) | instskip(SKIP_1) | instid1(VALU_DEP_1)
	s_add_i32 s1, s2, s1
	s_mul_i32 s2, s15, s0
	v_mul_f32_e32 v2, v2, v3
	s_add_i32 s1, s1, s4
	s_mov_b32 s4, 0
	.p2align	6
.LBB47_22:                              ; =>This Inner Loop Header: Depth=1
	v_ashrrev_i32_e32 v4, 31, v0
	v_add_co_u32 v3, vcc_lo, s2, v0
	v_add_nc_u32_e32 v0, s3, v0
	s_delay_alu instid0(VALU_DEP_3) | instskip(NEXT) | instid1(VALU_DEP_2)
	v_add_co_ci_u32_e32 v4, vcc_lo, s1, v4, vcc_lo
	v_cmp_le_i32_e32 vcc_lo, s13, v0
	s_delay_alu instid0(VALU_DEP_2) | instskip(SKIP_1) | instid1(VALU_DEP_1)
	v_lshlrev_b64 v[3:4], 2, v[3:4]
	s_or_b32 s4, vcc_lo, s4
	v_add_co_u32 v5, s0, s8, v3
	s_delay_alu instid0(VALU_DEP_1) | instskip(SKIP_1) | instid1(VALU_DEP_1)
	v_add_co_ci_u32_e64 v6, s0, s9, v4, s0
	v_add_co_u32 v3, s0, s10, v3
	v_add_co_ci_u32_e64 v4, s0, s11, v4, s0
	global_store_b32 v[5:6], v2, off
	global_store_b32 v[3:4], v1, off
	s_and_not1_b32 exec_lo, exec_lo, s4
	s_cbranch_execnz .LBB47_22
.LBB47_23:
	s_nop 0
	s_sendmsg sendmsg(MSG_DEALLOC_VGPRS)
	s_endpgm
	.section	.rodata,"a",@progbits
	.p2align	6, 0x0
	.amdhsa_kernel _ZN5aiter20topk_softplus_kernelIf6__halfDv1_fLb1ELi1EEEvPKT_PKT0_PfPimiiif
		.amdhsa_group_segment_fixed_size 0
		.amdhsa_private_segment_fixed_size 0
		.amdhsa_kernarg_size 312
		.amdhsa_user_sgpr_count 15
		.amdhsa_user_sgpr_dispatch_ptr 0
		.amdhsa_user_sgpr_queue_ptr 0
		.amdhsa_user_sgpr_kernarg_segment_ptr 1
		.amdhsa_user_sgpr_dispatch_id 0
		.amdhsa_user_sgpr_private_segment_size 0
		.amdhsa_wavefront_size32 1
		.amdhsa_uses_dynamic_stack 0
		.amdhsa_enable_private_segment 0
		.amdhsa_system_sgpr_workgroup_id_x 1
		.amdhsa_system_sgpr_workgroup_id_y 0
		.amdhsa_system_sgpr_workgroup_id_z 0
		.amdhsa_system_sgpr_workgroup_info 0
		.amdhsa_system_vgpr_workitem_id 0
		.amdhsa_next_free_vgpr 12
		.amdhsa_next_free_sgpr 22
		.amdhsa_reserve_vcc 1
		.amdhsa_float_round_mode_32 0
		.amdhsa_float_round_mode_16_64 0
		.amdhsa_float_denorm_mode_32 3
		.amdhsa_float_denorm_mode_16_64 3
		.amdhsa_dx10_clamp 1
		.amdhsa_ieee_mode 1
		.amdhsa_fp16_overflow 0
		.amdhsa_workgroup_processor_mode 1
		.amdhsa_memory_ordered 1
		.amdhsa_forward_progress 0
		.amdhsa_shared_vgpr_count 0
		.amdhsa_exception_fp_ieee_invalid_op 0
		.amdhsa_exception_fp_denorm_src 0
		.amdhsa_exception_fp_ieee_div_zero 0
		.amdhsa_exception_fp_ieee_overflow 0
		.amdhsa_exception_fp_ieee_underflow 0
		.amdhsa_exception_fp_ieee_inexact 0
		.amdhsa_exception_int_div_zero 0
	.end_amdhsa_kernel
	.section	.text._ZN5aiter20topk_softplus_kernelIf6__halfDv1_fLb1ELi1EEEvPKT_PKT0_PfPimiiif,"axG",@progbits,_ZN5aiter20topk_softplus_kernelIf6__halfDv1_fLb1ELi1EEEvPKT_PKT0_PfPimiiif,comdat
.Lfunc_end47:
	.size	_ZN5aiter20topk_softplus_kernelIf6__halfDv1_fLb1ELi1EEEvPKT_PKT0_PfPimiiif, .Lfunc_end47-_ZN5aiter20topk_softplus_kernelIf6__halfDv1_fLb1ELi1EEEvPKT_PKT0_PfPimiiif
                                        ; -- End function
	.section	.AMDGPU.csdata,"",@progbits
; Kernel info:
; codeLenInByte = 1464
; NumSgprs: 24
; NumVgprs: 12
; ScratchSize: 0
; MemoryBound: 0
; FloatMode: 240
; IeeeMode: 1
; LDSByteSize: 0 bytes/workgroup (compile time only)
; SGPRBlocks: 2
; VGPRBlocks: 1
; NumSGPRsForWavesPerEU: 24
; NumVGPRsForWavesPerEU: 12
; Occupancy: 16
; WaveLimiterHint : 0
; COMPUTE_PGM_RSRC2:SCRATCH_EN: 0
; COMPUTE_PGM_RSRC2:USER_SGPR: 15
; COMPUTE_PGM_RSRC2:TRAP_HANDLER: 0
; COMPUTE_PGM_RSRC2:TGID_X_EN: 1
; COMPUTE_PGM_RSRC2:TGID_Y_EN: 0
; COMPUTE_PGM_RSRC2:TGID_Z_EN: 0
; COMPUTE_PGM_RSRC2:TIDIG_COMP_CNT: 0
	.section	.text._ZN5aiter20topk_softplus_kernelIf6__halfDv1_fLb0ELi1EEEvPKT_PKT0_PfPimiiif,"axG",@progbits,_ZN5aiter20topk_softplus_kernelIf6__halfDv1_fLb0ELi1EEEvPKT_PKT0_PfPimiiif,comdat
	.protected	_ZN5aiter20topk_softplus_kernelIf6__halfDv1_fLb0ELi1EEEvPKT_PKT0_PfPimiiif ; -- Begin function _ZN5aiter20topk_softplus_kernelIf6__halfDv1_fLb0ELi1EEEvPKT_PKT0_PfPimiiif
	.globl	_ZN5aiter20topk_softplus_kernelIf6__halfDv1_fLb0ELi1EEEvPKT_PKT0_PfPimiiif
	.p2align	8
	.type	_ZN5aiter20topk_softplus_kernelIf6__halfDv1_fLb0ELi1EEEvPKT_PKT0_PfPimiiif,@function
_ZN5aiter20topk_softplus_kernelIf6__halfDv1_fLb0ELi1EEEvPKT_PKT0_PfPimiiif: ; @_ZN5aiter20topk_softplus_kernelIf6__halfDv1_fLb0ELi1EEEvPKT_PKT0_PfPimiiif
; %bb.0:
	s_clause 0x1
	s_load_b64 s[12:13], s[0:1], 0x28
	s_load_b256 s[4:11], s[0:1], 0x0
	v_lshl_add_u32 v3, v0, 2, 0
	s_waitcnt lgkmcnt(0)
	s_mul_i32 s16, s15, s12
	v_cmp_gt_i32_e64 s2, s12, v0
	s_ashr_i32 s17, s16, 31
	s_delay_alu instid0(SALU_CYCLE_1) | instskip(NEXT) | instid1(SALU_CYCLE_1)
	s_lshl_b64 s[16:17], s[16:17], 2
	s_add_u32 s3, s4, s16
	s_addc_u32 s4, s5, s17
	s_and_saveexec_b32 s5, s2
	s_cbranch_execz .LBB48_5
; %bb.1:
	s_load_b32 s16, s[0:1], 0x44
	s_cmp_lg_u64 s[6:7], 0
	v_lshl_add_u32 v4, v0, 2, 0
	v_mov_b32_e32 v1, v0
	s_cselect_b32 s14, -1, 0
	s_mov_b32 s17, 0
	s_waitcnt lgkmcnt(0)
	s_and_b32 s16, s16, 0xffff
	s_delay_alu instid0(SALU_CYCLE_1)
	s_lshl_b32 s18, s16, 2
	s_set_inst_prefetch_distance 0x1
	s_branch .LBB48_3
	.p2align	6
.LBB48_2:                               ;   in Loop: Header=BB48_3 Depth=1
	v_add_nc_u32_e32 v1, s16, v1
	ds_store_b32 v4, v5
	v_add_nc_u32_e32 v4, s18, v4
	v_cmp_le_i32_e32 vcc_lo, s12, v1
	s_or_b32 s17, vcc_lo, s17
	s_delay_alu instid0(SALU_CYCLE_1)
	s_and_not1_b32 exec_lo, exec_lo, s17
	s_cbranch_execz .LBB48_5
.LBB48_3:                               ; =>This Inner Loop Header: Depth=1
	v_ashrrev_i32_e32 v2, 31, v1
	s_delay_alu instid0(VALU_DEP_1) | instskip(NEXT) | instid1(VALU_DEP_1)
	v_lshlrev_b64 v[5:6], 2, v[1:2]
	v_add_co_u32 v5, vcc_lo, s3, v5
	s_delay_alu instid0(VALU_DEP_2) | instskip(SKIP_3) | instid1(VALU_DEP_1)
	v_add_co_ci_u32_e32 v6, vcc_lo, s4, v6, vcc_lo
	global_load_b32 v5, v[5:6], off
	s_waitcnt vmcnt(0)
	v_mul_f32_e32 v6, 0xbfb8aa3b, v5
	v_cmp_gt_f32_e32 vcc_lo, 0xc2fc0000, v6
	v_cndmask_b32_e64 v6, 0, 0x42800000, vcc_lo
	s_delay_alu instid0(VALU_DEP_1) | instskip(NEXT) | instid1(VALU_DEP_1)
	v_fmac_f32_e32 v6, 0xbfb8aa3b, v5
	v_exp_f32_e32 v5, v6
	v_cndmask_b32_e64 v6, 1.0, 0x1f800000, vcc_lo
	s_and_not1_b32 vcc_lo, exec_lo, s14
	s_waitcnt_depctr 0xfff
	v_fma_f32 v5, v5, v6, 1.0
	s_delay_alu instid0(VALU_DEP_1)
	v_rcp_f32_e32 v5, v5
	s_cbranch_vccnz .LBB48_2
; %bb.4:                                ;   in Loop: Header=BB48_3 Depth=1
	v_lshlrev_b64 v[6:7], 1, v[1:2]
	s_delay_alu instid0(VALU_DEP_1) | instskip(NEXT) | instid1(VALU_DEP_2)
	v_add_co_u32 v6, vcc_lo, s6, v6
	v_add_co_ci_u32_e32 v7, vcc_lo, s7, v7, vcc_lo
	global_load_u16 v2, v[6:7], off
	s_waitcnt vmcnt(0)
	v_cvt_f32_f16_e32 v2, v2
	s_delay_alu instid0(VALU_DEP_1)
	v_add_f32_e32 v5, v5, v2
	s_branch .LBB48_2
.LBB48_5:
	s_set_inst_prefetch_distance 0x2
	s_or_b32 exec_lo, exec_lo, s5
	v_add_nc_u32_e32 v1, s12, v0
	s_mov_b32 s5, exec_lo
	s_delay_alu instid0(VALU_DEP_1)
	v_cmpx_gt_i32_e64 s12, v1
	s_cbranch_execz .LBB48_10
; %bb.6:
	s_load_b32 s16, s[0:1], 0x44
	s_cmp_lg_u64 s[6:7], 0
	v_lshl_add_u32 v4, v1, 2, 0
	s_cselect_b32 s14, -1, 0
	s_mov_b32 s17, 0
	s_waitcnt lgkmcnt(0)
	s_and_b32 s16, s16, 0xffff
	s_delay_alu instid0(SALU_CYCLE_1)
	s_lshl_b32 s18, s16, 2
	s_set_inst_prefetch_distance 0x1
	s_branch .LBB48_8
	.p2align	6
.LBB48_7:                               ;   in Loop: Header=BB48_8 Depth=1
	v_add_nc_u32_e32 v1, s16, v1
	v_add_nc_u32_e32 v4, s18, v4
	s_delay_alu instid0(VALU_DEP_2) | instskip(SKIP_1) | instid1(SALU_CYCLE_1)
	v_cmp_le_i32_e32 vcc_lo, s12, v1
	s_or_b32 s17, vcc_lo, s17
	s_and_not1_b32 exec_lo, exec_lo, s17
	s_cbranch_execz .LBB48_10
.LBB48_8:                               ; =>This Inner Loop Header: Depth=1
	v_ashrrev_i32_e32 v2, 31, v1
	s_delay_alu instid0(VALU_DEP_1) | instskip(NEXT) | instid1(VALU_DEP_1)
	v_lshlrev_b64 v[5:6], 2, v[1:2]
	v_add_co_u32 v5, vcc_lo, s3, v5
	s_delay_alu instid0(VALU_DEP_2) | instskip(SKIP_3) | instid1(VALU_DEP_1)
	v_add_co_ci_u32_e32 v6, vcc_lo, s4, v6, vcc_lo
	global_load_b32 v5, v[5:6], off
	s_waitcnt vmcnt(0)
	v_mul_f32_e32 v6, 0xbfb8aa3b, v5
	v_cmp_gt_f32_e32 vcc_lo, 0xc2fc0000, v6
	v_cndmask_b32_e64 v6, 0, 0x42800000, vcc_lo
	s_delay_alu instid0(VALU_DEP_1) | instskip(NEXT) | instid1(VALU_DEP_1)
	v_fmac_f32_e32 v6, 0xbfb8aa3b, v5
	v_exp_f32_e32 v5, v6
	v_cndmask_b32_e64 v6, 1.0, 0x1f800000, vcc_lo
	s_and_not1_b32 vcc_lo, exec_lo, s14
	s_waitcnt_depctr 0xfff
	v_fma_f32 v5, v5, v6, 1.0
	s_delay_alu instid0(VALU_DEP_1)
	v_rcp_f32_e32 v5, v5
	ds_store_b32 v4, v5
	s_cbranch_vccnz .LBB48_7
; %bb.9:                                ;   in Loop: Header=BB48_8 Depth=1
	v_lshlrev_b64 v[6:7], 1, v[1:2]
	s_delay_alu instid0(VALU_DEP_1) | instskip(NEXT) | instid1(VALU_DEP_2)
	v_add_co_u32 v6, vcc_lo, s6, v6
	v_add_co_ci_u32_e32 v7, vcc_lo, s7, v7, vcc_lo
	global_load_u16 v2, v[6:7], off
	s_waitcnt vmcnt(0)
	v_cvt_f32_f16_e32 v2, v2
	s_delay_alu instid0(VALU_DEP_1)
	v_add_f32_e32 v2, v5, v2
	ds_store_b32 v4, v2
	s_branch .LBB48_7
.LBB48_10:
	s_set_inst_prefetch_distance 0x2
	s_or_b32 exec_lo, exec_lo, s5
	s_cmp_lt_i32 s13, 1
	s_waitcnt lgkmcnt(0)
	s_barrier
	buffer_gl0_inv
	s_cbranch_scc1 .LBB48_19
; %bb.11:
	s_add_u32 s4, s0, 56
	s_addc_u32 s5, s1, 0
	v_dual_mov_b32 v4, 0 :: v_dual_mov_b32 v1, 0
	v_dual_mov_b32 v5, 0xff800000 :: v_dual_mov_b32 v2, 0
	s_cmp_lg_u64 s[6:7], 0
	s_mov_b32 s14, 0
	s_cselect_b32 s3, -1, 0
	s_mov_b32 s18, 0x76543210
	s_branch .LBB48_13
.LBB48_12:                              ;   in Loop: Header=BB48_13 Depth=1
	v_cmp_eq_u32_e32 vcc_lo, s14, v0
	s_delay_alu instid0(VALU_DEP_2)
	s_lshl_b32 s17, s16, 2
	s_add_i32 s14, s14, 1
	s_add_i32 s17, s17, 0
	s_cmp_eq_u32 s14, s13
	v_cndmask_b32_e64 v1, v1, s16, vcc_lo
	v_mov_b32_e32 v6, s17
	v_cndmask_b32_e32 v2, v2, v8, vcc_lo
	ds_store_b32 v6, v5
	s_cbranch_scc1 .LBB48_20
.LBB48_13:                              ; =>This Loop Header: Depth=1
                                        ;     Child Loop BB48_15 Depth 2
	v_dual_mov_b32 v6, s14 :: v_dual_mov_b32 v7, 0xff800000
	s_and_saveexec_b32 s16, s2
	s_cbranch_execz .LBB48_17
; %bb.14:                               ;   in Loop: Header=BB48_13 Depth=1
	s_load_b32 s17, s[4:5], 0xc
	v_dual_mov_b32 v6, s14 :: v_dual_mov_b32 v7, 0xff800000
	v_dual_mov_b32 v8, v3 :: v_dual_mov_b32 v9, v0
	s_mov_b32 s19, 0
	s_waitcnt lgkmcnt(0)
	s_and_b32 s17, s17, 0xffff
	s_delay_alu instid0(SALU_CYCLE_1)
	s_lshl_b32 s20, s17, 2
.LBB48_15:                              ;   Parent Loop BB48_13 Depth=1
                                        ; =>  This Inner Loop Header: Depth=2
	ds_load_b32 v10, v8
	v_add_nc_u32_e32 v8, s20, v8
	s_waitcnt lgkmcnt(0)
	v_cmp_gt_f32_e32 vcc_lo, v10, v7
	v_dual_cndmask_b32 v7, v7, v10 :: v_dual_cndmask_b32 v6, v6, v9
	v_add_nc_u32_e32 v9, s17, v9
	s_delay_alu instid0(VALU_DEP_1) | instskip(SKIP_1) | instid1(SALU_CYCLE_1)
	v_cmp_le_i32_e32 vcc_lo, s12, v9
	s_or_b32 s19, vcc_lo, s19
	s_and_not1_b32 exec_lo, exec_lo, s19
	s_cbranch_execnz .LBB48_15
; %bb.16:                               ;   in Loop: Header=BB48_13 Depth=1
	s_or_b32 exec_lo, exec_lo, s19
.LBB48_17:                              ;   in Loop: Header=BB48_13 Depth=1
	s_delay_alu instid0(SALU_CYCLE_1)
	s_or_b32 exec_lo, exec_lo, s16
	;;#ASMSTART
	v_max_f32 v8, v7, v7 quad_perm:[1,0,3,2] row_mask:0xf bank_mask:0xf bound_ctrl:1
	;;#ASMEND
	;;#ASMSTART
	v_max_f32 v9, v8, v8 quad_perm:[2,3,0,1] row_mask:0xf bank_mask:0xf bound_ctrl:1
	;;#ASMEND
	;;#ASMSTART
	v_max_f32 v8, v9, v9 row_half_mirror row_mask:0xf bank_mask:0xf bound_ctrl:1
	;;#ASMEND
	;;#ASMSTART
	v_max_f32 v9, v8, v8 row_mirror row_mask:0xf bank_mask:0xf bound_ctrl:1
	;;#ASMEND
	v_permlanex16_b32 v8, v9, s18, 0xfedcba98 op_sel:[1,1]
	s_delay_alu instid0(VALU_DEP_1) | instskip(NEXT) | instid1(VALU_DEP_1)
	v_dual_max_f32 v9, v9, v9 :: v_dual_max_f32 v8, v8, v8
	v_max_f32_e32 v8, v9, v8
	s_delay_alu instid0(VALU_DEP_1)
	v_cmp_eq_f32_e32 vcc_lo, v7, v8
	s_ctz_i32_b32 s16, vcc_lo
	s_cmp_lg_u32 vcc_lo, 0
	s_cselect_b32 s16, s16, 0
	s_and_b32 vcc_lo, exec_lo, s3
	v_readlane_b32 s16, v6, s16
	s_cbranch_vccz .LBB48_12
; %bb.18:                               ;   in Loop: Header=BB48_13 Depth=1
	s_delay_alu instid0(VALU_DEP_1) | instskip(NEXT) | instid1(SALU_CYCLE_1)
	s_ashr_i32 s17, s16, 31
	s_lshl_b64 s[20:21], s[16:17], 1
	s_delay_alu instid0(SALU_CYCLE_1) | instskip(SKIP_4) | instid1(VALU_DEP_1)
	s_add_u32 s20, s6, s20
	s_addc_u32 s21, s7, s21
	global_load_u16 v6, v4, s[20:21]
	s_waitcnt vmcnt(0)
	v_cvt_f32_f16_e32 v6, v6
	v_sub_f32_e32 v8, v8, v6
	s_branch .LBB48_12
.LBB48_19:
	v_dual_mov_b32 v2, 0 :: v_dual_mov_b32 v1, 0
.LBB48_20:
	s_mov_b32 s2, exec_lo
	v_cmpx_gt_i32_e64 s13, v0
	s_cbranch_execz .LBB48_23
; %bb.21:
	s_clause 0x2
	s_load_b32 s4, s[0:1], 0x34
	s_load_b64 s[2:3], s[0:1], 0x20
	s_load_b32 s0, s[0:1], 0x44
	s_ashr_i32 s1, s15, 31
	s_waitcnt lgkmcnt(0)
	v_mul_f32_e32 v2, s4, v2
	s_mul_i32 s3, s15, s3
	s_mul_hi_u32 s4, s15, s2
	s_mul_i32 s5, s1, s2
	s_add_i32 s3, s4, s3
	s_mul_i32 s1, s15, s2
	s_and_b32 s2, s0, 0xffff
	s_add_i32 s3, s3, s5
	s_mov_b32 s4, 0
	.p2align	6
.LBB48_22:                              ; =>This Inner Loop Header: Depth=1
	v_ashrrev_i32_e32 v4, 31, v0
	v_add_co_u32 v3, vcc_lo, s1, v0
	v_add_nc_u32_e32 v0, s2, v0
	s_delay_alu instid0(VALU_DEP_3) | instskip(NEXT) | instid1(VALU_DEP_2)
	v_add_co_ci_u32_e32 v4, vcc_lo, s3, v4, vcc_lo
	v_cmp_le_i32_e32 vcc_lo, s13, v0
	s_delay_alu instid0(VALU_DEP_2) | instskip(SKIP_1) | instid1(VALU_DEP_1)
	v_lshlrev_b64 v[3:4], 2, v[3:4]
	s_or_b32 s4, vcc_lo, s4
	v_add_co_u32 v5, s0, s8, v3
	s_delay_alu instid0(VALU_DEP_1) | instskip(SKIP_1) | instid1(VALU_DEP_1)
	v_add_co_ci_u32_e64 v6, s0, s9, v4, s0
	v_add_co_u32 v3, s0, s10, v3
	v_add_co_ci_u32_e64 v4, s0, s11, v4, s0
	global_store_b32 v[5:6], v2, off
	global_store_b32 v[3:4], v1, off
	s_and_not1_b32 exec_lo, exec_lo, s4
	s_cbranch_execnz .LBB48_22
.LBB48_23:
	s_nop 0
	s_sendmsg sendmsg(MSG_DEALLOC_VGPRS)
	s_endpgm
	.section	.rodata,"a",@progbits
	.p2align	6, 0x0
	.amdhsa_kernel _ZN5aiter20topk_softplus_kernelIf6__halfDv1_fLb0ELi1EEEvPKT_PKT0_PfPimiiif
		.amdhsa_group_segment_fixed_size 0
		.amdhsa_private_segment_fixed_size 0
		.amdhsa_kernarg_size 312
		.amdhsa_user_sgpr_count 15
		.amdhsa_user_sgpr_dispatch_ptr 0
		.amdhsa_user_sgpr_queue_ptr 0
		.amdhsa_user_sgpr_kernarg_segment_ptr 1
		.amdhsa_user_sgpr_dispatch_id 0
		.amdhsa_user_sgpr_private_segment_size 0
		.amdhsa_wavefront_size32 1
		.amdhsa_uses_dynamic_stack 0
		.amdhsa_enable_private_segment 0
		.amdhsa_system_sgpr_workgroup_id_x 1
		.amdhsa_system_sgpr_workgroup_id_y 0
		.amdhsa_system_sgpr_workgroup_id_z 0
		.amdhsa_system_sgpr_workgroup_info 0
		.amdhsa_system_vgpr_workitem_id 0
		.amdhsa_next_free_vgpr 11
		.amdhsa_next_free_sgpr 22
		.amdhsa_reserve_vcc 1
		.amdhsa_float_round_mode_32 0
		.amdhsa_float_round_mode_16_64 0
		.amdhsa_float_denorm_mode_32 3
		.amdhsa_float_denorm_mode_16_64 3
		.amdhsa_dx10_clamp 1
		.amdhsa_ieee_mode 1
		.amdhsa_fp16_overflow 0
		.amdhsa_workgroup_processor_mode 1
		.amdhsa_memory_ordered 1
		.amdhsa_forward_progress 0
		.amdhsa_shared_vgpr_count 0
		.amdhsa_exception_fp_ieee_invalid_op 0
		.amdhsa_exception_fp_denorm_src 0
		.amdhsa_exception_fp_ieee_div_zero 0
		.amdhsa_exception_fp_ieee_overflow 0
		.amdhsa_exception_fp_ieee_underflow 0
		.amdhsa_exception_fp_ieee_inexact 0
		.amdhsa_exception_int_div_zero 0
	.end_amdhsa_kernel
	.section	.text._ZN5aiter20topk_softplus_kernelIf6__halfDv1_fLb0ELi1EEEvPKT_PKT0_PfPimiiif,"axG",@progbits,_ZN5aiter20topk_softplus_kernelIf6__halfDv1_fLb0ELi1EEEvPKT_PKT0_PfPimiiif,comdat
.Lfunc_end48:
	.size	_ZN5aiter20topk_softplus_kernelIf6__halfDv1_fLb0ELi1EEEvPKT_PKT0_PfPimiiif, .Lfunc_end48-_ZN5aiter20topk_softplus_kernelIf6__halfDv1_fLb0ELi1EEEvPKT_PKT0_PfPimiiif
                                        ; -- End function
	.section	.AMDGPU.csdata,"",@progbits
; Kernel info:
; codeLenInByte = 1340
; NumSgprs: 24
; NumVgprs: 11
; ScratchSize: 0
; MemoryBound: 0
; FloatMode: 240
; IeeeMode: 1
; LDSByteSize: 0 bytes/workgroup (compile time only)
; SGPRBlocks: 2
; VGPRBlocks: 1
; NumSGPRsForWavesPerEU: 24
; NumVGPRsForWavesPerEU: 11
; Occupancy: 16
; WaveLimiterHint : 0
; COMPUTE_PGM_RSRC2:SCRATCH_EN: 0
; COMPUTE_PGM_RSRC2:USER_SGPR: 15
; COMPUTE_PGM_RSRC2:TRAP_HANDLER: 0
; COMPUTE_PGM_RSRC2:TGID_X_EN: 1
; COMPUTE_PGM_RSRC2:TGID_Y_EN: 0
; COMPUTE_PGM_RSRC2:TGID_Z_EN: 0
; COMPUTE_PGM_RSRC2:TIDIG_COMP_CNT: 0
	.section	.text._ZN5aiter20topk_softplus_kernelIf6__halfDv4_fLb1ELi2EEEvPKT_PKT0_PfPimiiif,"axG",@progbits,_ZN5aiter20topk_softplus_kernelIf6__halfDv4_fLb1ELi2EEEvPKT_PKT0_PfPimiiif,comdat
	.protected	_ZN5aiter20topk_softplus_kernelIf6__halfDv4_fLb1ELi2EEEvPKT_PKT0_PfPimiiif ; -- Begin function _ZN5aiter20topk_softplus_kernelIf6__halfDv4_fLb1ELi2EEEvPKT_PKT0_PfPimiiif
	.globl	_ZN5aiter20topk_softplus_kernelIf6__halfDv4_fLb1ELi2EEEvPKT_PKT0_PfPimiiif
	.p2align	8
	.type	_ZN5aiter20topk_softplus_kernelIf6__halfDv4_fLb1ELi2EEEvPKT_PKT0_PfPimiiif,@function
_ZN5aiter20topk_softplus_kernelIf6__halfDv4_fLb1ELi2EEEvPKT_PKT0_PfPimiiif: ; @_ZN5aiter20topk_softplus_kernelIf6__halfDv4_fLb1ELi2EEEvPKT_PKT0_PfPimiiif
; %bb.0:
	s_clause 0x1
	s_load_b64 s[12:13], s[0:1], 0x28
	s_load_b256 s[4:11], s[0:1], 0x0
	s_waitcnt lgkmcnt(0)
	s_ashr_i32 s2, s12, 31
	s_mul_i32 s16, s15, s12
	s_lshr_b32 s2, s2, 30
	s_ashr_i32 s17, s16, 31
	s_add_i32 s2, s12, s2
	s_delay_alu instid0(SALU_CYCLE_1) | instskip(NEXT) | instid1(SALU_CYCLE_1)
	s_ashr_i32 s14, s2, 2
	v_cmp_gt_i32_e64 s2, s14, v0
	s_delay_alu instid0(VALU_DEP_1)
	s_and_saveexec_b32 s18, s2
	s_cbranch_execz .LBB49_3
; %bb.1:
	s_load_b32 s3, s[0:1], 0x44
	v_dual_mov_b32 v4, v0 :: v_dual_lshlrev_b32 v1, 4, v0
	s_lshl_b64 s[20:21], s[16:17], 2
	s_delay_alu instid0(VALU_DEP_1)
	v_add_nc_u32_e32 v3, 0, v1
	s_waitcnt lgkmcnt(0)
	s_and_b32 s19, s3, 0xffff
	s_add_u32 s3, s4, s20
	s_addc_u32 s20, s5, s21
	v_add_co_u32 v1, s3, s3, v1
	s_delay_alu instid0(VALU_DEP_1)
	v_add_co_ci_u32_e64 v2, null, s20, 0, s3
	s_mov_b32 s20, 0
	s_lshl_b32 s21, s19, 4
.LBB49_2:                               ; =>This Inner Loop Header: Depth=1
	global_load_b128 v[5:8], v[1:2], off
	v_add_nc_u32_e32 v4, s19, v4
	v_add_co_u32 v1, vcc_lo, v1, s21
	v_add_co_ci_u32_e32 v2, vcc_lo, 0, v2, vcc_lo
	s_delay_alu instid0(VALU_DEP_3) | instskip(NEXT) | instid1(VALU_DEP_1)
	v_cmp_le_i32_e64 s3, s14, v4
	s_or_b32 s20, s3, s20
	s_waitcnt vmcnt(0)
	ds_store_b128 v3, v[5:8]
	v_add_nc_u32_e32 v3, s21, v3
	s_and_not1_b32 exec_lo, exec_lo, s20
	s_cbranch_execnz .LBB49_2
.LBB49_3:
	s_or_b32 exec_lo, exec_lo, s18
	v_lshl_add_u32 v1, s14, 2, v0
	v_lshlrev_b32_e32 v3, 2, v0
	s_mov_b32 s3, exec_lo
	s_delay_alu instid0(VALU_DEP_2)
	v_cmpx_gt_i32_e64 s12, v1
	s_cbranch_execz .LBB49_6
; %bb.4:
	s_load_b32 s18, s[0:1], 0x44
	s_lshl_b64 s[16:17], s[16:17], 2
	v_lshlrev_b32_e32 v2, 2, v0
	s_add_u32 s4, s4, s16
	s_addc_u32 s5, s5, s17
	s_lshl_b32 s16, s14, 4
	s_mov_b32 s17, 0
	v_add3_u32 v4, 0, s16, v2
	s_waitcnt lgkmcnt(0)
	s_and_b32 s16, s18, 0xffff
	s_delay_alu instid0(SALU_CYCLE_1)
	s_lshl_b32 s18, s16, 2
.LBB49_5:                               ; =>This Inner Loop Header: Depth=1
	v_ashrrev_i32_e32 v2, 31, v1
	s_delay_alu instid0(VALU_DEP_1) | instskip(SKIP_1) | instid1(VALU_DEP_2)
	v_lshlrev_b64 v[5:6], 2, v[1:2]
	v_add_nc_u32_e32 v1, s16, v1
	v_add_co_u32 v5, vcc_lo, s4, v5
	s_delay_alu instid0(VALU_DEP_3) | instskip(NEXT) | instid1(VALU_DEP_3)
	v_add_co_ci_u32_e32 v6, vcc_lo, s5, v6, vcc_lo
	v_cmp_le_i32_e32 vcc_lo, s12, v1
	global_load_b32 v2, v[5:6], off
	s_or_b32 s17, vcc_lo, s17
	s_waitcnt vmcnt(0)
	ds_store_b32 v4, v2
	v_add_nc_u32_e32 v4, s18, v4
	s_and_not1_b32 exec_lo, exec_lo, s17
	s_cbranch_execnz .LBB49_5
.LBB49_6:
	s_or_b32 exec_lo, exec_lo, s3
	v_cmp_gt_i32_e32 vcc_lo, s12, v0
	v_mov_b32_e32 v2, 0xff800000
	s_waitcnt lgkmcnt(0)
	s_barrier
	buffer_gl0_inv
	s_and_saveexec_b32 s4, vcc_lo
	s_cbranch_execz .LBB49_10
; %bb.7:
	s_load_b32 s3, s[0:1], 0x44
	v_lshl_add_u32 v1, v0, 2, 0
	v_mov_b32_e32 v2, 0xff800000
	v_mov_b32_e32 v4, v0
	s_mov_b32 s5, 0
	s_waitcnt lgkmcnt(0)
	s_and_b32 s16, s3, 0xffff
	s_delay_alu instid0(SALU_CYCLE_1)
	s_lshl_b32 s17, s16, 2
.LBB49_8:                               ; =>This Inner Loop Header: Depth=1
	ds_load_b32 v5, v1
	v_add_nc_u32_e32 v4, s16, v4
	v_dual_max_f32 v2, v2, v2 :: v_dual_add_nc_u32 v1, s17, v1
	s_waitcnt lgkmcnt(0)
	v_max_f32_e32 v5, v5, v5
	s_delay_alu instid0(VALU_DEP_3) | instskip(NEXT) | instid1(VALU_DEP_2)
	v_cmp_le_i32_e64 s3, s12, v4
	v_max_f32_e32 v2, v2, v5
	s_delay_alu instid0(VALU_DEP_2) | instskip(NEXT) | instid1(SALU_CYCLE_1)
	s_or_b32 s5, s3, s5
	s_and_not1_b32 exec_lo, exec_lo, s5
	s_cbranch_execnz .LBB49_8
; %bb.9:
	s_or_b32 exec_lo, exec_lo, s5
.LBB49_10:
	s_delay_alu instid0(SALU_CYCLE_1)
	s_or_b32 exec_lo, exec_lo, s4
	v_mov_b32_e32 v1, 0
	;;#ASMSTART
	v_max_f32 v4, v2, v2 quad_perm:[1,0,3,2] row_mask:0xf bank_mask:0xf bound_ctrl:1
	;;#ASMEND
	;;#ASMSTART
	v_max_f32 v2, v4, v4 quad_perm:[2,3,0,1] row_mask:0xf bank_mask:0xf bound_ctrl:1
	;;#ASMEND
	;;#ASMSTART
	v_max_f32 v4, v2, v2 row_half_mirror row_mask:0xf bank_mask:0xf bound_ctrl:1
	;;#ASMEND
	;;#ASMSTART
	v_max_f32 v2, v4, v4 row_mirror row_mask:0xf bank_mask:0xf bound_ctrl:1
	;;#ASMEND
	s_and_saveexec_b32 s4, vcc_lo
	s_cbranch_execz .LBB49_14
; %bb.11:
	s_load_b32 s3, s[0:1], 0x44
	s_mov_b32 s5, 0x76543210
	v_lshl_add_u32 v4, v0, 2, 0
	v_permlanex16_b32 v1, v2, s5, 0xfedcba98 op_sel:[1,1]
	v_mov_b32_e32 v5, v0
	s_mov_b32 s5, 0
	s_delay_alu instid0(VALU_DEP_2) | instskip(NEXT) | instid1(VALU_DEP_1)
	v_dual_max_f32 v2, v2, v2 :: v_dual_max_f32 v1, v1, v1
	v_dual_max_f32 v2, v2, v1 :: v_dual_mov_b32 v1, 0
	s_waitcnt lgkmcnt(0)
	s_and_b32 s16, s3, 0xffff
	s_delay_alu instid0(SALU_CYCLE_1)
	s_lshl_b32 s17, s16, 2
	.p2align	6
.LBB49_12:                              ; =>This Inner Loop Header: Depth=1
	ds_load_b32 v6, v4
	s_waitcnt lgkmcnt(0)
	v_dual_sub_f32 v6, v6, v2 :: v_dual_add_nc_u32 v5, s16, v5
	s_delay_alu instid0(VALU_DEP_1) | instskip(NEXT) | instid1(VALU_DEP_1)
	v_mul_f32_e32 v7, 0x3fb8aa3b, v6
	v_cmp_gt_f32_e64 s3, 0xc2fc0000, v7
	s_delay_alu instid0(VALU_DEP_1) | instskip(NEXT) | instid1(VALU_DEP_1)
	v_cndmask_b32_e64 v7, 0, 0x42800000, s3
	v_fmac_f32_e32 v7, 0x3fb8aa3b, v6
	s_delay_alu instid0(VALU_DEP_1) | instskip(SKIP_2) | instid1(VALU_DEP_1)
	v_exp_f32_e32 v6, v7
	v_cndmask_b32_e64 v7, 1.0, 0x1f800000, s3
	v_cmp_le_i32_e64 s3, s12, v5
	s_or_b32 s5, s3, s5
	s_waitcnt_depctr 0xfff
	v_mul_f32_e32 v8, v6, v7
	v_fmac_f32_e32 v1, v6, v7
	ds_store_b32 v4, v8
	v_add_nc_u32_e32 v4, s17, v4
	s_and_not1_b32 exec_lo, exec_lo, s5
	s_cbranch_execnz .LBB49_12
; %bb.13:
	s_or_b32 exec_lo, exec_lo, s5
.LBB49_14:
	s_delay_alu instid0(SALU_CYCLE_1) | instskip(SKIP_1) | instid1(VALU_DEP_1)
	s_or_b32 exec_lo, exec_lo, s4
	v_mov_b32_dpp v2, v1 quad_perm:[1,0,3,2] row_mask:0xf bank_mask:0xf
	v_add_f32_e32 v1, v1, v2
	s_delay_alu instid0(VALU_DEP_1) | instskip(NEXT) | instid1(VALU_DEP_1)
	v_mov_b32_dpp v2, v1 quad_perm:[2,3,0,1] row_mask:0xf bank_mask:0xf
	v_add_f32_e32 v1, v1, v2
	s_delay_alu instid0(VALU_DEP_1) | instskip(NEXT) | instid1(VALU_DEP_1)
	v_mov_b32_dpp v2, v1 row_xmask:7 row_mask:0xf bank_mask:0xf
	v_add_f32_e32 v1, v1, v2
	s_delay_alu instid0(VALU_DEP_1)
	v_mov_b32_dpp v2, v1 row_xmask:15 row_mask:0xf bank_mask:0xf
	s_and_saveexec_b32 s3, vcc_lo
	s_cbranch_execz .LBB49_19
; %bb.15:
	s_delay_alu instid0(VALU_DEP_1)
	v_add_f32_e32 v1, v1, v2
	s_load_b32 s5, s[0:1], 0x44
	s_mov_b32 s4, 0x76543210
	s_cmp_lg_u64 s[6:7], 0
	v_lshl_add_u32 v5, v0, 2, 0
	v_permlanex16_b32 v2, v1, s4, 0xfedcba98 op_sel:[1,1]
	s_cselect_b32 s4, -1, 0
	s_mov_b32 s16, 0
	s_delay_alu instid0(VALU_DEP_1) | instskip(NEXT) | instid1(VALU_DEP_1)
	v_add_f32_e32 v1, v1, v2
	v_rcp_f32_e32 v4, v1
	v_mov_b32_e32 v1, v0
	s_waitcnt lgkmcnt(0)
	s_and_b32 s5, s5, 0xffff
	s_delay_alu instid0(SALU_CYCLE_1)
	s_lshl_b32 s17, s5, 2
	s_set_inst_prefetch_distance 0x1
	s_branch .LBB49_17
	.p2align	6
.LBB49_16:                              ;   in Loop: Header=BB49_17 Depth=1
	v_add_nc_u32_e32 v1, s5, v1
	v_add_nc_u32_e32 v5, s17, v5
	s_delay_alu instid0(VALU_DEP_2) | instskip(SKIP_1) | instid1(SALU_CYCLE_1)
	v_cmp_le_i32_e32 vcc_lo, s12, v1
	s_or_b32 s16, vcc_lo, s16
	s_and_not1_b32 exec_lo, exec_lo, s16
	s_cbranch_execz .LBB49_19
.LBB49_17:                              ; =>This Inner Loop Header: Depth=1
	ds_load_b32 v2, v5
	s_and_not1_b32 vcc_lo, exec_lo, s4
	s_waitcnt lgkmcnt(0)
	v_mul_f32_e32 v6, v4, v2
	ds_store_b32 v5, v6
	s_cbranch_vccnz .LBB49_16
; %bb.18:                               ;   in Loop: Header=BB49_17 Depth=1
	v_ashrrev_i32_e32 v2, 31, v1
	s_delay_alu instid0(VALU_DEP_1) | instskip(NEXT) | instid1(VALU_DEP_1)
	v_lshlrev_b64 v[7:8], 1, v[1:2]
	v_add_co_u32 v7, vcc_lo, s6, v7
	s_delay_alu instid0(VALU_DEP_2) | instskip(SKIP_3) | instid1(VALU_DEP_1)
	v_add_co_ci_u32_e32 v8, vcc_lo, s7, v8, vcc_lo
	global_load_u16 v2, v[7:8], off
	s_waitcnt vmcnt(0)
	v_cvt_f32_f16_e32 v2, v2
	v_add_f32_e32 v2, v6, v2
	ds_store_b32 v5, v2
	s_branch .LBB49_16
.LBB49_19:
	s_set_inst_prefetch_distance 0x2
	s_or_b32 exec_lo, exec_lo, s3
	v_mov_b32_e32 v2, 0
	s_cmp_lt_i32 s13, 1
	s_waitcnt lgkmcnt(0)
	s_barrier
	buffer_gl0_inv
	s_cbranch_scc1 .LBB49_28
; %bb.20:
	s_add_u32 s4, s0, 56
	s_addc_u32 s5, s1, 0
	v_lshl_add_u32 v5, v0, 4, 0
	v_dual_mov_b32 v2, 0 :: v_dual_mov_b32 v7, 0xff800000
	v_dual_mov_b32 v6, 0 :: v_dual_mov_b32 v1, 0
	v_mov_b32_e32 v4, 0
	s_cmp_lg_u64 s[6:7], 0
	s_mov_b32 s18, 0
	s_cselect_b32 s12, -1, 0
	s_mov_b32 s19, 0x76543210
	s_branch .LBB49_22
.LBB49_21:                              ;   in Loop: Header=BB49_22 Depth=1
	v_cmp_eq_u32_e32 vcc_lo, s18, v0
	s_delay_alu instid0(VALU_DEP_2) | instskip(NEXT) | instid1(VALU_DEP_2)
	s_lshl_b32 s3, s16, 2
	v_add_f32_e32 v4, v4, v10
	s_add_i32 s3, s3, 0
	s_add_i32 s18, s18, 1
	v_cndmask_b32_e64 v1, v1, s16, vcc_lo
	v_mov_b32_e32 v8, s3
	v_cndmask_b32_e32 v2, v2, v10, vcc_lo
	s_cmp_eq_u32 s18, s13
	ds_store_b32 v8, v7
	s_cbranch_scc1 .LBB49_29
.LBB49_22:                              ; =>This Loop Header: Depth=1
                                        ;     Child Loop BB49_24 Depth 2
	v_dual_mov_b32 v8, s18 :: v_dual_mov_b32 v9, 0xff800000
	s_and_saveexec_b32 s16, s2
	s_cbranch_execz .LBB49_26
; %bb.23:                               ;   in Loop: Header=BB49_22 Depth=1
	s_load_b32 s3, s[4:5], 0xc
	v_dual_mov_b32 v8, s18 :: v_dual_mov_b32 v9, 0xff800000
	v_dual_mov_b32 v10, v5 :: v_dual_mov_b32 v11, v3
	v_mov_b32_e32 v12, v0
	s_mov_b32 s21, 0
	s_waitcnt lgkmcnt(0)
	s_and_b32 s17, s3, 0xffff
	s_delay_alu instid0(SALU_CYCLE_1)
	s_lshl_b32 s20, s17, 2
	s_lshl_b32 s22, s17, 4
	.p2align	6
.LBB49_24:                              ;   Parent Loop BB49_22 Depth=1
                                        ; =>  This Inner Loop Header: Depth=2
	ds_load_b128 v[13:16], v10
	v_add_nc_u32_e32 v12, s17, v12
	s_delay_alu instid0(VALU_DEP_1) | instskip(NEXT) | instid1(VALU_DEP_1)
	v_cmp_le_i32_e64 s3, s14, v12
	s_or_b32 s21, s3, s21
	s_waitcnt lgkmcnt(0)
	v_cmp_gt_f32_e32 vcc_lo, v13, v9
	v_dual_cndmask_b32 v9, v9, v13 :: v_dual_cndmask_b32 v8, v8, v11
	s_delay_alu instid0(VALU_DEP_1) | instskip(SKIP_2) | instid1(VALU_DEP_1)
	v_cmp_gt_f32_e32 vcc_lo, v14, v9
	v_dual_cndmask_b32 v9, v9, v14 :: v_dual_add_nc_u32 v14, 2, v11
	v_add_nc_u32_e32 v13, 1, v11
	v_cndmask_b32_e32 v8, v8, v13, vcc_lo
	s_delay_alu instid0(VALU_DEP_3) | instskip(SKIP_1) | instid1(VALU_DEP_3)
	v_cmp_gt_f32_e32 vcc_lo, v15, v9
	v_add_nc_u32_e32 v13, 3, v11
	v_dual_cndmask_b32 v9, v9, v15 :: v_dual_cndmask_b32 v8, v8, v14
	s_delay_alu instid0(VALU_DEP_1) | instskip(SKIP_1) | instid1(VALU_DEP_3)
	v_cmp_gt_f32_e32 vcc_lo, v16, v9
	v_add_nc_u32_e32 v10, s22, v10
	v_dual_cndmask_b32 v8, v8, v13 :: v_dual_add_nc_u32 v11, s20, v11
	v_cndmask_b32_e32 v9, v9, v16, vcc_lo
	s_and_not1_b32 exec_lo, exec_lo, s21
	s_cbranch_execnz .LBB49_24
; %bb.25:                               ;   in Loop: Header=BB49_22 Depth=1
	s_or_b32 exec_lo, exec_lo, s21
.LBB49_26:                              ;   in Loop: Header=BB49_22 Depth=1
	s_delay_alu instid0(SALU_CYCLE_1)
	s_or_b32 exec_lo, exec_lo, s16
	;;#ASMSTART
	v_max_f32 v10, v9, v9 quad_perm:[1,0,3,2] row_mask:0xf bank_mask:0xf bound_ctrl:1
	;;#ASMEND
	;;#ASMSTART
	v_max_f32 v11, v10, v10 quad_perm:[2,3,0,1] row_mask:0xf bank_mask:0xf bound_ctrl:1
	;;#ASMEND
	;;#ASMSTART
	v_max_f32 v10, v11, v11 row_half_mirror row_mask:0xf bank_mask:0xf bound_ctrl:1
	;;#ASMEND
	;;#ASMSTART
	v_max_f32 v11, v10, v10 row_mirror row_mask:0xf bank_mask:0xf bound_ctrl:1
	;;#ASMEND
	v_permlanex16_b32 v10, v11, s19, 0xfedcba98 op_sel:[1,1]
	s_delay_alu instid0(VALU_DEP_1) | instskip(NEXT) | instid1(VALU_DEP_1)
	v_dual_max_f32 v11, v11, v11 :: v_dual_max_f32 v10, v10, v10
	v_max_f32_e32 v10, v11, v10
	s_delay_alu instid0(VALU_DEP_1)
	v_cmp_eq_f32_e32 vcc_lo, v9, v10
	s_ctz_i32_b32 s3, vcc_lo
	s_cmp_lg_u32 vcc_lo, 0
	s_cselect_b32 s3, s3, 0
	s_and_b32 vcc_lo, exec_lo, s12
	v_readlane_b32 s16, v8, s3
	s_cbranch_vccz .LBB49_21
; %bb.27:                               ;   in Loop: Header=BB49_22 Depth=1
	s_delay_alu instid0(VALU_DEP_1) | instskip(NEXT) | instid1(SALU_CYCLE_1)
	s_ashr_i32 s17, s16, 31
	s_lshl_b64 s[20:21], s[16:17], 1
	s_delay_alu instid0(SALU_CYCLE_1) | instskip(SKIP_4) | instid1(VALU_DEP_1)
	s_add_u32 s20, s6, s20
	s_addc_u32 s21, s7, s21
	global_load_u16 v8, v6, s[20:21]
	s_waitcnt vmcnt(0)
	v_cvt_f32_f16_e32 v8, v8
	v_sub_f32_e32 v10, v10, v8
	s_branch .LBB49_21
.LBB49_28:
	v_dual_mov_b32 v1, 0 :: v_dual_mov_b32 v4, 0
.LBB49_29:
	s_mov_b32 s2, exec_lo
	v_cmpx_gt_i32_e64 s13, v0
	s_cbranch_execz .LBB49_32
; %bb.30:
	s_clause 0x1
	s_load_b32 s2, s[0:1], 0x34
	s_load_b32 s3, s[0:1], 0x44
	v_max_f32_e32 v3, v4, v4
	s_load_b64 s[0:1], s[0:1], 0x20
	s_ashr_i32 s4, s15, 31
	s_delay_alu instid0(VALU_DEP_1) | instskip(SKIP_1) | instid1(VALU_DEP_1)
	v_max_f32_e32 v3, 0x1e3ce508, v3
	s_waitcnt lgkmcnt(0)
	v_div_scale_f32 v4, null, v3, v3, s2
	v_div_scale_f32 v7, vcc_lo, s2, v3, s2
	s_mul_i32 s1, s15, s1
	s_delay_alu instid0(VALU_DEP_2) | instskip(SKIP_4) | instid1(VALU_DEP_1)
	v_rcp_f32_e32 v5, v4
	s_mul_i32 s4, s4, s0
	s_and_b32 s3, s3, 0xffff
	s_waitcnt_depctr 0xfff
	v_fma_f32 v6, -v4, v5, 1.0
	v_fmac_f32_e32 v5, v6, v5
	s_delay_alu instid0(VALU_DEP_1) | instskip(NEXT) | instid1(VALU_DEP_1)
	v_mul_f32_e32 v6, v7, v5
	v_fma_f32 v8, -v4, v6, v7
	s_delay_alu instid0(VALU_DEP_1) | instskip(NEXT) | instid1(VALU_DEP_1)
	v_fmac_f32_e32 v6, v8, v5
	v_fma_f32 v4, -v4, v6, v7
	s_delay_alu instid0(VALU_DEP_1) | instskip(NEXT) | instid1(VALU_DEP_1)
	v_div_fmas_f32 v4, v4, v5, v6
	v_div_fixup_f32 v3, v4, v3, s2
	s_mul_hi_u32 s2, s15, s0
	s_delay_alu instid0(SALU_CYCLE_1) | instskip(SKIP_1) | instid1(VALU_DEP_1)
	s_add_i32 s1, s2, s1
	s_mul_i32 s2, s15, s0
	v_mul_f32_e32 v2, v2, v3
	s_add_i32 s1, s1, s4
	s_mov_b32 s4, 0
	.p2align	6
.LBB49_31:                              ; =>This Inner Loop Header: Depth=1
	v_ashrrev_i32_e32 v4, 31, v0
	v_add_co_u32 v3, vcc_lo, s2, v0
	v_add_nc_u32_e32 v0, s3, v0
	s_delay_alu instid0(VALU_DEP_3) | instskip(NEXT) | instid1(VALU_DEP_2)
	v_add_co_ci_u32_e32 v4, vcc_lo, s1, v4, vcc_lo
	v_cmp_le_i32_e32 vcc_lo, s13, v0
	s_delay_alu instid0(VALU_DEP_2) | instskip(SKIP_1) | instid1(VALU_DEP_1)
	v_lshlrev_b64 v[3:4], 2, v[3:4]
	s_or_b32 s4, vcc_lo, s4
	v_add_co_u32 v5, s0, s8, v3
	s_delay_alu instid0(VALU_DEP_1) | instskip(SKIP_1) | instid1(VALU_DEP_1)
	v_add_co_ci_u32_e64 v6, s0, s9, v4, s0
	v_add_co_u32 v3, s0, s10, v3
	v_add_co_ci_u32_e64 v4, s0, s11, v4, s0
	global_store_b32 v[5:6], v2, off
	global_store_b32 v[3:4], v1, off
	s_and_not1_b32 exec_lo, exec_lo, s4
	s_cbranch_execnz .LBB49_31
.LBB49_32:
	s_nop 0
	s_sendmsg sendmsg(MSG_DEALLOC_VGPRS)
	s_endpgm
	.section	.rodata,"a",@progbits
	.p2align	6, 0x0
	.amdhsa_kernel _ZN5aiter20topk_softplus_kernelIf6__halfDv4_fLb1ELi2EEEvPKT_PKT0_PfPimiiif
		.amdhsa_group_segment_fixed_size 0
		.amdhsa_private_segment_fixed_size 0
		.amdhsa_kernarg_size 312
		.amdhsa_user_sgpr_count 15
		.amdhsa_user_sgpr_dispatch_ptr 0
		.amdhsa_user_sgpr_queue_ptr 0
		.amdhsa_user_sgpr_kernarg_segment_ptr 1
		.amdhsa_user_sgpr_dispatch_id 0
		.amdhsa_user_sgpr_private_segment_size 0
		.amdhsa_wavefront_size32 1
		.amdhsa_uses_dynamic_stack 0
		.amdhsa_enable_private_segment 0
		.amdhsa_system_sgpr_workgroup_id_x 1
		.amdhsa_system_sgpr_workgroup_id_y 0
		.amdhsa_system_sgpr_workgroup_id_z 0
		.amdhsa_system_sgpr_workgroup_info 0
		.amdhsa_system_vgpr_workitem_id 0
		.amdhsa_next_free_vgpr 17
		.amdhsa_next_free_sgpr 23
		.amdhsa_reserve_vcc 1
		.amdhsa_float_round_mode_32 0
		.amdhsa_float_round_mode_16_64 0
		.amdhsa_float_denorm_mode_32 3
		.amdhsa_float_denorm_mode_16_64 3
		.amdhsa_dx10_clamp 1
		.amdhsa_ieee_mode 1
		.amdhsa_fp16_overflow 0
		.amdhsa_workgroup_processor_mode 1
		.amdhsa_memory_ordered 1
		.amdhsa_forward_progress 0
		.amdhsa_shared_vgpr_count 0
		.amdhsa_exception_fp_ieee_invalid_op 0
		.amdhsa_exception_fp_denorm_src 0
		.amdhsa_exception_fp_ieee_div_zero 0
		.amdhsa_exception_fp_ieee_overflow 0
		.amdhsa_exception_fp_ieee_underflow 0
		.amdhsa_exception_fp_ieee_inexact 0
		.amdhsa_exception_int_div_zero 0
	.end_amdhsa_kernel
	.section	.text._ZN5aiter20topk_softplus_kernelIf6__halfDv4_fLb1ELi2EEEvPKT_PKT0_PfPimiiif,"axG",@progbits,_ZN5aiter20topk_softplus_kernelIf6__halfDv4_fLb1ELi2EEEvPKT_PKT0_PfPimiiif,comdat
.Lfunc_end49:
	.size	_ZN5aiter20topk_softplus_kernelIf6__halfDv4_fLb1ELi2EEEvPKT_PKT0_PfPimiiif, .Lfunc_end49-_ZN5aiter20topk_softplus_kernelIf6__halfDv4_fLb1ELi2EEEvPKT_PKT0_PfPimiiif
                                        ; -- End function
	.section	.AMDGPU.csdata,"",@progbits
; Kernel info:
; codeLenInByte = 2044
; NumSgprs: 25
; NumVgprs: 17
; ScratchSize: 0
; MemoryBound: 0
; FloatMode: 240
; IeeeMode: 1
; LDSByteSize: 0 bytes/workgroup (compile time only)
; SGPRBlocks: 3
; VGPRBlocks: 2
; NumSGPRsForWavesPerEU: 25
; NumVGPRsForWavesPerEU: 17
; Occupancy: 16
; WaveLimiterHint : 0
; COMPUTE_PGM_RSRC2:SCRATCH_EN: 0
; COMPUTE_PGM_RSRC2:USER_SGPR: 15
; COMPUTE_PGM_RSRC2:TRAP_HANDLER: 0
; COMPUTE_PGM_RSRC2:TGID_X_EN: 1
; COMPUTE_PGM_RSRC2:TGID_Y_EN: 0
; COMPUTE_PGM_RSRC2:TGID_Z_EN: 0
; COMPUTE_PGM_RSRC2:TIDIG_COMP_CNT: 0
	.section	.text._ZN5aiter20topk_softplus_kernelIf6__halfDv4_fLb0ELi2EEEvPKT_PKT0_PfPimiiif,"axG",@progbits,_ZN5aiter20topk_softplus_kernelIf6__halfDv4_fLb0ELi2EEEvPKT_PKT0_PfPimiiif,comdat
	.protected	_ZN5aiter20topk_softplus_kernelIf6__halfDv4_fLb0ELi2EEEvPKT_PKT0_PfPimiiif ; -- Begin function _ZN5aiter20topk_softplus_kernelIf6__halfDv4_fLb0ELi2EEEvPKT_PKT0_PfPimiiif
	.globl	_ZN5aiter20topk_softplus_kernelIf6__halfDv4_fLb0ELi2EEEvPKT_PKT0_PfPimiiif
	.p2align	8
	.type	_ZN5aiter20topk_softplus_kernelIf6__halfDv4_fLb0ELi2EEEvPKT_PKT0_PfPimiiif,@function
_ZN5aiter20topk_softplus_kernelIf6__halfDv4_fLb0ELi2EEEvPKT_PKT0_PfPimiiif: ; @_ZN5aiter20topk_softplus_kernelIf6__halfDv4_fLb0ELi2EEEvPKT_PKT0_PfPimiiif
; %bb.0:
	s_clause 0x1
	s_load_b64 s[12:13], s[0:1], 0x28
	s_load_b256 s[4:11], s[0:1], 0x0
	s_waitcnt lgkmcnt(0)
	s_ashr_i32 s2, s12, 31
	s_mul_i32 s16, s15, s12
	s_lshr_b32 s2, s2, 30
	s_ashr_i32 s17, s16, 31
	s_add_i32 s2, s12, s2
	s_delay_alu instid0(SALU_CYCLE_1) | instskip(NEXT) | instid1(SALU_CYCLE_1)
	s_ashr_i32 s14, s2, 2
	v_cmp_gt_i32_e64 s2, s14, v0
	s_delay_alu instid0(VALU_DEP_1)
	s_and_saveexec_b32 s18, s2
	s_cbranch_execz .LBB50_3
; %bb.1:
	s_load_b32 s3, s[0:1], 0x44
	v_dual_mov_b32 v4, v0 :: v_dual_lshlrev_b32 v1, 4, v0
	s_lshl_b64 s[20:21], s[16:17], 2
	s_delay_alu instid0(VALU_DEP_1)
	v_add_nc_u32_e32 v3, 0, v1
	s_waitcnt lgkmcnt(0)
	s_and_b32 s19, s3, 0xffff
	s_add_u32 s3, s4, s20
	s_addc_u32 s20, s5, s21
	v_add_co_u32 v1, s3, s3, v1
	s_delay_alu instid0(VALU_DEP_1)
	v_add_co_ci_u32_e64 v2, null, s20, 0, s3
	s_mov_b32 s20, 0
	s_lshl_b32 s21, s19, 4
.LBB50_2:                               ; =>This Inner Loop Header: Depth=1
	global_load_b128 v[5:8], v[1:2], off
	v_add_nc_u32_e32 v4, s19, v4
	v_add_co_u32 v1, vcc_lo, v1, s21
	v_add_co_ci_u32_e32 v2, vcc_lo, 0, v2, vcc_lo
	s_delay_alu instid0(VALU_DEP_3) | instskip(NEXT) | instid1(VALU_DEP_1)
	v_cmp_le_i32_e64 s3, s14, v4
	s_or_b32 s20, s3, s20
	s_waitcnt vmcnt(0)
	ds_store_b128 v3, v[5:8]
	v_add_nc_u32_e32 v3, s21, v3
	s_and_not1_b32 exec_lo, exec_lo, s20
	s_cbranch_execnz .LBB50_2
.LBB50_3:
	s_or_b32 exec_lo, exec_lo, s18
	v_lshl_add_u32 v1, s14, 2, v0
	v_lshlrev_b32_e32 v3, 2, v0
	s_mov_b32 s3, exec_lo
	s_delay_alu instid0(VALU_DEP_2)
	v_cmpx_gt_i32_e64 s12, v1
	s_cbranch_execz .LBB50_6
; %bb.4:
	s_load_b32 s18, s[0:1], 0x44
	s_lshl_b64 s[16:17], s[16:17], 2
	v_lshlrev_b32_e32 v2, 2, v0
	s_add_u32 s4, s4, s16
	s_addc_u32 s5, s5, s17
	s_lshl_b32 s16, s14, 4
	s_mov_b32 s17, 0
	v_add3_u32 v4, 0, s16, v2
	s_waitcnt lgkmcnt(0)
	s_and_b32 s16, s18, 0xffff
	s_delay_alu instid0(SALU_CYCLE_1)
	s_lshl_b32 s18, s16, 2
.LBB50_5:                               ; =>This Inner Loop Header: Depth=1
	v_ashrrev_i32_e32 v2, 31, v1
	s_delay_alu instid0(VALU_DEP_1) | instskip(SKIP_1) | instid1(VALU_DEP_2)
	v_lshlrev_b64 v[5:6], 2, v[1:2]
	v_add_nc_u32_e32 v1, s16, v1
	v_add_co_u32 v5, vcc_lo, s4, v5
	s_delay_alu instid0(VALU_DEP_3) | instskip(NEXT) | instid1(VALU_DEP_3)
	v_add_co_ci_u32_e32 v6, vcc_lo, s5, v6, vcc_lo
	v_cmp_le_i32_e32 vcc_lo, s12, v1
	global_load_b32 v2, v[5:6], off
	s_or_b32 s17, vcc_lo, s17
	s_waitcnt vmcnt(0)
	ds_store_b32 v4, v2
	v_add_nc_u32_e32 v4, s18, v4
	s_and_not1_b32 exec_lo, exec_lo, s17
	s_cbranch_execnz .LBB50_5
.LBB50_6:
	s_or_b32 exec_lo, exec_lo, s3
	v_cmp_gt_i32_e32 vcc_lo, s12, v0
	v_mov_b32_e32 v2, 0xff800000
	s_waitcnt lgkmcnt(0)
	s_barrier
	buffer_gl0_inv
	s_and_saveexec_b32 s4, vcc_lo
	s_cbranch_execz .LBB50_10
; %bb.7:
	s_load_b32 s3, s[0:1], 0x44
	v_lshl_add_u32 v1, v0, 2, 0
	v_mov_b32_e32 v2, 0xff800000
	v_mov_b32_e32 v4, v0
	s_mov_b32 s5, 0
	s_waitcnt lgkmcnt(0)
	s_and_b32 s16, s3, 0xffff
	s_delay_alu instid0(SALU_CYCLE_1)
	s_lshl_b32 s17, s16, 2
.LBB50_8:                               ; =>This Inner Loop Header: Depth=1
	ds_load_b32 v5, v1
	v_add_nc_u32_e32 v4, s16, v4
	v_dual_max_f32 v2, v2, v2 :: v_dual_add_nc_u32 v1, s17, v1
	s_waitcnt lgkmcnt(0)
	v_max_f32_e32 v5, v5, v5
	s_delay_alu instid0(VALU_DEP_3) | instskip(NEXT) | instid1(VALU_DEP_2)
	v_cmp_le_i32_e64 s3, s12, v4
	v_max_f32_e32 v2, v2, v5
	s_delay_alu instid0(VALU_DEP_2) | instskip(NEXT) | instid1(SALU_CYCLE_1)
	s_or_b32 s5, s3, s5
	s_and_not1_b32 exec_lo, exec_lo, s5
	s_cbranch_execnz .LBB50_8
; %bb.9:
	s_or_b32 exec_lo, exec_lo, s5
.LBB50_10:
	s_delay_alu instid0(SALU_CYCLE_1)
	s_or_b32 exec_lo, exec_lo, s4
	v_mov_b32_e32 v1, 0
	;;#ASMSTART
	v_max_f32 v4, v2, v2 quad_perm:[1,0,3,2] row_mask:0xf bank_mask:0xf bound_ctrl:1
	;;#ASMEND
	;;#ASMSTART
	v_max_f32 v2, v4, v4 quad_perm:[2,3,0,1] row_mask:0xf bank_mask:0xf bound_ctrl:1
	;;#ASMEND
	;;#ASMSTART
	v_max_f32 v4, v2, v2 row_half_mirror row_mask:0xf bank_mask:0xf bound_ctrl:1
	;;#ASMEND
	;;#ASMSTART
	v_max_f32 v2, v4, v4 row_mirror row_mask:0xf bank_mask:0xf bound_ctrl:1
	;;#ASMEND
	s_and_saveexec_b32 s4, vcc_lo
	s_cbranch_execz .LBB50_14
; %bb.11:
	s_load_b32 s3, s[0:1], 0x44
	s_mov_b32 s5, 0x76543210
	v_lshl_add_u32 v4, v0, 2, 0
	v_permlanex16_b32 v1, v2, s5, 0xfedcba98 op_sel:[1,1]
	v_mov_b32_e32 v5, v0
	s_mov_b32 s5, 0
	s_delay_alu instid0(VALU_DEP_2) | instskip(NEXT) | instid1(VALU_DEP_1)
	v_dual_max_f32 v2, v2, v2 :: v_dual_max_f32 v1, v1, v1
	v_dual_max_f32 v2, v2, v1 :: v_dual_mov_b32 v1, 0
	s_waitcnt lgkmcnt(0)
	s_and_b32 s16, s3, 0xffff
	s_delay_alu instid0(SALU_CYCLE_1)
	s_lshl_b32 s17, s16, 2
	.p2align	6
.LBB50_12:                              ; =>This Inner Loop Header: Depth=1
	ds_load_b32 v6, v4
	s_waitcnt lgkmcnt(0)
	v_dual_sub_f32 v6, v6, v2 :: v_dual_add_nc_u32 v5, s16, v5
	s_delay_alu instid0(VALU_DEP_1) | instskip(NEXT) | instid1(VALU_DEP_1)
	v_mul_f32_e32 v7, 0x3fb8aa3b, v6
	v_cmp_gt_f32_e64 s3, 0xc2fc0000, v7
	s_delay_alu instid0(VALU_DEP_1) | instskip(NEXT) | instid1(VALU_DEP_1)
	v_cndmask_b32_e64 v7, 0, 0x42800000, s3
	v_fmac_f32_e32 v7, 0x3fb8aa3b, v6
	s_delay_alu instid0(VALU_DEP_1) | instskip(SKIP_2) | instid1(VALU_DEP_1)
	v_exp_f32_e32 v6, v7
	v_cndmask_b32_e64 v7, 1.0, 0x1f800000, s3
	v_cmp_le_i32_e64 s3, s12, v5
	s_or_b32 s5, s3, s5
	s_waitcnt_depctr 0xfff
	v_mul_f32_e32 v8, v6, v7
	v_fmac_f32_e32 v1, v6, v7
	ds_store_b32 v4, v8
	v_add_nc_u32_e32 v4, s17, v4
	s_and_not1_b32 exec_lo, exec_lo, s5
	s_cbranch_execnz .LBB50_12
; %bb.13:
	s_or_b32 exec_lo, exec_lo, s5
.LBB50_14:
	s_delay_alu instid0(SALU_CYCLE_1) | instskip(SKIP_1) | instid1(VALU_DEP_1)
	s_or_b32 exec_lo, exec_lo, s4
	v_mov_b32_dpp v2, v1 quad_perm:[1,0,3,2] row_mask:0xf bank_mask:0xf
	v_add_f32_e32 v1, v1, v2
	s_delay_alu instid0(VALU_DEP_1) | instskip(NEXT) | instid1(VALU_DEP_1)
	v_mov_b32_dpp v2, v1 quad_perm:[2,3,0,1] row_mask:0xf bank_mask:0xf
	v_add_f32_e32 v1, v1, v2
	s_delay_alu instid0(VALU_DEP_1) | instskip(NEXT) | instid1(VALU_DEP_1)
	v_mov_b32_dpp v2, v1 row_xmask:7 row_mask:0xf bank_mask:0xf
	v_add_f32_e32 v1, v1, v2
	s_delay_alu instid0(VALU_DEP_1)
	v_mov_b32_dpp v2, v1 row_xmask:15 row_mask:0xf bank_mask:0xf
	s_and_saveexec_b32 s3, vcc_lo
	s_cbranch_execz .LBB50_19
; %bb.15:
	s_delay_alu instid0(VALU_DEP_1)
	v_add_f32_e32 v1, v1, v2
	s_load_b32 s5, s[0:1], 0x44
	s_mov_b32 s4, 0x76543210
	s_cmp_lg_u64 s[6:7], 0
	v_lshl_add_u32 v5, v0, 2, 0
	v_permlanex16_b32 v2, v1, s4, 0xfedcba98 op_sel:[1,1]
	s_cselect_b32 s4, -1, 0
	s_mov_b32 s16, 0
	s_delay_alu instid0(VALU_DEP_1) | instskip(NEXT) | instid1(VALU_DEP_1)
	v_add_f32_e32 v1, v1, v2
	v_rcp_f32_e32 v4, v1
	v_mov_b32_e32 v1, v0
	s_waitcnt lgkmcnt(0)
	s_and_b32 s5, s5, 0xffff
	s_delay_alu instid0(SALU_CYCLE_1)
	s_lshl_b32 s17, s5, 2
	s_set_inst_prefetch_distance 0x1
	s_branch .LBB50_17
	.p2align	6
.LBB50_16:                              ;   in Loop: Header=BB50_17 Depth=1
	v_add_nc_u32_e32 v1, s5, v1
	v_add_nc_u32_e32 v5, s17, v5
	s_delay_alu instid0(VALU_DEP_2) | instskip(SKIP_1) | instid1(SALU_CYCLE_1)
	v_cmp_le_i32_e32 vcc_lo, s12, v1
	s_or_b32 s16, vcc_lo, s16
	s_and_not1_b32 exec_lo, exec_lo, s16
	s_cbranch_execz .LBB50_19
.LBB50_17:                              ; =>This Inner Loop Header: Depth=1
	ds_load_b32 v2, v5
	s_and_not1_b32 vcc_lo, exec_lo, s4
	s_waitcnt lgkmcnt(0)
	v_mul_f32_e32 v6, v4, v2
	ds_store_b32 v5, v6
	s_cbranch_vccnz .LBB50_16
; %bb.18:                               ;   in Loop: Header=BB50_17 Depth=1
	v_ashrrev_i32_e32 v2, 31, v1
	s_delay_alu instid0(VALU_DEP_1) | instskip(NEXT) | instid1(VALU_DEP_1)
	v_lshlrev_b64 v[7:8], 1, v[1:2]
	v_add_co_u32 v7, vcc_lo, s6, v7
	s_delay_alu instid0(VALU_DEP_2) | instskip(SKIP_3) | instid1(VALU_DEP_1)
	v_add_co_ci_u32_e32 v8, vcc_lo, s7, v8, vcc_lo
	global_load_u16 v2, v[7:8], off
	s_waitcnt vmcnt(0)
	v_cvt_f32_f16_e32 v2, v2
	v_add_f32_e32 v2, v6, v2
	ds_store_b32 v5, v2
	s_branch .LBB50_16
.LBB50_19:
	s_set_inst_prefetch_distance 0x2
	s_or_b32 exec_lo, exec_lo, s3
	s_cmp_lt_i32 s13, 1
	s_waitcnt lgkmcnt(0)
	s_barrier
	buffer_gl0_inv
	s_cbranch_scc1 .LBB50_28
; %bb.20:
	s_add_u32 s4, s0, 56
	s_addc_u32 s5, s1, 0
	v_lshl_add_u32 v4, v0, 4, 0
	v_dual_mov_b32 v5, 0 :: v_dual_mov_b32 v6, 0xff800000
	v_dual_mov_b32 v1, 0 :: v_dual_mov_b32 v2, 0
	s_cmp_lg_u64 s[6:7], 0
	s_mov_b32 s18, 0
	s_cselect_b32 s12, -1, 0
	s_mov_b32 s19, 0x76543210
	s_branch .LBB50_22
.LBB50_21:                              ;   in Loop: Header=BB50_22 Depth=1
	v_cmp_eq_u32_e32 vcc_lo, s18, v0
	s_delay_alu instid0(VALU_DEP_2)
	s_lshl_b32 s3, s16, 2
	s_add_i32 s18, s18, 1
	s_add_i32 s3, s3, 0
	s_cmp_eq_u32 s18, s13
	v_cndmask_b32_e64 v1, v1, s16, vcc_lo
	v_dual_mov_b32 v7, s3 :: v_dual_cndmask_b32 v2, v2, v9
	ds_store_b32 v7, v6
	s_cbranch_scc1 .LBB50_29
.LBB50_22:                              ; =>This Loop Header: Depth=1
                                        ;     Child Loop BB50_24 Depth 2
	v_dual_mov_b32 v7, s18 :: v_dual_mov_b32 v8, 0xff800000
	s_and_saveexec_b32 s16, s2
	s_cbranch_execz .LBB50_26
; %bb.23:                               ;   in Loop: Header=BB50_22 Depth=1
	s_load_b32 s3, s[4:5], 0xc
	v_dual_mov_b32 v7, s18 :: v_dual_mov_b32 v8, 0xff800000
	v_dual_mov_b32 v9, v4 :: v_dual_mov_b32 v10, v3
	v_mov_b32_e32 v11, v0
	s_mov_b32 s21, 0
	s_waitcnt lgkmcnt(0)
	s_and_b32 s17, s3, 0xffff
	s_delay_alu instid0(SALU_CYCLE_1)
	s_lshl_b32 s20, s17, 2
	s_lshl_b32 s22, s17, 4
	.p2align	6
.LBB50_24:                              ;   Parent Loop BB50_22 Depth=1
                                        ; =>  This Inner Loop Header: Depth=2
	ds_load_b128 v[12:15], v9
	v_add_nc_u32_e32 v11, s17, v11
	s_delay_alu instid0(VALU_DEP_1) | instskip(NEXT) | instid1(VALU_DEP_1)
	v_cmp_le_i32_e64 s3, s14, v11
	s_or_b32 s21, s3, s21
	s_waitcnt lgkmcnt(0)
	v_cmp_gt_f32_e32 vcc_lo, v12, v8
	v_dual_cndmask_b32 v8, v8, v12 :: v_dual_cndmask_b32 v7, v7, v10
	s_delay_alu instid0(VALU_DEP_1) | instskip(SKIP_2) | instid1(VALU_DEP_1)
	v_cmp_gt_f32_e32 vcc_lo, v13, v8
	v_dual_cndmask_b32 v8, v8, v13 :: v_dual_add_nc_u32 v13, 2, v10
	v_add_nc_u32_e32 v12, 1, v10
	v_cndmask_b32_e32 v7, v7, v12, vcc_lo
	s_delay_alu instid0(VALU_DEP_3) | instskip(SKIP_1) | instid1(VALU_DEP_3)
	v_cmp_gt_f32_e32 vcc_lo, v14, v8
	v_add_nc_u32_e32 v12, 3, v10
	v_dual_cndmask_b32 v8, v8, v14 :: v_dual_cndmask_b32 v7, v7, v13
	s_delay_alu instid0(VALU_DEP_1) | instskip(SKIP_1) | instid1(VALU_DEP_3)
	v_cmp_gt_f32_e32 vcc_lo, v15, v8
	v_add_nc_u32_e32 v9, s22, v9
	v_dual_cndmask_b32 v7, v7, v12 :: v_dual_add_nc_u32 v10, s20, v10
	v_cndmask_b32_e32 v8, v8, v15, vcc_lo
	s_and_not1_b32 exec_lo, exec_lo, s21
	s_cbranch_execnz .LBB50_24
; %bb.25:                               ;   in Loop: Header=BB50_22 Depth=1
	s_or_b32 exec_lo, exec_lo, s21
.LBB50_26:                              ;   in Loop: Header=BB50_22 Depth=1
	s_delay_alu instid0(SALU_CYCLE_1)
	s_or_b32 exec_lo, exec_lo, s16
	;;#ASMSTART
	v_max_f32 v9, v8, v8 quad_perm:[1,0,3,2] row_mask:0xf bank_mask:0xf bound_ctrl:1
	;;#ASMEND
	;;#ASMSTART
	v_max_f32 v10, v9, v9 quad_perm:[2,3,0,1] row_mask:0xf bank_mask:0xf bound_ctrl:1
	;;#ASMEND
	;;#ASMSTART
	v_max_f32 v9, v10, v10 row_half_mirror row_mask:0xf bank_mask:0xf bound_ctrl:1
	;;#ASMEND
	;;#ASMSTART
	v_max_f32 v10, v9, v9 row_mirror row_mask:0xf bank_mask:0xf bound_ctrl:1
	;;#ASMEND
	v_permlanex16_b32 v9, v10, s19, 0xfedcba98 op_sel:[1,1]
	s_delay_alu instid0(VALU_DEP_1) | instskip(NEXT) | instid1(VALU_DEP_1)
	v_dual_max_f32 v10, v10, v10 :: v_dual_max_f32 v9, v9, v9
	v_max_f32_e32 v9, v10, v9
	s_delay_alu instid0(VALU_DEP_1)
	v_cmp_eq_f32_e32 vcc_lo, v8, v9
	s_ctz_i32_b32 s3, vcc_lo
	s_cmp_lg_u32 vcc_lo, 0
	s_cselect_b32 s3, s3, 0
	s_and_b32 vcc_lo, exec_lo, s12
	v_readlane_b32 s16, v7, s3
	s_cbranch_vccz .LBB50_21
; %bb.27:                               ;   in Loop: Header=BB50_22 Depth=1
	s_delay_alu instid0(VALU_DEP_1) | instskip(NEXT) | instid1(SALU_CYCLE_1)
	s_ashr_i32 s17, s16, 31
	s_lshl_b64 s[20:21], s[16:17], 1
	s_delay_alu instid0(SALU_CYCLE_1) | instskip(SKIP_4) | instid1(VALU_DEP_1)
	s_add_u32 s20, s6, s20
	s_addc_u32 s21, s7, s21
	global_load_u16 v7, v5, s[20:21]
	s_waitcnt vmcnt(0)
	v_cvt_f32_f16_e32 v7, v7
	v_sub_f32_e32 v9, v9, v7
	s_branch .LBB50_21
.LBB50_28:
	v_dual_mov_b32 v2, 0 :: v_dual_mov_b32 v1, 0
.LBB50_29:
	s_mov_b32 s2, exec_lo
	v_cmpx_gt_i32_e64 s13, v0
	s_cbranch_execz .LBB50_32
; %bb.30:
	s_clause 0x2
	s_load_b32 s4, s[0:1], 0x34
	s_load_b64 s[2:3], s[0:1], 0x20
	s_load_b32 s0, s[0:1], 0x44
	s_ashr_i32 s1, s15, 31
	s_waitcnt lgkmcnt(0)
	v_mul_f32_e32 v2, s4, v2
	s_mul_i32 s3, s15, s3
	s_mul_hi_u32 s4, s15, s2
	s_mul_i32 s5, s1, s2
	s_add_i32 s3, s4, s3
	s_mul_i32 s1, s15, s2
	s_and_b32 s2, s0, 0xffff
	s_add_i32 s3, s3, s5
	s_mov_b32 s4, 0
	.p2align	6
.LBB50_31:                              ; =>This Inner Loop Header: Depth=1
	v_ashrrev_i32_e32 v4, 31, v0
	v_add_co_u32 v3, vcc_lo, s1, v0
	v_add_nc_u32_e32 v0, s2, v0
	s_delay_alu instid0(VALU_DEP_3) | instskip(NEXT) | instid1(VALU_DEP_2)
	v_add_co_ci_u32_e32 v4, vcc_lo, s3, v4, vcc_lo
	v_cmp_le_i32_e32 vcc_lo, s13, v0
	s_delay_alu instid0(VALU_DEP_2) | instskip(SKIP_1) | instid1(VALU_DEP_1)
	v_lshlrev_b64 v[3:4], 2, v[3:4]
	s_or_b32 s4, vcc_lo, s4
	v_add_co_u32 v5, s0, s8, v3
	s_delay_alu instid0(VALU_DEP_1) | instskip(SKIP_1) | instid1(VALU_DEP_1)
	v_add_co_ci_u32_e64 v6, s0, s9, v4, s0
	v_add_co_u32 v3, s0, s10, v3
	v_add_co_ci_u32_e64 v4, s0, s11, v4, s0
	global_store_b32 v[5:6], v2, off
	global_store_b32 v[3:4], v1, off
	s_and_not1_b32 exec_lo, exec_lo, s4
	s_cbranch_execnz .LBB50_31
.LBB50_32:
	s_nop 0
	s_sendmsg sendmsg(MSG_DEALLOC_VGPRS)
	s_endpgm
	.section	.rodata,"a",@progbits
	.p2align	6, 0x0
	.amdhsa_kernel _ZN5aiter20topk_softplus_kernelIf6__halfDv4_fLb0ELi2EEEvPKT_PKT0_PfPimiiif
		.amdhsa_group_segment_fixed_size 0
		.amdhsa_private_segment_fixed_size 0
		.amdhsa_kernarg_size 312
		.amdhsa_user_sgpr_count 15
		.amdhsa_user_sgpr_dispatch_ptr 0
		.amdhsa_user_sgpr_queue_ptr 0
		.amdhsa_user_sgpr_kernarg_segment_ptr 1
		.amdhsa_user_sgpr_dispatch_id 0
		.amdhsa_user_sgpr_private_segment_size 0
		.amdhsa_wavefront_size32 1
		.amdhsa_uses_dynamic_stack 0
		.amdhsa_enable_private_segment 0
		.amdhsa_system_sgpr_workgroup_id_x 1
		.amdhsa_system_sgpr_workgroup_id_y 0
		.amdhsa_system_sgpr_workgroup_id_z 0
		.amdhsa_system_sgpr_workgroup_info 0
		.amdhsa_system_vgpr_workitem_id 0
		.amdhsa_next_free_vgpr 16
		.amdhsa_next_free_sgpr 23
		.amdhsa_reserve_vcc 1
		.amdhsa_float_round_mode_32 0
		.amdhsa_float_round_mode_16_64 0
		.amdhsa_float_denorm_mode_32 3
		.amdhsa_float_denorm_mode_16_64 3
		.amdhsa_dx10_clamp 1
		.amdhsa_ieee_mode 1
		.amdhsa_fp16_overflow 0
		.amdhsa_workgroup_processor_mode 1
		.amdhsa_memory_ordered 1
		.amdhsa_forward_progress 0
		.amdhsa_shared_vgpr_count 0
		.amdhsa_exception_fp_ieee_invalid_op 0
		.amdhsa_exception_fp_denorm_src 0
		.amdhsa_exception_fp_ieee_div_zero 0
		.amdhsa_exception_fp_ieee_overflow 0
		.amdhsa_exception_fp_ieee_underflow 0
		.amdhsa_exception_fp_ieee_inexact 0
		.amdhsa_exception_int_div_zero 0
	.end_amdhsa_kernel
	.section	.text._ZN5aiter20topk_softplus_kernelIf6__halfDv4_fLb0ELi2EEEvPKT_PKT0_PfPimiiif,"axG",@progbits,_ZN5aiter20topk_softplus_kernelIf6__halfDv4_fLb0ELi2EEEvPKT_PKT0_PfPimiiif,comdat
.Lfunc_end50:
	.size	_ZN5aiter20topk_softplus_kernelIf6__halfDv4_fLb0ELi2EEEvPKT_PKT0_PfPimiiif, .Lfunc_end50-_ZN5aiter20topk_softplus_kernelIf6__halfDv4_fLb0ELi2EEEvPKT_PKT0_PfPimiiif
                                        ; -- End function
	.section	.AMDGPU.csdata,"",@progbits
; Kernel info:
; codeLenInByte = 1920
; NumSgprs: 25
; NumVgprs: 16
; ScratchSize: 0
; MemoryBound: 0
; FloatMode: 240
; IeeeMode: 1
; LDSByteSize: 0 bytes/workgroup (compile time only)
; SGPRBlocks: 3
; VGPRBlocks: 1
; NumSGPRsForWavesPerEU: 25
; NumVGPRsForWavesPerEU: 16
; Occupancy: 16
; WaveLimiterHint : 0
; COMPUTE_PGM_RSRC2:SCRATCH_EN: 0
; COMPUTE_PGM_RSRC2:USER_SGPR: 15
; COMPUTE_PGM_RSRC2:TRAP_HANDLER: 0
; COMPUTE_PGM_RSRC2:TGID_X_EN: 1
; COMPUTE_PGM_RSRC2:TGID_Y_EN: 0
; COMPUTE_PGM_RSRC2:TGID_Z_EN: 0
; COMPUTE_PGM_RSRC2:TIDIG_COMP_CNT: 0
	.section	.text._ZN5aiter20topk_softplus_kernelIf6__halfDv2_fLb1ELi2EEEvPKT_PKT0_PfPimiiif,"axG",@progbits,_ZN5aiter20topk_softplus_kernelIf6__halfDv2_fLb1ELi2EEEvPKT_PKT0_PfPimiiif,comdat
	.protected	_ZN5aiter20topk_softplus_kernelIf6__halfDv2_fLb1ELi2EEEvPKT_PKT0_PfPimiiif ; -- Begin function _ZN5aiter20topk_softplus_kernelIf6__halfDv2_fLb1ELi2EEEvPKT_PKT0_PfPimiiif
	.globl	_ZN5aiter20topk_softplus_kernelIf6__halfDv2_fLb1ELi2EEEvPKT_PKT0_PfPimiiif
	.p2align	8
	.type	_ZN5aiter20topk_softplus_kernelIf6__halfDv2_fLb1ELi2EEEvPKT_PKT0_PfPimiiif,@function
_ZN5aiter20topk_softplus_kernelIf6__halfDv2_fLb1ELi2EEEvPKT_PKT0_PfPimiiif: ; @_ZN5aiter20topk_softplus_kernelIf6__halfDv2_fLb1ELi2EEEvPKT_PKT0_PfPimiiif
; %bb.0:
	s_clause 0x1
	s_load_b64 s[12:13], s[0:1], 0x28
	s_load_b256 s[4:11], s[0:1], 0x0
	s_waitcnt lgkmcnt(0)
	s_lshr_b32 s2, s12, 31
	s_mul_i32 s16, s15, s12
	s_add_i32 s2, s12, s2
	s_ashr_i32 s17, s16, 31
	s_ashr_i32 s14, s2, 1
	s_delay_alu instid0(SALU_CYCLE_1) | instskip(NEXT) | instid1(VALU_DEP_1)
	v_cmp_gt_i32_e64 s2, s14, v0
	s_and_saveexec_b32 s18, s2
	s_cbranch_execz .LBB51_3
; %bb.1:
	s_load_b32 s3, s[0:1], 0x44
	v_dual_mov_b32 v4, v0 :: v_dual_lshlrev_b32 v1, 3, v0
	s_lshl_b64 s[20:21], s[16:17], 2
	s_delay_alu instid0(VALU_DEP_1)
	v_add_nc_u32_e32 v3, 0, v1
	s_waitcnt lgkmcnt(0)
	s_and_b32 s19, s3, 0xffff
	s_add_u32 s3, s4, s20
	s_addc_u32 s20, s5, s21
	v_add_co_u32 v1, s3, s3, v1
	s_delay_alu instid0(VALU_DEP_1)
	v_add_co_ci_u32_e64 v2, null, s20, 0, s3
	s_mov_b32 s20, 0
	s_lshl_b32 s21, s19, 3
.LBB51_2:                               ; =>This Inner Loop Header: Depth=1
	global_load_b64 v[5:6], v[1:2], off
	v_add_nc_u32_e32 v4, s19, v4
	v_add_co_u32 v1, vcc_lo, v1, s21
	v_add_co_ci_u32_e32 v2, vcc_lo, 0, v2, vcc_lo
	s_delay_alu instid0(VALU_DEP_3) | instskip(NEXT) | instid1(VALU_DEP_1)
	v_cmp_le_i32_e64 s3, s14, v4
	s_or_b32 s20, s3, s20
	s_waitcnt vmcnt(0)
	ds_store_b64 v3, v[5:6]
	v_add_nc_u32_e32 v3, s21, v3
	s_and_not1_b32 exec_lo, exec_lo, s20
	s_cbranch_execnz .LBB51_2
.LBB51_3:
	s_or_b32 exec_lo, exec_lo, s18
	v_lshl_add_u32 v1, s14, 1, v0
	s_mov_b32 s3, exec_lo
	s_delay_alu instid0(VALU_DEP_1)
	v_cmpx_gt_i32_e64 s12, v1
	s_cbranch_execz .LBB51_6
; %bb.4:
	s_load_b32 s18, s[0:1], 0x44
	s_lshl_b64 s[16:17], s[16:17], 2
	v_lshlrev_b32_e32 v2, 2, v0
	s_add_u32 s4, s4, s16
	s_addc_u32 s5, s5, s17
	s_lshl_b32 s16, s14, 3
	s_mov_b32 s17, 0
	v_add3_u32 v3, 0, s16, v2
	s_waitcnt lgkmcnt(0)
	s_and_b32 s16, s18, 0xffff
	s_delay_alu instid0(SALU_CYCLE_1)
	s_lshl_b32 s18, s16, 2
.LBB51_5:                               ; =>This Inner Loop Header: Depth=1
	v_ashrrev_i32_e32 v2, 31, v1
	s_delay_alu instid0(VALU_DEP_1) | instskip(SKIP_1) | instid1(VALU_DEP_2)
	v_lshlrev_b64 v[4:5], 2, v[1:2]
	v_add_nc_u32_e32 v1, s16, v1
	v_add_co_u32 v4, vcc_lo, s4, v4
	s_delay_alu instid0(VALU_DEP_3) | instskip(NEXT) | instid1(VALU_DEP_3)
	v_add_co_ci_u32_e32 v5, vcc_lo, s5, v5, vcc_lo
	v_cmp_le_i32_e32 vcc_lo, s12, v1
	global_load_b32 v2, v[4:5], off
	s_or_b32 s17, vcc_lo, s17
	s_waitcnt vmcnt(0)
	ds_store_b32 v3, v2
	v_add_nc_u32_e32 v3, s18, v3
	s_and_not1_b32 exec_lo, exec_lo, s17
	s_cbranch_execnz .LBB51_5
.LBB51_6:
	s_or_b32 exec_lo, exec_lo, s3
	v_cmp_gt_i32_e32 vcc_lo, s12, v0
	v_mov_b32_e32 v2, 0xff800000
	s_waitcnt lgkmcnt(0)
	s_barrier
	buffer_gl0_inv
	s_and_saveexec_b32 s4, vcc_lo
	s_cbranch_execz .LBB51_10
; %bb.7:
	s_load_b32 s3, s[0:1], 0x44
	v_lshl_add_u32 v1, v0, 2, 0
	v_dual_mov_b32 v2, 0xff800000 :: v_dual_mov_b32 v3, v0
	s_mov_b32 s5, 0
	s_waitcnt lgkmcnt(0)
	s_and_b32 s16, s3, 0xffff
	s_delay_alu instid0(SALU_CYCLE_1)
	s_lshl_b32 s17, s16, 2
.LBB51_8:                               ; =>This Inner Loop Header: Depth=1
	ds_load_b32 v4, v1
	v_dual_max_f32 v2, v2, v2 :: v_dual_add_nc_u32 v3, s16, v3
	v_add_nc_u32_e32 v1, s17, v1
	s_delay_alu instid0(VALU_DEP_2) | instskip(NEXT) | instid1(VALU_DEP_1)
	v_cmp_le_i32_e64 s3, s12, v3
	s_or_b32 s5, s3, s5
	s_waitcnt lgkmcnt(0)
	v_max_f32_e32 v4, v4, v4
	s_delay_alu instid0(VALU_DEP_1)
	v_max_f32_e32 v2, v2, v4
	s_and_not1_b32 exec_lo, exec_lo, s5
	s_cbranch_execnz .LBB51_8
; %bb.9:
	s_or_b32 exec_lo, exec_lo, s5
.LBB51_10:
	s_delay_alu instid0(SALU_CYCLE_1)
	s_or_b32 exec_lo, exec_lo, s4
	v_mov_b32_e32 v1, 0
	;;#ASMSTART
	v_max_f32 v3, v2, v2 quad_perm:[1,0,3,2] row_mask:0xf bank_mask:0xf bound_ctrl:1
	;;#ASMEND
	;;#ASMSTART
	v_max_f32 v2, v3, v3 quad_perm:[2,3,0,1] row_mask:0xf bank_mask:0xf bound_ctrl:1
	;;#ASMEND
	;;#ASMSTART
	v_max_f32 v3, v2, v2 row_half_mirror row_mask:0xf bank_mask:0xf bound_ctrl:1
	;;#ASMEND
	;;#ASMSTART
	v_max_f32 v2, v3, v3 row_mirror row_mask:0xf bank_mask:0xf bound_ctrl:1
	;;#ASMEND
	s_and_saveexec_b32 s4, vcc_lo
	s_cbranch_execz .LBB51_14
; %bb.11:
	s_load_b32 s3, s[0:1], 0x44
	s_mov_b32 s5, 0x76543210
	v_lshl_add_u32 v3, v0, 2, 0
	v_permlanex16_b32 v1, v2, s5, 0xfedcba98 op_sel:[1,1]
	v_mov_b32_e32 v4, v0
	s_mov_b32 s5, 0
	s_delay_alu instid0(VALU_DEP_2) | instskip(NEXT) | instid1(VALU_DEP_1)
	v_dual_max_f32 v2, v2, v2 :: v_dual_max_f32 v1, v1, v1
	v_dual_max_f32 v2, v2, v1 :: v_dual_mov_b32 v1, 0
	s_waitcnt lgkmcnt(0)
	s_and_b32 s16, s3, 0xffff
	s_delay_alu instid0(SALU_CYCLE_1)
	s_lshl_b32 s17, s16, 2
	.p2align	6
.LBB51_12:                              ; =>This Inner Loop Header: Depth=1
	ds_load_b32 v5, v3
	s_waitcnt lgkmcnt(0)
	v_dual_sub_f32 v5, v5, v2 :: v_dual_add_nc_u32 v4, s16, v4
	s_delay_alu instid0(VALU_DEP_1) | instskip(NEXT) | instid1(VALU_DEP_1)
	v_mul_f32_e32 v6, 0x3fb8aa3b, v5
	v_cmp_gt_f32_e64 s3, 0xc2fc0000, v6
	s_delay_alu instid0(VALU_DEP_1) | instskip(NEXT) | instid1(VALU_DEP_1)
	v_cndmask_b32_e64 v6, 0, 0x42800000, s3
	v_fmac_f32_e32 v6, 0x3fb8aa3b, v5
	s_delay_alu instid0(VALU_DEP_1) | instskip(SKIP_2) | instid1(VALU_DEP_1)
	v_exp_f32_e32 v5, v6
	v_cndmask_b32_e64 v6, 1.0, 0x1f800000, s3
	v_cmp_le_i32_e64 s3, s12, v4
	s_or_b32 s5, s3, s5
	s_waitcnt_depctr 0xfff
	v_mul_f32_e32 v7, v5, v6
	v_fmac_f32_e32 v1, v5, v6
	ds_store_b32 v3, v7
	v_add_nc_u32_e32 v3, s17, v3
	s_and_not1_b32 exec_lo, exec_lo, s5
	s_cbranch_execnz .LBB51_12
; %bb.13:
	s_or_b32 exec_lo, exec_lo, s5
.LBB51_14:
	s_delay_alu instid0(SALU_CYCLE_1) | instskip(SKIP_1) | instid1(VALU_DEP_1)
	s_or_b32 exec_lo, exec_lo, s4
	v_mov_b32_dpp v2, v1 quad_perm:[1,0,3,2] row_mask:0xf bank_mask:0xf
	v_add_f32_e32 v1, v1, v2
	s_delay_alu instid0(VALU_DEP_1) | instskip(NEXT) | instid1(VALU_DEP_1)
	v_mov_b32_dpp v2, v1 quad_perm:[2,3,0,1] row_mask:0xf bank_mask:0xf
	v_add_f32_e32 v1, v1, v2
	s_delay_alu instid0(VALU_DEP_1) | instskip(NEXT) | instid1(VALU_DEP_1)
	v_mov_b32_dpp v2, v1 row_xmask:7 row_mask:0xf bank_mask:0xf
	v_add_f32_e32 v1, v1, v2
	s_delay_alu instid0(VALU_DEP_1)
	v_mov_b32_dpp v2, v1 row_xmask:15 row_mask:0xf bank_mask:0xf
	s_and_saveexec_b32 s3, vcc_lo
	s_cbranch_execz .LBB51_19
; %bb.15:
	s_delay_alu instid0(VALU_DEP_1)
	v_add_f32_e32 v1, v1, v2
	s_load_b32 s5, s[0:1], 0x44
	s_mov_b32 s4, 0x76543210
	s_cmp_lg_u64 s[6:7], 0
	v_lshl_add_u32 v4, v0, 2, 0
	v_permlanex16_b32 v2, v1, s4, 0xfedcba98 op_sel:[1,1]
	s_cselect_b32 s4, -1, 0
	s_mov_b32 s16, 0
	s_delay_alu instid0(VALU_DEP_1) | instskip(NEXT) | instid1(VALU_DEP_1)
	v_add_f32_e32 v1, v1, v2
	v_rcp_f32_e32 v3, v1
	v_mov_b32_e32 v1, v0
	s_waitcnt lgkmcnt(0)
	s_and_b32 s5, s5, 0xffff
	s_delay_alu instid0(SALU_CYCLE_1)
	s_lshl_b32 s17, s5, 2
	s_set_inst_prefetch_distance 0x1
	s_branch .LBB51_17
	.p2align	6
.LBB51_16:                              ;   in Loop: Header=BB51_17 Depth=1
	v_add_nc_u32_e32 v1, s5, v1
	v_add_nc_u32_e32 v4, s17, v4
	s_delay_alu instid0(VALU_DEP_2) | instskip(SKIP_1) | instid1(SALU_CYCLE_1)
	v_cmp_le_i32_e32 vcc_lo, s12, v1
	s_or_b32 s16, vcc_lo, s16
	s_and_not1_b32 exec_lo, exec_lo, s16
	s_cbranch_execz .LBB51_19
.LBB51_17:                              ; =>This Inner Loop Header: Depth=1
	ds_load_b32 v2, v4
	s_and_not1_b32 vcc_lo, exec_lo, s4
	s_waitcnt lgkmcnt(0)
	v_mul_f32_e32 v5, v3, v2
	ds_store_b32 v4, v5
	s_cbranch_vccnz .LBB51_16
; %bb.18:                               ;   in Loop: Header=BB51_17 Depth=1
	v_ashrrev_i32_e32 v2, 31, v1
	s_delay_alu instid0(VALU_DEP_1) | instskip(NEXT) | instid1(VALU_DEP_1)
	v_lshlrev_b64 v[6:7], 1, v[1:2]
	v_add_co_u32 v6, vcc_lo, s6, v6
	s_delay_alu instid0(VALU_DEP_2) | instskip(SKIP_3) | instid1(VALU_DEP_1)
	v_add_co_ci_u32_e32 v7, vcc_lo, s7, v7, vcc_lo
	global_load_u16 v2, v[6:7], off
	s_waitcnt vmcnt(0)
	v_cvt_f32_f16_e32 v2, v2
	v_add_f32_e32 v2, v5, v2
	ds_store_b32 v4, v2
	s_branch .LBB51_16
.LBB51_19:
	s_set_inst_prefetch_distance 0x2
	s_or_b32 exec_lo, exec_lo, s3
	v_mov_b32_e32 v2, 0
	s_cmp_lt_i32 s13, 1
	s_waitcnt lgkmcnt(0)
	s_barrier
	buffer_gl0_inv
	s_cbranch_scc1 .LBB51_28
; %bb.20:
	s_add_u32 s4, s0, 56
	s_addc_u32 s5, s1, 0
	v_dual_mov_b32 v7, 0xff800000 :: v_dual_lshlrev_b32 v4, 1, v0
	v_lshl_add_u32 v5, v0, 3, 0
	v_dual_mov_b32 v2, 0 :: v_dual_mov_b32 v1, 0
	v_dual_mov_b32 v6, 0 :: v_dual_mov_b32 v3, 0
	s_cmp_lg_u64 s[6:7], 0
	s_mov_b32 s18, 0
	s_cselect_b32 s12, -1, 0
	s_mov_b32 s19, 0x76543210
	s_branch .LBB51_22
.LBB51_21:                              ;   in Loop: Header=BB51_22 Depth=1
	v_cmp_eq_u32_e32 vcc_lo, s18, v0
	s_delay_alu instid0(VALU_DEP_2)
	s_lshl_b32 s3, s16, 2
	s_add_i32 s18, s18, 1
	s_add_i32 s3, s3, 0
	v_add_f32_e32 v3, v3, v10
	v_cndmask_b32_e64 v1, v1, s16, vcc_lo
	v_mov_b32_e32 v8, s3
	v_cndmask_b32_e32 v2, v2, v10, vcc_lo
	s_cmp_eq_u32 s18, s13
	ds_store_b32 v8, v7
	s_cbranch_scc1 .LBB51_29
.LBB51_22:                              ; =>This Loop Header: Depth=1
                                        ;     Child Loop BB51_24 Depth 2
	v_dual_mov_b32 v8, s18 :: v_dual_mov_b32 v9, 0xff800000
	s_and_saveexec_b32 s16, s2
	s_cbranch_execz .LBB51_26
; %bb.23:                               ;   in Loop: Header=BB51_22 Depth=1
	s_load_b32 s3, s[4:5], 0xc
	v_dual_mov_b32 v8, s18 :: v_dual_mov_b32 v9, 0xff800000
	v_dual_mov_b32 v10, v5 :: v_dual_mov_b32 v11, v4
	v_mov_b32_e32 v12, v0
	s_mov_b32 s21, 0
	s_waitcnt lgkmcnt(0)
	s_and_b32 s17, s3, 0xffff
	s_delay_alu instid0(SALU_CYCLE_1)
	s_lshl_b32 s20, s17, 1
	s_lshl_b32 s22, s17, 3
	.p2align	6
.LBB51_24:                              ;   Parent Loop BB51_22 Depth=1
                                        ; =>  This Inner Loop Header: Depth=2
	ds_load_b64 v[13:14], v10
	v_add_nc_u32_e32 v10, s22, v10
	v_add_nc_u32_e32 v12, s17, v12
	s_delay_alu instid0(VALU_DEP_1) | instskip(NEXT) | instid1(VALU_DEP_1)
	v_cmp_le_i32_e64 s3, s14, v12
	s_or_b32 s21, s3, s21
	s_waitcnt lgkmcnt(0)
	v_cmp_gt_f32_e32 vcc_lo, v13, v9
	v_cndmask_b32_e32 v9, v9, v13, vcc_lo
	v_add_nc_u32_e32 v13, 1, v11
	v_cndmask_b32_e32 v8, v8, v11, vcc_lo
	s_delay_alu instid0(VALU_DEP_3) | instskip(SKIP_1) | instid1(VALU_DEP_3)
	v_cmp_gt_f32_e32 vcc_lo, v14, v9
	v_cndmask_b32_e32 v9, v9, v14, vcc_lo
	v_dual_cndmask_b32 v8, v8, v13 :: v_dual_add_nc_u32 v11, s20, v11
	s_and_not1_b32 exec_lo, exec_lo, s21
	s_cbranch_execnz .LBB51_24
; %bb.25:                               ;   in Loop: Header=BB51_22 Depth=1
	s_or_b32 exec_lo, exec_lo, s21
.LBB51_26:                              ;   in Loop: Header=BB51_22 Depth=1
	s_delay_alu instid0(SALU_CYCLE_1)
	s_or_b32 exec_lo, exec_lo, s16
	;;#ASMSTART
	v_max_f32 v10, v9, v9 quad_perm:[1,0,3,2] row_mask:0xf bank_mask:0xf bound_ctrl:1
	;;#ASMEND
	;;#ASMSTART
	v_max_f32 v11, v10, v10 quad_perm:[2,3,0,1] row_mask:0xf bank_mask:0xf bound_ctrl:1
	;;#ASMEND
	;;#ASMSTART
	v_max_f32 v10, v11, v11 row_half_mirror row_mask:0xf bank_mask:0xf bound_ctrl:1
	;;#ASMEND
	;;#ASMSTART
	v_max_f32 v11, v10, v10 row_mirror row_mask:0xf bank_mask:0xf bound_ctrl:1
	;;#ASMEND
	v_permlanex16_b32 v10, v11, s19, 0xfedcba98 op_sel:[1,1]
	s_delay_alu instid0(VALU_DEP_1) | instskip(NEXT) | instid1(VALU_DEP_1)
	v_dual_max_f32 v11, v11, v11 :: v_dual_max_f32 v10, v10, v10
	v_max_f32_e32 v10, v11, v10
	s_delay_alu instid0(VALU_DEP_1)
	v_cmp_eq_f32_e32 vcc_lo, v9, v10
	s_ctz_i32_b32 s3, vcc_lo
	s_cmp_lg_u32 vcc_lo, 0
	s_cselect_b32 s3, s3, 0
	s_and_b32 vcc_lo, exec_lo, s12
	v_readlane_b32 s16, v8, s3
	s_cbranch_vccz .LBB51_21
; %bb.27:                               ;   in Loop: Header=BB51_22 Depth=1
	s_delay_alu instid0(VALU_DEP_1) | instskip(NEXT) | instid1(SALU_CYCLE_1)
	s_ashr_i32 s17, s16, 31
	s_lshl_b64 s[20:21], s[16:17], 1
	s_delay_alu instid0(SALU_CYCLE_1) | instskip(SKIP_4) | instid1(VALU_DEP_1)
	s_add_u32 s20, s6, s20
	s_addc_u32 s21, s7, s21
	global_load_u16 v8, v6, s[20:21]
	s_waitcnt vmcnt(0)
	v_cvt_f32_f16_e32 v8, v8
	v_sub_f32_e32 v10, v10, v8
	s_branch .LBB51_21
.LBB51_28:
	v_mov_b32_e32 v1, 0
	v_mov_b32_e32 v3, 0
.LBB51_29:
	s_mov_b32 s2, exec_lo
	v_cmpx_gt_i32_e64 s13, v0
	s_cbranch_execz .LBB51_32
; %bb.30:
	s_clause 0x1
	s_load_b32 s2, s[0:1], 0x34
	s_load_b32 s3, s[0:1], 0x44
	v_max_f32_e32 v3, v3, v3
	s_load_b64 s[0:1], s[0:1], 0x20
	s_ashr_i32 s4, s15, 31
	s_delay_alu instid0(VALU_DEP_1) | instskip(SKIP_1) | instid1(VALU_DEP_1)
	v_max_f32_e32 v3, 0x1e3ce508, v3
	s_waitcnt lgkmcnt(0)
	v_div_scale_f32 v4, null, v3, v3, s2
	v_div_scale_f32 v7, vcc_lo, s2, v3, s2
	s_mul_i32 s1, s15, s1
	s_delay_alu instid0(VALU_DEP_2) | instskip(SKIP_4) | instid1(VALU_DEP_1)
	v_rcp_f32_e32 v5, v4
	s_mul_i32 s4, s4, s0
	s_and_b32 s3, s3, 0xffff
	s_waitcnt_depctr 0xfff
	v_fma_f32 v6, -v4, v5, 1.0
	v_fmac_f32_e32 v5, v6, v5
	s_delay_alu instid0(VALU_DEP_1) | instskip(NEXT) | instid1(VALU_DEP_1)
	v_mul_f32_e32 v6, v7, v5
	v_fma_f32 v8, -v4, v6, v7
	s_delay_alu instid0(VALU_DEP_1) | instskip(NEXT) | instid1(VALU_DEP_1)
	v_fmac_f32_e32 v6, v8, v5
	v_fma_f32 v4, -v4, v6, v7
	s_delay_alu instid0(VALU_DEP_1) | instskip(NEXT) | instid1(VALU_DEP_1)
	v_div_fmas_f32 v4, v4, v5, v6
	v_div_fixup_f32 v3, v4, v3, s2
	s_mul_hi_u32 s2, s15, s0
	s_delay_alu instid0(SALU_CYCLE_1) | instskip(SKIP_1) | instid1(VALU_DEP_1)
	s_add_i32 s1, s2, s1
	s_mul_i32 s2, s15, s0
	v_mul_f32_e32 v2, v2, v3
	s_add_i32 s1, s1, s4
	s_mov_b32 s4, 0
	.p2align	6
.LBB51_31:                              ; =>This Inner Loop Header: Depth=1
	v_ashrrev_i32_e32 v4, 31, v0
	v_add_co_u32 v3, vcc_lo, s2, v0
	v_add_nc_u32_e32 v0, s3, v0
	s_delay_alu instid0(VALU_DEP_3) | instskip(NEXT) | instid1(VALU_DEP_2)
	v_add_co_ci_u32_e32 v4, vcc_lo, s1, v4, vcc_lo
	v_cmp_le_i32_e32 vcc_lo, s13, v0
	s_delay_alu instid0(VALU_DEP_2) | instskip(SKIP_1) | instid1(VALU_DEP_1)
	v_lshlrev_b64 v[3:4], 2, v[3:4]
	s_or_b32 s4, vcc_lo, s4
	v_add_co_u32 v5, s0, s8, v3
	s_delay_alu instid0(VALU_DEP_1) | instskip(SKIP_1) | instid1(VALU_DEP_1)
	v_add_co_ci_u32_e64 v6, s0, s9, v4, s0
	v_add_co_u32 v3, s0, s10, v3
	v_add_co_ci_u32_e64 v4, s0, s11, v4, s0
	global_store_b32 v[5:6], v2, off
	global_store_b32 v[3:4], v1, off
	s_and_not1_b32 exec_lo, exec_lo, s4
	s_cbranch_execnz .LBB51_31
.LBB51_32:
	s_nop 0
	s_sendmsg sendmsg(MSG_DEALLOC_VGPRS)
	s_endpgm
	.section	.rodata,"a",@progbits
	.p2align	6, 0x0
	.amdhsa_kernel _ZN5aiter20topk_softplus_kernelIf6__halfDv2_fLb1ELi2EEEvPKT_PKT0_PfPimiiif
		.amdhsa_group_segment_fixed_size 0
		.amdhsa_private_segment_fixed_size 0
		.amdhsa_kernarg_size 312
		.amdhsa_user_sgpr_count 15
		.amdhsa_user_sgpr_dispatch_ptr 0
		.amdhsa_user_sgpr_queue_ptr 0
		.amdhsa_user_sgpr_kernarg_segment_ptr 1
		.amdhsa_user_sgpr_dispatch_id 0
		.amdhsa_user_sgpr_private_segment_size 0
		.amdhsa_wavefront_size32 1
		.amdhsa_uses_dynamic_stack 0
		.amdhsa_enable_private_segment 0
		.amdhsa_system_sgpr_workgroup_id_x 1
		.amdhsa_system_sgpr_workgroup_id_y 0
		.amdhsa_system_sgpr_workgroup_id_z 0
		.amdhsa_system_sgpr_workgroup_info 0
		.amdhsa_system_vgpr_workitem_id 0
		.amdhsa_next_free_vgpr 15
		.amdhsa_next_free_sgpr 23
		.amdhsa_reserve_vcc 1
		.amdhsa_float_round_mode_32 0
		.amdhsa_float_round_mode_16_64 0
		.amdhsa_float_denorm_mode_32 3
		.amdhsa_float_denorm_mode_16_64 3
		.amdhsa_dx10_clamp 1
		.amdhsa_ieee_mode 1
		.amdhsa_fp16_overflow 0
		.amdhsa_workgroup_processor_mode 1
		.amdhsa_memory_ordered 1
		.amdhsa_forward_progress 0
		.amdhsa_shared_vgpr_count 0
		.amdhsa_exception_fp_ieee_invalid_op 0
		.amdhsa_exception_fp_denorm_src 0
		.amdhsa_exception_fp_ieee_div_zero 0
		.amdhsa_exception_fp_ieee_overflow 0
		.amdhsa_exception_fp_ieee_underflow 0
		.amdhsa_exception_fp_ieee_inexact 0
		.amdhsa_exception_int_div_zero 0
	.end_amdhsa_kernel
	.section	.text._ZN5aiter20topk_softplus_kernelIf6__halfDv2_fLb1ELi2EEEvPKT_PKT0_PfPimiiif,"axG",@progbits,_ZN5aiter20topk_softplus_kernelIf6__halfDv2_fLb1ELi2EEEvPKT_PKT0_PfPimiiif,comdat
.Lfunc_end51:
	.size	_ZN5aiter20topk_softplus_kernelIf6__halfDv2_fLb1ELi2EEEvPKT_PKT0_PfPimiiif, .Lfunc_end51-_ZN5aiter20topk_softplus_kernelIf6__halfDv2_fLb1ELi2EEEvPKT_PKT0_PfPimiiif
                                        ; -- End function
	.section	.AMDGPU.csdata,"",@progbits
; Kernel info:
; codeLenInByte = 1996
; NumSgprs: 25
; NumVgprs: 15
; ScratchSize: 0
; MemoryBound: 0
; FloatMode: 240
; IeeeMode: 1
; LDSByteSize: 0 bytes/workgroup (compile time only)
; SGPRBlocks: 3
; VGPRBlocks: 1
; NumSGPRsForWavesPerEU: 25
; NumVGPRsForWavesPerEU: 15
; Occupancy: 16
; WaveLimiterHint : 0
; COMPUTE_PGM_RSRC2:SCRATCH_EN: 0
; COMPUTE_PGM_RSRC2:USER_SGPR: 15
; COMPUTE_PGM_RSRC2:TRAP_HANDLER: 0
; COMPUTE_PGM_RSRC2:TGID_X_EN: 1
; COMPUTE_PGM_RSRC2:TGID_Y_EN: 0
; COMPUTE_PGM_RSRC2:TGID_Z_EN: 0
; COMPUTE_PGM_RSRC2:TIDIG_COMP_CNT: 0
	.section	.text._ZN5aiter20topk_softplus_kernelIf6__halfDv2_fLb0ELi2EEEvPKT_PKT0_PfPimiiif,"axG",@progbits,_ZN5aiter20topk_softplus_kernelIf6__halfDv2_fLb0ELi2EEEvPKT_PKT0_PfPimiiif,comdat
	.protected	_ZN5aiter20topk_softplus_kernelIf6__halfDv2_fLb0ELi2EEEvPKT_PKT0_PfPimiiif ; -- Begin function _ZN5aiter20topk_softplus_kernelIf6__halfDv2_fLb0ELi2EEEvPKT_PKT0_PfPimiiif
	.globl	_ZN5aiter20topk_softplus_kernelIf6__halfDv2_fLb0ELi2EEEvPKT_PKT0_PfPimiiif
	.p2align	8
	.type	_ZN5aiter20topk_softplus_kernelIf6__halfDv2_fLb0ELi2EEEvPKT_PKT0_PfPimiiif,@function
_ZN5aiter20topk_softplus_kernelIf6__halfDv2_fLb0ELi2EEEvPKT_PKT0_PfPimiiif: ; @_ZN5aiter20topk_softplus_kernelIf6__halfDv2_fLb0ELi2EEEvPKT_PKT0_PfPimiiif
; %bb.0:
	s_clause 0x1
	s_load_b64 s[12:13], s[0:1], 0x28
	s_load_b256 s[4:11], s[0:1], 0x0
	s_waitcnt lgkmcnt(0)
	s_lshr_b32 s2, s12, 31
	s_mul_i32 s16, s15, s12
	s_add_i32 s2, s12, s2
	s_ashr_i32 s17, s16, 31
	s_ashr_i32 s14, s2, 1
	s_delay_alu instid0(SALU_CYCLE_1) | instskip(NEXT) | instid1(VALU_DEP_1)
	v_cmp_gt_i32_e64 s2, s14, v0
	s_and_saveexec_b32 s18, s2
	s_cbranch_execz .LBB52_3
; %bb.1:
	s_load_b32 s3, s[0:1], 0x44
	v_dual_mov_b32 v4, v0 :: v_dual_lshlrev_b32 v1, 3, v0
	s_lshl_b64 s[20:21], s[16:17], 2
	s_delay_alu instid0(VALU_DEP_1)
	v_add_nc_u32_e32 v3, 0, v1
	s_waitcnt lgkmcnt(0)
	s_and_b32 s19, s3, 0xffff
	s_add_u32 s3, s4, s20
	s_addc_u32 s20, s5, s21
	v_add_co_u32 v1, s3, s3, v1
	s_delay_alu instid0(VALU_DEP_1)
	v_add_co_ci_u32_e64 v2, null, s20, 0, s3
	s_mov_b32 s20, 0
	s_lshl_b32 s21, s19, 3
.LBB52_2:                               ; =>This Inner Loop Header: Depth=1
	global_load_b64 v[5:6], v[1:2], off
	v_add_nc_u32_e32 v4, s19, v4
	v_add_co_u32 v1, vcc_lo, v1, s21
	v_add_co_ci_u32_e32 v2, vcc_lo, 0, v2, vcc_lo
	s_delay_alu instid0(VALU_DEP_3) | instskip(NEXT) | instid1(VALU_DEP_1)
	v_cmp_le_i32_e64 s3, s14, v4
	s_or_b32 s20, s3, s20
	s_waitcnt vmcnt(0)
	ds_store_b64 v3, v[5:6]
	v_add_nc_u32_e32 v3, s21, v3
	s_and_not1_b32 exec_lo, exec_lo, s20
	s_cbranch_execnz .LBB52_2
.LBB52_3:
	s_or_b32 exec_lo, exec_lo, s18
	v_lshl_add_u32 v1, s14, 1, v0
	s_mov_b32 s3, exec_lo
	s_delay_alu instid0(VALU_DEP_1)
	v_cmpx_gt_i32_e64 s12, v1
	s_cbranch_execz .LBB52_6
; %bb.4:
	s_load_b32 s18, s[0:1], 0x44
	s_lshl_b64 s[16:17], s[16:17], 2
	v_lshlrev_b32_e32 v2, 2, v0
	s_add_u32 s4, s4, s16
	s_addc_u32 s5, s5, s17
	s_lshl_b32 s16, s14, 3
	s_mov_b32 s17, 0
	v_add3_u32 v3, 0, s16, v2
	s_waitcnt lgkmcnt(0)
	s_and_b32 s16, s18, 0xffff
	s_delay_alu instid0(SALU_CYCLE_1)
	s_lshl_b32 s18, s16, 2
.LBB52_5:                               ; =>This Inner Loop Header: Depth=1
	v_ashrrev_i32_e32 v2, 31, v1
	s_delay_alu instid0(VALU_DEP_1) | instskip(SKIP_1) | instid1(VALU_DEP_2)
	v_lshlrev_b64 v[4:5], 2, v[1:2]
	v_add_nc_u32_e32 v1, s16, v1
	v_add_co_u32 v4, vcc_lo, s4, v4
	s_delay_alu instid0(VALU_DEP_3) | instskip(NEXT) | instid1(VALU_DEP_3)
	v_add_co_ci_u32_e32 v5, vcc_lo, s5, v5, vcc_lo
	v_cmp_le_i32_e32 vcc_lo, s12, v1
	global_load_b32 v2, v[4:5], off
	s_or_b32 s17, vcc_lo, s17
	s_waitcnt vmcnt(0)
	ds_store_b32 v3, v2
	v_add_nc_u32_e32 v3, s18, v3
	s_and_not1_b32 exec_lo, exec_lo, s17
	s_cbranch_execnz .LBB52_5
.LBB52_6:
	s_or_b32 exec_lo, exec_lo, s3
	v_cmp_gt_i32_e32 vcc_lo, s12, v0
	v_mov_b32_e32 v2, 0xff800000
	s_waitcnt lgkmcnt(0)
	s_barrier
	buffer_gl0_inv
	s_and_saveexec_b32 s4, vcc_lo
	s_cbranch_execz .LBB52_10
; %bb.7:
	s_load_b32 s3, s[0:1], 0x44
	v_lshl_add_u32 v1, v0, 2, 0
	v_dual_mov_b32 v2, 0xff800000 :: v_dual_mov_b32 v3, v0
	s_mov_b32 s5, 0
	s_waitcnt lgkmcnt(0)
	s_and_b32 s16, s3, 0xffff
	s_delay_alu instid0(SALU_CYCLE_1)
	s_lshl_b32 s17, s16, 2
.LBB52_8:                               ; =>This Inner Loop Header: Depth=1
	ds_load_b32 v4, v1
	v_dual_max_f32 v2, v2, v2 :: v_dual_add_nc_u32 v3, s16, v3
	v_add_nc_u32_e32 v1, s17, v1
	s_delay_alu instid0(VALU_DEP_2) | instskip(NEXT) | instid1(VALU_DEP_1)
	v_cmp_le_i32_e64 s3, s12, v3
	s_or_b32 s5, s3, s5
	s_waitcnt lgkmcnt(0)
	v_max_f32_e32 v4, v4, v4
	s_delay_alu instid0(VALU_DEP_1)
	v_max_f32_e32 v2, v2, v4
	s_and_not1_b32 exec_lo, exec_lo, s5
	s_cbranch_execnz .LBB52_8
; %bb.9:
	s_or_b32 exec_lo, exec_lo, s5
.LBB52_10:
	s_delay_alu instid0(SALU_CYCLE_1)
	s_or_b32 exec_lo, exec_lo, s4
	v_mov_b32_e32 v1, 0
	;;#ASMSTART
	v_max_f32 v3, v2, v2 quad_perm:[1,0,3,2] row_mask:0xf bank_mask:0xf bound_ctrl:1
	;;#ASMEND
	;;#ASMSTART
	v_max_f32 v2, v3, v3 quad_perm:[2,3,0,1] row_mask:0xf bank_mask:0xf bound_ctrl:1
	;;#ASMEND
	;;#ASMSTART
	v_max_f32 v3, v2, v2 row_half_mirror row_mask:0xf bank_mask:0xf bound_ctrl:1
	;;#ASMEND
	;;#ASMSTART
	v_max_f32 v2, v3, v3 row_mirror row_mask:0xf bank_mask:0xf bound_ctrl:1
	;;#ASMEND
	s_and_saveexec_b32 s4, vcc_lo
	s_cbranch_execz .LBB52_14
; %bb.11:
	s_load_b32 s3, s[0:1], 0x44
	s_mov_b32 s5, 0x76543210
	v_lshl_add_u32 v3, v0, 2, 0
	v_permlanex16_b32 v1, v2, s5, 0xfedcba98 op_sel:[1,1]
	v_mov_b32_e32 v4, v0
	s_mov_b32 s5, 0
	s_delay_alu instid0(VALU_DEP_2) | instskip(NEXT) | instid1(VALU_DEP_1)
	v_dual_max_f32 v2, v2, v2 :: v_dual_max_f32 v1, v1, v1
	v_dual_max_f32 v2, v2, v1 :: v_dual_mov_b32 v1, 0
	s_waitcnt lgkmcnt(0)
	s_and_b32 s16, s3, 0xffff
	s_delay_alu instid0(SALU_CYCLE_1)
	s_lshl_b32 s17, s16, 2
	.p2align	6
.LBB52_12:                              ; =>This Inner Loop Header: Depth=1
	ds_load_b32 v5, v3
	s_waitcnt lgkmcnt(0)
	v_dual_sub_f32 v5, v5, v2 :: v_dual_add_nc_u32 v4, s16, v4
	s_delay_alu instid0(VALU_DEP_1) | instskip(NEXT) | instid1(VALU_DEP_1)
	v_mul_f32_e32 v6, 0x3fb8aa3b, v5
	v_cmp_gt_f32_e64 s3, 0xc2fc0000, v6
	s_delay_alu instid0(VALU_DEP_1) | instskip(NEXT) | instid1(VALU_DEP_1)
	v_cndmask_b32_e64 v6, 0, 0x42800000, s3
	v_fmac_f32_e32 v6, 0x3fb8aa3b, v5
	s_delay_alu instid0(VALU_DEP_1) | instskip(SKIP_2) | instid1(VALU_DEP_1)
	v_exp_f32_e32 v5, v6
	v_cndmask_b32_e64 v6, 1.0, 0x1f800000, s3
	v_cmp_le_i32_e64 s3, s12, v4
	s_or_b32 s5, s3, s5
	s_waitcnt_depctr 0xfff
	v_mul_f32_e32 v7, v5, v6
	v_fmac_f32_e32 v1, v5, v6
	ds_store_b32 v3, v7
	v_add_nc_u32_e32 v3, s17, v3
	s_and_not1_b32 exec_lo, exec_lo, s5
	s_cbranch_execnz .LBB52_12
; %bb.13:
	s_or_b32 exec_lo, exec_lo, s5
.LBB52_14:
	s_delay_alu instid0(SALU_CYCLE_1) | instskip(SKIP_1) | instid1(VALU_DEP_1)
	s_or_b32 exec_lo, exec_lo, s4
	v_mov_b32_dpp v2, v1 quad_perm:[1,0,3,2] row_mask:0xf bank_mask:0xf
	v_add_f32_e32 v1, v1, v2
	s_delay_alu instid0(VALU_DEP_1) | instskip(NEXT) | instid1(VALU_DEP_1)
	v_mov_b32_dpp v2, v1 quad_perm:[2,3,0,1] row_mask:0xf bank_mask:0xf
	v_add_f32_e32 v1, v1, v2
	s_delay_alu instid0(VALU_DEP_1) | instskip(NEXT) | instid1(VALU_DEP_1)
	v_mov_b32_dpp v2, v1 row_xmask:7 row_mask:0xf bank_mask:0xf
	v_add_f32_e32 v1, v1, v2
	s_delay_alu instid0(VALU_DEP_1)
	v_mov_b32_dpp v2, v1 row_xmask:15 row_mask:0xf bank_mask:0xf
	s_and_saveexec_b32 s3, vcc_lo
	s_cbranch_execz .LBB52_19
; %bb.15:
	s_delay_alu instid0(VALU_DEP_1)
	v_add_f32_e32 v1, v1, v2
	s_load_b32 s5, s[0:1], 0x44
	s_mov_b32 s4, 0x76543210
	s_cmp_lg_u64 s[6:7], 0
	v_lshl_add_u32 v4, v0, 2, 0
	v_permlanex16_b32 v2, v1, s4, 0xfedcba98 op_sel:[1,1]
	s_cselect_b32 s4, -1, 0
	s_mov_b32 s16, 0
	s_delay_alu instid0(VALU_DEP_1) | instskip(NEXT) | instid1(VALU_DEP_1)
	v_add_f32_e32 v1, v1, v2
	v_rcp_f32_e32 v3, v1
	v_mov_b32_e32 v1, v0
	s_waitcnt lgkmcnt(0)
	s_and_b32 s5, s5, 0xffff
	s_delay_alu instid0(SALU_CYCLE_1)
	s_lshl_b32 s17, s5, 2
	s_set_inst_prefetch_distance 0x1
	s_branch .LBB52_17
	.p2align	6
.LBB52_16:                              ;   in Loop: Header=BB52_17 Depth=1
	v_add_nc_u32_e32 v1, s5, v1
	v_add_nc_u32_e32 v4, s17, v4
	s_delay_alu instid0(VALU_DEP_2) | instskip(SKIP_1) | instid1(SALU_CYCLE_1)
	v_cmp_le_i32_e32 vcc_lo, s12, v1
	s_or_b32 s16, vcc_lo, s16
	s_and_not1_b32 exec_lo, exec_lo, s16
	s_cbranch_execz .LBB52_19
.LBB52_17:                              ; =>This Inner Loop Header: Depth=1
	ds_load_b32 v2, v4
	s_and_not1_b32 vcc_lo, exec_lo, s4
	s_waitcnt lgkmcnt(0)
	v_mul_f32_e32 v5, v3, v2
	ds_store_b32 v4, v5
	s_cbranch_vccnz .LBB52_16
; %bb.18:                               ;   in Loop: Header=BB52_17 Depth=1
	v_ashrrev_i32_e32 v2, 31, v1
	s_delay_alu instid0(VALU_DEP_1) | instskip(NEXT) | instid1(VALU_DEP_1)
	v_lshlrev_b64 v[6:7], 1, v[1:2]
	v_add_co_u32 v6, vcc_lo, s6, v6
	s_delay_alu instid0(VALU_DEP_2) | instskip(SKIP_3) | instid1(VALU_DEP_1)
	v_add_co_ci_u32_e32 v7, vcc_lo, s7, v7, vcc_lo
	global_load_u16 v2, v[6:7], off
	s_waitcnt vmcnt(0)
	v_cvt_f32_f16_e32 v2, v2
	v_add_f32_e32 v2, v5, v2
	ds_store_b32 v4, v2
	s_branch .LBB52_16
.LBB52_19:
	s_set_inst_prefetch_distance 0x2
	s_or_b32 exec_lo, exec_lo, s3
	s_cmp_lt_i32 s13, 1
	s_waitcnt lgkmcnt(0)
	s_barrier
	buffer_gl0_inv
	s_cbranch_scc1 .LBB52_28
; %bb.20:
	s_add_u32 s4, s0, 56
	s_addc_u32 s5, s1, 0
	v_dual_mov_b32 v6, 0xff800000 :: v_dual_lshlrev_b32 v3, 1, v0
	v_lshl_add_u32 v4, v0, 3, 0
	v_dual_mov_b32 v5, 0 :: v_dual_mov_b32 v2, 0
	v_mov_b32_e32 v1, 0
	s_cmp_lg_u64 s[6:7], 0
	s_mov_b32 s18, 0
	s_cselect_b32 s12, -1, 0
	s_mov_b32 s19, 0x76543210
	s_branch .LBB52_22
.LBB52_21:                              ;   in Loop: Header=BB52_22 Depth=1
	v_cmp_eq_u32_e32 vcc_lo, s18, v0
	s_delay_alu instid0(VALU_DEP_2)
	s_lshl_b32 s3, s16, 2
	s_add_i32 s18, s18, 1
	s_add_i32 s3, s3, 0
	s_cmp_eq_u32 s18, s13
	v_cndmask_b32_e64 v1, v1, s16, vcc_lo
	v_dual_mov_b32 v7, s3 :: v_dual_cndmask_b32 v2, v2, v9
	ds_store_b32 v7, v6
	s_cbranch_scc1 .LBB52_29
.LBB52_22:                              ; =>This Loop Header: Depth=1
                                        ;     Child Loop BB52_24 Depth 2
	v_dual_mov_b32 v7, s18 :: v_dual_mov_b32 v8, 0xff800000
	s_and_saveexec_b32 s16, s2
	s_cbranch_execz .LBB52_26
; %bb.23:                               ;   in Loop: Header=BB52_22 Depth=1
	s_load_b32 s3, s[4:5], 0xc
	v_dual_mov_b32 v7, s18 :: v_dual_mov_b32 v8, 0xff800000
	v_dual_mov_b32 v9, v4 :: v_dual_mov_b32 v10, v3
	v_mov_b32_e32 v11, v0
	s_mov_b32 s21, 0
	s_waitcnt lgkmcnt(0)
	s_and_b32 s17, s3, 0xffff
	s_delay_alu instid0(SALU_CYCLE_1)
	s_lshl_b32 s20, s17, 1
	s_lshl_b32 s22, s17, 3
	.p2align	6
.LBB52_24:                              ;   Parent Loop BB52_22 Depth=1
                                        ; =>  This Inner Loop Header: Depth=2
	ds_load_b64 v[12:13], v9
	v_add_nc_u32_e32 v9, s22, v9
	v_add_nc_u32_e32 v11, s17, v11
	s_delay_alu instid0(VALU_DEP_1) | instskip(NEXT) | instid1(VALU_DEP_1)
	v_cmp_le_i32_e64 s3, s14, v11
	s_or_b32 s21, s3, s21
	s_waitcnt lgkmcnt(0)
	v_cmp_gt_f32_e32 vcc_lo, v12, v8
	v_cndmask_b32_e32 v8, v8, v12, vcc_lo
	v_add_nc_u32_e32 v12, 1, v10
	v_cndmask_b32_e32 v7, v7, v10, vcc_lo
	s_delay_alu instid0(VALU_DEP_3) | instskip(SKIP_1) | instid1(VALU_DEP_3)
	v_cmp_gt_f32_e32 vcc_lo, v13, v8
	v_cndmask_b32_e32 v8, v8, v13, vcc_lo
	v_dual_cndmask_b32 v7, v7, v12 :: v_dual_add_nc_u32 v10, s20, v10
	s_and_not1_b32 exec_lo, exec_lo, s21
	s_cbranch_execnz .LBB52_24
; %bb.25:                               ;   in Loop: Header=BB52_22 Depth=1
	s_or_b32 exec_lo, exec_lo, s21
.LBB52_26:                              ;   in Loop: Header=BB52_22 Depth=1
	s_delay_alu instid0(SALU_CYCLE_1)
	s_or_b32 exec_lo, exec_lo, s16
	;;#ASMSTART
	v_max_f32 v9, v8, v8 quad_perm:[1,0,3,2] row_mask:0xf bank_mask:0xf bound_ctrl:1
	;;#ASMEND
	;;#ASMSTART
	v_max_f32 v10, v9, v9 quad_perm:[2,3,0,1] row_mask:0xf bank_mask:0xf bound_ctrl:1
	;;#ASMEND
	;;#ASMSTART
	v_max_f32 v9, v10, v10 row_half_mirror row_mask:0xf bank_mask:0xf bound_ctrl:1
	;;#ASMEND
	;;#ASMSTART
	v_max_f32 v10, v9, v9 row_mirror row_mask:0xf bank_mask:0xf bound_ctrl:1
	;;#ASMEND
	v_permlanex16_b32 v9, v10, s19, 0xfedcba98 op_sel:[1,1]
	s_delay_alu instid0(VALU_DEP_1) | instskip(NEXT) | instid1(VALU_DEP_1)
	v_dual_max_f32 v10, v10, v10 :: v_dual_max_f32 v9, v9, v9
	v_max_f32_e32 v9, v10, v9
	s_delay_alu instid0(VALU_DEP_1)
	v_cmp_eq_f32_e32 vcc_lo, v8, v9
	s_ctz_i32_b32 s3, vcc_lo
	s_cmp_lg_u32 vcc_lo, 0
	s_cselect_b32 s3, s3, 0
	s_and_b32 vcc_lo, exec_lo, s12
	v_readlane_b32 s16, v7, s3
	s_cbranch_vccz .LBB52_21
; %bb.27:                               ;   in Loop: Header=BB52_22 Depth=1
	s_delay_alu instid0(VALU_DEP_1) | instskip(NEXT) | instid1(SALU_CYCLE_1)
	s_ashr_i32 s17, s16, 31
	s_lshl_b64 s[20:21], s[16:17], 1
	s_delay_alu instid0(SALU_CYCLE_1) | instskip(SKIP_4) | instid1(VALU_DEP_1)
	s_add_u32 s20, s6, s20
	s_addc_u32 s21, s7, s21
	global_load_u16 v7, v5, s[20:21]
	s_waitcnt vmcnt(0)
	v_cvt_f32_f16_e32 v7, v7
	v_sub_f32_e32 v9, v9, v7
	s_branch .LBB52_21
.LBB52_28:
	v_dual_mov_b32 v2, 0 :: v_dual_mov_b32 v1, 0
.LBB52_29:
	s_mov_b32 s2, exec_lo
	v_cmpx_gt_i32_e64 s13, v0
	s_cbranch_execz .LBB52_32
; %bb.30:
	s_clause 0x2
	s_load_b32 s4, s[0:1], 0x34
	s_load_b64 s[2:3], s[0:1], 0x20
	s_load_b32 s0, s[0:1], 0x44
	s_ashr_i32 s1, s15, 31
	s_waitcnt lgkmcnt(0)
	v_mul_f32_e32 v2, s4, v2
	s_mul_i32 s3, s15, s3
	s_mul_hi_u32 s4, s15, s2
	s_mul_i32 s5, s1, s2
	s_add_i32 s3, s4, s3
	s_mul_i32 s1, s15, s2
	s_and_b32 s2, s0, 0xffff
	s_add_i32 s3, s3, s5
	s_mov_b32 s4, 0
	.p2align	6
.LBB52_31:                              ; =>This Inner Loop Header: Depth=1
	v_ashrrev_i32_e32 v4, 31, v0
	v_add_co_u32 v3, vcc_lo, s1, v0
	v_add_nc_u32_e32 v0, s2, v0
	s_delay_alu instid0(VALU_DEP_3) | instskip(NEXT) | instid1(VALU_DEP_2)
	v_add_co_ci_u32_e32 v4, vcc_lo, s3, v4, vcc_lo
	v_cmp_le_i32_e32 vcc_lo, s13, v0
	s_delay_alu instid0(VALU_DEP_2) | instskip(SKIP_1) | instid1(VALU_DEP_1)
	v_lshlrev_b64 v[3:4], 2, v[3:4]
	s_or_b32 s4, vcc_lo, s4
	v_add_co_u32 v5, s0, s8, v3
	s_delay_alu instid0(VALU_DEP_1) | instskip(SKIP_1) | instid1(VALU_DEP_1)
	v_add_co_ci_u32_e64 v6, s0, s9, v4, s0
	v_add_co_u32 v3, s0, s10, v3
	v_add_co_ci_u32_e64 v4, s0, s11, v4, s0
	global_store_b32 v[5:6], v2, off
	global_store_b32 v[3:4], v1, off
	s_and_not1_b32 exec_lo, exec_lo, s4
	s_cbranch_execnz .LBB52_31
.LBB52_32:
	s_nop 0
	s_sendmsg sendmsg(MSG_DEALLOC_VGPRS)
	s_endpgm
	.section	.rodata,"a",@progbits
	.p2align	6, 0x0
	.amdhsa_kernel _ZN5aiter20topk_softplus_kernelIf6__halfDv2_fLb0ELi2EEEvPKT_PKT0_PfPimiiif
		.amdhsa_group_segment_fixed_size 0
		.amdhsa_private_segment_fixed_size 0
		.amdhsa_kernarg_size 312
		.amdhsa_user_sgpr_count 15
		.amdhsa_user_sgpr_dispatch_ptr 0
		.amdhsa_user_sgpr_queue_ptr 0
		.amdhsa_user_sgpr_kernarg_segment_ptr 1
		.amdhsa_user_sgpr_dispatch_id 0
		.amdhsa_user_sgpr_private_segment_size 0
		.amdhsa_wavefront_size32 1
		.amdhsa_uses_dynamic_stack 0
		.amdhsa_enable_private_segment 0
		.amdhsa_system_sgpr_workgroup_id_x 1
		.amdhsa_system_sgpr_workgroup_id_y 0
		.amdhsa_system_sgpr_workgroup_id_z 0
		.amdhsa_system_sgpr_workgroup_info 0
		.amdhsa_system_vgpr_workitem_id 0
		.amdhsa_next_free_vgpr 14
		.amdhsa_next_free_sgpr 23
		.amdhsa_reserve_vcc 1
		.amdhsa_float_round_mode_32 0
		.amdhsa_float_round_mode_16_64 0
		.amdhsa_float_denorm_mode_32 3
		.amdhsa_float_denorm_mode_16_64 3
		.amdhsa_dx10_clamp 1
		.amdhsa_ieee_mode 1
		.amdhsa_fp16_overflow 0
		.amdhsa_workgroup_processor_mode 1
		.amdhsa_memory_ordered 1
		.amdhsa_forward_progress 0
		.amdhsa_shared_vgpr_count 0
		.amdhsa_exception_fp_ieee_invalid_op 0
		.amdhsa_exception_fp_denorm_src 0
		.amdhsa_exception_fp_ieee_div_zero 0
		.amdhsa_exception_fp_ieee_overflow 0
		.amdhsa_exception_fp_ieee_underflow 0
		.amdhsa_exception_fp_ieee_inexact 0
		.amdhsa_exception_int_div_zero 0
	.end_amdhsa_kernel
	.section	.text._ZN5aiter20topk_softplus_kernelIf6__halfDv2_fLb0ELi2EEEvPKT_PKT0_PfPimiiif,"axG",@progbits,_ZN5aiter20topk_softplus_kernelIf6__halfDv2_fLb0ELi2EEEvPKT_PKT0_PfPimiiif,comdat
.Lfunc_end52:
	.size	_ZN5aiter20topk_softplus_kernelIf6__halfDv2_fLb0ELi2EEEvPKT_PKT0_PfPimiiif, .Lfunc_end52-_ZN5aiter20topk_softplus_kernelIf6__halfDv2_fLb0ELi2EEEvPKT_PKT0_PfPimiiif
                                        ; -- End function
	.section	.AMDGPU.csdata,"",@progbits
; Kernel info:
; codeLenInByte = 1872
; NumSgprs: 25
; NumVgprs: 14
; ScratchSize: 0
; MemoryBound: 0
; FloatMode: 240
; IeeeMode: 1
; LDSByteSize: 0 bytes/workgroup (compile time only)
; SGPRBlocks: 3
; VGPRBlocks: 1
; NumSGPRsForWavesPerEU: 25
; NumVGPRsForWavesPerEU: 14
; Occupancy: 16
; WaveLimiterHint : 0
; COMPUTE_PGM_RSRC2:SCRATCH_EN: 0
; COMPUTE_PGM_RSRC2:USER_SGPR: 15
; COMPUTE_PGM_RSRC2:TRAP_HANDLER: 0
; COMPUTE_PGM_RSRC2:TGID_X_EN: 1
; COMPUTE_PGM_RSRC2:TGID_Y_EN: 0
; COMPUTE_PGM_RSRC2:TGID_Z_EN: 0
; COMPUTE_PGM_RSRC2:TIDIG_COMP_CNT: 0
	.section	.text._ZN5aiter20topk_softplus_kernelIf6__halfDv1_fLb1ELi2EEEvPKT_PKT0_PfPimiiif,"axG",@progbits,_ZN5aiter20topk_softplus_kernelIf6__halfDv1_fLb1ELi2EEEvPKT_PKT0_PfPimiiif,comdat
	.protected	_ZN5aiter20topk_softplus_kernelIf6__halfDv1_fLb1ELi2EEEvPKT_PKT0_PfPimiiif ; -- Begin function _ZN5aiter20topk_softplus_kernelIf6__halfDv1_fLb1ELi2EEEvPKT_PKT0_PfPimiiif
	.globl	_ZN5aiter20topk_softplus_kernelIf6__halfDv1_fLb1ELi2EEEvPKT_PKT0_PfPimiiif
	.p2align	8
	.type	_ZN5aiter20topk_softplus_kernelIf6__halfDv1_fLb1ELi2EEEvPKT_PKT0_PfPimiiif,@function
_ZN5aiter20topk_softplus_kernelIf6__halfDv1_fLb1ELi2EEEvPKT_PKT0_PfPimiiif: ; @_ZN5aiter20topk_softplus_kernelIf6__halfDv1_fLb1ELi2EEEvPKT_PKT0_PfPimiiif
; %bb.0:
	s_clause 0x1
	s_load_b64 s[12:13], s[0:1], 0x28
	s_load_b256 s[4:11], s[0:1], 0x0
	v_lshl_add_u32 v3, v0, 2, 0
	s_waitcnt lgkmcnt(0)
	s_mul_i32 s16, s15, s12
	v_cmp_gt_i32_e64 s2, s12, v0
	s_ashr_i32 s17, s16, 31
	s_delay_alu instid0(SALU_CYCLE_1) | instskip(NEXT) | instid1(SALU_CYCLE_1)
	s_lshl_b64 s[16:17], s[16:17], 2
	s_add_u32 s3, s4, s16
	s_addc_u32 s4, s5, s17
	s_and_saveexec_b32 s5, s2
	s_cbranch_execz .LBB53_3
; %bb.1:
	s_load_b32 s14, s[0:1], 0x44
	v_lshl_add_u32 v4, v0, 2, 0
	v_mov_b32_e32 v1, v0
	s_mov_b32 s16, 0
	s_waitcnt lgkmcnt(0)
	s_and_b32 s14, s14, 0xffff
	s_delay_alu instid0(SALU_CYCLE_1)
	s_lshl_b32 s17, s14, 2
.LBB53_2:                               ; =>This Inner Loop Header: Depth=1
	v_ashrrev_i32_e32 v2, 31, v1
	s_delay_alu instid0(VALU_DEP_1) | instskip(SKIP_1) | instid1(VALU_DEP_2)
	v_lshlrev_b64 v[5:6], 2, v[1:2]
	v_add_nc_u32_e32 v1, s14, v1
	v_add_co_u32 v5, vcc_lo, s3, v5
	s_delay_alu instid0(VALU_DEP_3) | instskip(NEXT) | instid1(VALU_DEP_3)
	v_add_co_ci_u32_e32 v6, vcc_lo, s4, v6, vcc_lo
	v_cmp_le_i32_e32 vcc_lo, s12, v1
	global_load_b32 v2, v[5:6], off
	s_or_b32 s16, vcc_lo, s16
	s_waitcnt vmcnt(0)
	ds_store_b32 v4, v2
	v_add_nc_u32_e32 v4, s17, v4
	s_and_not1_b32 exec_lo, exec_lo, s16
	s_cbranch_execnz .LBB53_2
.LBB53_3:
	s_or_b32 exec_lo, exec_lo, s5
	v_add_nc_u32_e32 v1, s12, v0
	s_mov_b32 s5, exec_lo
	s_delay_alu instid0(VALU_DEP_1)
	v_cmpx_gt_i32_e64 s12, v1
	s_cbranch_execz .LBB53_6
; %bb.4:
	s_load_b32 s14, s[0:1], 0x44
	v_lshl_add_u32 v4, v1, 2, 0
	s_mov_b32 s16, 0
	s_waitcnt lgkmcnt(0)
	s_and_b32 s14, s14, 0xffff
	s_delay_alu instid0(SALU_CYCLE_1)
	s_lshl_b32 s17, s14, 2
.LBB53_5:                               ; =>This Inner Loop Header: Depth=1
	v_ashrrev_i32_e32 v2, 31, v1
	s_delay_alu instid0(VALU_DEP_1) | instskip(SKIP_1) | instid1(VALU_DEP_2)
	v_lshlrev_b64 v[5:6], 2, v[1:2]
	v_add_nc_u32_e32 v1, s14, v1
	v_add_co_u32 v5, vcc_lo, s3, v5
	s_delay_alu instid0(VALU_DEP_3) | instskip(NEXT) | instid1(VALU_DEP_3)
	v_add_co_ci_u32_e32 v6, vcc_lo, s4, v6, vcc_lo
	v_cmp_le_i32_e32 vcc_lo, s12, v1
	global_load_b32 v2, v[5:6], off
	s_or_b32 s16, vcc_lo, s16
	s_waitcnt vmcnt(0)
	ds_store_b32 v4, v2
	v_add_nc_u32_e32 v4, s17, v4
	s_and_not1_b32 exec_lo, exec_lo, s16
	s_cbranch_execnz .LBB53_5
.LBB53_6:
	s_or_b32 exec_lo, exec_lo, s5
	v_mov_b32_e32 v2, 0xff800000
	s_waitcnt lgkmcnt(0)
	s_barrier
	buffer_gl0_inv
	s_and_saveexec_b32 s3, s2
	s_cbranch_execz .LBB53_10
; %bb.7:
	s_load_b32 s4, s[0:1], 0x44
	v_lshl_add_u32 v1, v0, 2, 0
	v_mov_b32_e32 v2, 0xff800000
	v_mov_b32_e32 v4, v0
	s_waitcnt lgkmcnt(0)
	s_and_b32 s5, s4, 0xffff
	s_mov_b32 s4, 0
	s_lshl_b32 s14, s5, 2
.LBB53_8:                               ; =>This Inner Loop Header: Depth=1
	ds_load_b32 v5, v1
	v_add_nc_u32_e32 v4, s5, v4
	v_dual_max_f32 v2, v2, v2 :: v_dual_add_nc_u32 v1, s14, v1
	s_waitcnt lgkmcnt(0)
	v_max_f32_e32 v5, v5, v5
	s_delay_alu instid0(VALU_DEP_3) | instskip(NEXT) | instid1(VALU_DEP_2)
	v_cmp_le_i32_e32 vcc_lo, s12, v4
	v_max_f32_e32 v2, v2, v5
	s_or_b32 s4, vcc_lo, s4
	s_delay_alu instid0(SALU_CYCLE_1)
	s_and_not1_b32 exec_lo, exec_lo, s4
	s_cbranch_execnz .LBB53_8
; %bb.9:
	s_or_b32 exec_lo, exec_lo, s4
.LBB53_10:
	s_delay_alu instid0(SALU_CYCLE_1)
	s_or_b32 exec_lo, exec_lo, s3
	v_mov_b32_e32 v1, 0
	;;#ASMSTART
	v_max_f32 v4, v2, v2 quad_perm:[1,0,3,2] row_mask:0xf bank_mask:0xf bound_ctrl:1
	;;#ASMEND
	;;#ASMSTART
	v_max_f32 v2, v4, v4 quad_perm:[2,3,0,1] row_mask:0xf bank_mask:0xf bound_ctrl:1
	;;#ASMEND
	;;#ASMSTART
	v_max_f32 v4, v2, v2 row_half_mirror row_mask:0xf bank_mask:0xf bound_ctrl:1
	;;#ASMEND
	;;#ASMSTART
	v_max_f32 v2, v4, v4 row_mirror row_mask:0xf bank_mask:0xf bound_ctrl:1
	;;#ASMEND
	s_and_saveexec_b32 s3, s2
	s_cbranch_execz .LBB53_14
; %bb.11:
	s_load_b32 s4, s[0:1], 0x44
	s_mov_b32 s5, 0x76543210
	v_lshl_add_u32 v4, v0, 2, 0
	v_permlanex16_b32 v1, v2, s5, 0xfedcba98 op_sel:[1,1]
	v_dual_mov_b32 v5, v0 :: v_dual_max_f32 v2, v2, v2
	s_delay_alu instid0(VALU_DEP_2) | instskip(NEXT) | instid1(VALU_DEP_1)
	v_max_f32_e32 v1, v1, v1
	v_dual_max_f32 v2, v2, v1 :: v_dual_mov_b32 v1, 0
	s_waitcnt lgkmcnt(0)
	s_and_b32 s5, s4, 0xffff
	s_mov_b32 s4, 0
	s_lshl_b32 s14, s5, 2
	.p2align	6
.LBB53_12:                              ; =>This Inner Loop Header: Depth=1
	ds_load_b32 v6, v4
	s_waitcnt lgkmcnt(0)
	v_dual_sub_f32 v6, v6, v2 :: v_dual_add_nc_u32 v5, s5, v5
	s_delay_alu instid0(VALU_DEP_1) | instskip(NEXT) | instid1(VALU_DEP_1)
	v_mul_f32_e32 v7, 0x3fb8aa3b, v6
	v_cmp_gt_f32_e32 vcc_lo, 0xc2fc0000, v7
	v_cndmask_b32_e64 v7, 0, 0x42800000, vcc_lo
	s_delay_alu instid0(VALU_DEP_1) | instskip(NEXT) | instid1(VALU_DEP_1)
	v_fmac_f32_e32 v7, 0x3fb8aa3b, v6
	v_exp_f32_e32 v6, v7
	v_cndmask_b32_e64 v7, 1.0, 0x1f800000, vcc_lo
	v_cmp_le_i32_e32 vcc_lo, s12, v5
	s_or_b32 s4, vcc_lo, s4
	s_waitcnt_depctr 0xfff
	v_mul_f32_e32 v8, v6, v7
	v_fmac_f32_e32 v1, v6, v7
	ds_store_b32 v4, v8
	v_add_nc_u32_e32 v4, s14, v4
	s_and_not1_b32 exec_lo, exec_lo, s4
	s_cbranch_execnz .LBB53_12
; %bb.13:
	s_or_b32 exec_lo, exec_lo, s4
.LBB53_14:
	s_delay_alu instid0(SALU_CYCLE_1) | instskip(SKIP_1) | instid1(VALU_DEP_1)
	s_or_b32 exec_lo, exec_lo, s3
	v_mov_b32_dpp v2, v1 quad_perm:[1,0,3,2] row_mask:0xf bank_mask:0xf
	v_add_f32_e32 v1, v1, v2
	s_delay_alu instid0(VALU_DEP_1) | instskip(NEXT) | instid1(VALU_DEP_1)
	v_mov_b32_dpp v2, v1 quad_perm:[2,3,0,1] row_mask:0xf bank_mask:0xf
	v_add_f32_e32 v1, v1, v2
	s_delay_alu instid0(VALU_DEP_1) | instskip(NEXT) | instid1(VALU_DEP_1)
	v_mov_b32_dpp v2, v1 row_xmask:7 row_mask:0xf bank_mask:0xf
	v_add_f32_e32 v1, v1, v2
	s_delay_alu instid0(VALU_DEP_1)
	v_mov_b32_dpp v2, v1 row_xmask:15 row_mask:0xf bank_mask:0xf
	s_and_saveexec_b32 s3, s2
	s_cbranch_execz .LBB53_19
; %bb.15:
	s_delay_alu instid0(VALU_DEP_1)
	v_add_f32_e32 v1, v1, v2
	s_load_b32 s5, s[0:1], 0x44
	s_mov_b32 s4, 0x76543210
	s_cmp_lg_u64 s[6:7], 0
	v_lshl_add_u32 v5, v0, 2, 0
	v_permlanex16_b32 v2, v1, s4, 0xfedcba98 op_sel:[1,1]
	s_cselect_b32 s4, -1, 0
	s_mov_b32 s14, 0
	s_delay_alu instid0(VALU_DEP_1) | instskip(NEXT) | instid1(VALU_DEP_1)
	v_add_f32_e32 v1, v1, v2
	v_rcp_f32_e32 v4, v1
	v_mov_b32_e32 v1, v0
	s_waitcnt lgkmcnt(0)
	s_and_b32 s5, s5, 0xffff
	s_delay_alu instid0(SALU_CYCLE_1)
	s_lshl_b32 s16, s5, 2
	s_set_inst_prefetch_distance 0x1
	s_branch .LBB53_17
	.p2align	6
.LBB53_16:                              ;   in Loop: Header=BB53_17 Depth=1
	v_add_nc_u32_e32 v1, s5, v1
	v_add_nc_u32_e32 v5, s16, v5
	s_delay_alu instid0(VALU_DEP_2) | instskip(SKIP_1) | instid1(SALU_CYCLE_1)
	v_cmp_le_i32_e32 vcc_lo, s12, v1
	s_or_b32 s14, vcc_lo, s14
	s_and_not1_b32 exec_lo, exec_lo, s14
	s_cbranch_execz .LBB53_19
.LBB53_17:                              ; =>This Inner Loop Header: Depth=1
	ds_load_b32 v2, v5
	s_and_not1_b32 vcc_lo, exec_lo, s4
	s_waitcnt lgkmcnt(0)
	v_mul_f32_e32 v6, v4, v2
	ds_store_b32 v5, v6
	s_cbranch_vccnz .LBB53_16
; %bb.18:                               ;   in Loop: Header=BB53_17 Depth=1
	v_ashrrev_i32_e32 v2, 31, v1
	s_delay_alu instid0(VALU_DEP_1) | instskip(NEXT) | instid1(VALU_DEP_1)
	v_lshlrev_b64 v[7:8], 1, v[1:2]
	v_add_co_u32 v7, vcc_lo, s6, v7
	s_delay_alu instid0(VALU_DEP_2) | instskip(SKIP_3) | instid1(VALU_DEP_1)
	v_add_co_ci_u32_e32 v8, vcc_lo, s7, v8, vcc_lo
	global_load_u16 v2, v[7:8], off
	s_waitcnt vmcnt(0)
	v_cvt_f32_f16_e32 v2, v2
	v_add_f32_e32 v2, v6, v2
	ds_store_b32 v5, v2
	s_branch .LBB53_16
.LBB53_19:
	s_set_inst_prefetch_distance 0x2
	s_or_b32 exec_lo, exec_lo, s3
	v_mov_b32_e32 v2, 0
	s_cmp_lt_i32 s13, 1
	s_waitcnt lgkmcnt(0)
	s_barrier
	buffer_gl0_inv
	s_cbranch_scc1 .LBB53_28
; %bb.20:
	s_add_u32 s4, s0, 56
	s_addc_u32 s5, s1, 0
	v_dual_mov_b32 v2, 0 :: v_dual_mov_b32 v5, 0
	v_dual_mov_b32 v6, 0xff800000 :: v_dual_mov_b32 v1, 0
	v_mov_b32_e32 v4, 0
	s_cmp_lg_u64 s[6:7], 0
	s_mov_b32 s14, 0
	s_cselect_b32 s3, -1, 0
	s_mov_b32 s18, 0x76543210
	s_branch .LBB53_22
.LBB53_21:                              ;   in Loop: Header=BB53_22 Depth=1
	v_cmp_eq_u32_e32 vcc_lo, s14, v0
	s_delay_alu instid0(VALU_DEP_2) | instskip(NEXT) | instid1(VALU_DEP_2)
	s_lshl_b32 s17, s16, 2
	v_add_f32_e32 v4, v4, v9
	s_add_i32 s17, s17, 0
	s_add_i32 s14, s14, 1
	v_cndmask_b32_e64 v1, v1, s16, vcc_lo
	v_dual_mov_b32 v7, s17 :: v_dual_cndmask_b32 v2, v2, v9
	s_cmp_eq_u32 s14, s13
	ds_store_b32 v7, v6
	s_cbranch_scc1 .LBB53_29
.LBB53_22:                              ; =>This Loop Header: Depth=1
                                        ;     Child Loop BB53_24 Depth 2
	v_dual_mov_b32 v7, s14 :: v_dual_mov_b32 v8, 0xff800000
	s_and_saveexec_b32 s16, s2
	s_cbranch_execz .LBB53_26
; %bb.23:                               ;   in Loop: Header=BB53_22 Depth=1
	s_load_b32 s17, s[4:5], 0xc
	v_dual_mov_b32 v7, s14 :: v_dual_mov_b32 v8, 0xff800000
	v_dual_mov_b32 v9, v3 :: v_dual_mov_b32 v10, v0
	s_mov_b32 s19, 0
	s_waitcnt lgkmcnt(0)
	s_and_b32 s17, s17, 0xffff
	s_delay_alu instid0(SALU_CYCLE_1)
	s_lshl_b32 s20, s17, 2
.LBB53_24:                              ;   Parent Loop BB53_22 Depth=1
                                        ; =>  This Inner Loop Header: Depth=2
	ds_load_b32 v11, v9
	v_add_nc_u32_e32 v9, s20, v9
	s_waitcnt lgkmcnt(0)
	v_cmp_gt_f32_e32 vcc_lo, v11, v8
	v_dual_cndmask_b32 v8, v8, v11 :: v_dual_cndmask_b32 v7, v7, v10
	v_add_nc_u32_e32 v10, s17, v10
	s_delay_alu instid0(VALU_DEP_1) | instskip(SKIP_1) | instid1(SALU_CYCLE_1)
	v_cmp_le_i32_e32 vcc_lo, s12, v10
	s_or_b32 s19, vcc_lo, s19
	s_and_not1_b32 exec_lo, exec_lo, s19
	s_cbranch_execnz .LBB53_24
; %bb.25:                               ;   in Loop: Header=BB53_22 Depth=1
	s_or_b32 exec_lo, exec_lo, s19
.LBB53_26:                              ;   in Loop: Header=BB53_22 Depth=1
	s_delay_alu instid0(SALU_CYCLE_1)
	s_or_b32 exec_lo, exec_lo, s16
	;;#ASMSTART
	v_max_f32 v9, v8, v8 quad_perm:[1,0,3,2] row_mask:0xf bank_mask:0xf bound_ctrl:1
	;;#ASMEND
	;;#ASMSTART
	v_max_f32 v10, v9, v9 quad_perm:[2,3,0,1] row_mask:0xf bank_mask:0xf bound_ctrl:1
	;;#ASMEND
	;;#ASMSTART
	v_max_f32 v9, v10, v10 row_half_mirror row_mask:0xf bank_mask:0xf bound_ctrl:1
	;;#ASMEND
	;;#ASMSTART
	v_max_f32 v10, v9, v9 row_mirror row_mask:0xf bank_mask:0xf bound_ctrl:1
	;;#ASMEND
	v_permlanex16_b32 v9, v10, s18, 0xfedcba98 op_sel:[1,1]
	s_delay_alu instid0(VALU_DEP_1) | instskip(NEXT) | instid1(VALU_DEP_1)
	v_dual_max_f32 v10, v10, v10 :: v_dual_max_f32 v9, v9, v9
	v_max_f32_e32 v9, v10, v9
	s_delay_alu instid0(VALU_DEP_1)
	v_cmp_eq_f32_e32 vcc_lo, v8, v9
	s_ctz_i32_b32 s16, vcc_lo
	s_cmp_lg_u32 vcc_lo, 0
	s_cselect_b32 s16, s16, 0
	s_and_b32 vcc_lo, exec_lo, s3
	v_readlane_b32 s16, v7, s16
	s_cbranch_vccz .LBB53_21
; %bb.27:                               ;   in Loop: Header=BB53_22 Depth=1
	s_delay_alu instid0(VALU_DEP_1) | instskip(NEXT) | instid1(SALU_CYCLE_1)
	s_ashr_i32 s17, s16, 31
	s_lshl_b64 s[20:21], s[16:17], 1
	s_delay_alu instid0(SALU_CYCLE_1) | instskip(SKIP_4) | instid1(VALU_DEP_1)
	s_add_u32 s20, s6, s20
	s_addc_u32 s21, s7, s21
	global_load_u16 v7, v5, s[20:21]
	s_waitcnt vmcnt(0)
	v_cvt_f32_f16_e32 v7, v7
	v_sub_f32_e32 v9, v9, v7
	s_branch .LBB53_21
.LBB53_28:
	v_dual_mov_b32 v1, 0 :: v_dual_mov_b32 v4, 0
.LBB53_29:
	s_mov_b32 s2, exec_lo
	v_cmpx_gt_i32_e64 s13, v0
	s_cbranch_execz .LBB53_32
; %bb.30:
	s_clause 0x1
	s_load_b32 s2, s[0:1], 0x34
	s_load_b32 s3, s[0:1], 0x44
	v_max_f32_e32 v3, v4, v4
	s_load_b64 s[0:1], s[0:1], 0x20
	s_ashr_i32 s4, s15, 31
	s_delay_alu instid0(VALU_DEP_1) | instskip(SKIP_1) | instid1(VALU_DEP_1)
	v_max_f32_e32 v3, 0x1e3ce508, v3
	s_waitcnt lgkmcnt(0)
	v_div_scale_f32 v4, null, v3, v3, s2
	v_div_scale_f32 v7, vcc_lo, s2, v3, s2
	s_mul_i32 s1, s15, s1
	s_delay_alu instid0(VALU_DEP_2) | instskip(SKIP_4) | instid1(VALU_DEP_1)
	v_rcp_f32_e32 v5, v4
	s_mul_i32 s4, s4, s0
	s_and_b32 s3, s3, 0xffff
	s_waitcnt_depctr 0xfff
	v_fma_f32 v6, -v4, v5, 1.0
	v_fmac_f32_e32 v5, v6, v5
	s_delay_alu instid0(VALU_DEP_1) | instskip(NEXT) | instid1(VALU_DEP_1)
	v_mul_f32_e32 v6, v7, v5
	v_fma_f32 v8, -v4, v6, v7
	s_delay_alu instid0(VALU_DEP_1) | instskip(NEXT) | instid1(VALU_DEP_1)
	v_fmac_f32_e32 v6, v8, v5
	v_fma_f32 v4, -v4, v6, v7
	s_delay_alu instid0(VALU_DEP_1) | instskip(NEXT) | instid1(VALU_DEP_1)
	v_div_fmas_f32 v4, v4, v5, v6
	v_div_fixup_f32 v3, v4, v3, s2
	s_mul_hi_u32 s2, s15, s0
	s_delay_alu instid0(SALU_CYCLE_1) | instskip(SKIP_1) | instid1(VALU_DEP_1)
	s_add_i32 s1, s2, s1
	s_mul_i32 s2, s15, s0
	v_mul_f32_e32 v2, v2, v3
	s_add_i32 s1, s1, s4
	s_mov_b32 s4, 0
	.p2align	6
.LBB53_31:                              ; =>This Inner Loop Header: Depth=1
	v_ashrrev_i32_e32 v4, 31, v0
	v_add_co_u32 v3, vcc_lo, s2, v0
	v_add_nc_u32_e32 v0, s3, v0
	s_delay_alu instid0(VALU_DEP_3) | instskip(NEXT) | instid1(VALU_DEP_2)
	v_add_co_ci_u32_e32 v4, vcc_lo, s1, v4, vcc_lo
	v_cmp_le_i32_e32 vcc_lo, s13, v0
	s_delay_alu instid0(VALU_DEP_2) | instskip(SKIP_1) | instid1(VALU_DEP_1)
	v_lshlrev_b64 v[3:4], 2, v[3:4]
	s_or_b32 s4, vcc_lo, s4
	v_add_co_u32 v5, s0, s8, v3
	s_delay_alu instid0(VALU_DEP_1) | instskip(SKIP_1) | instid1(VALU_DEP_1)
	v_add_co_ci_u32_e64 v6, s0, s9, v4, s0
	v_add_co_u32 v3, s0, s10, v3
	v_add_co_ci_u32_e64 v4, s0, s11, v4, s0
	global_store_b32 v[5:6], v2, off
	global_store_b32 v[3:4], v1, off
	s_and_not1_b32 exec_lo, exec_lo, s4
	s_cbranch_execnz .LBB53_31
.LBB53_32:
	s_nop 0
	s_sendmsg sendmsg(MSG_DEALLOC_VGPRS)
	s_endpgm
	.section	.rodata,"a",@progbits
	.p2align	6, 0x0
	.amdhsa_kernel _ZN5aiter20topk_softplus_kernelIf6__halfDv1_fLb1ELi2EEEvPKT_PKT0_PfPimiiif
		.amdhsa_group_segment_fixed_size 0
		.amdhsa_private_segment_fixed_size 0
		.amdhsa_kernarg_size 312
		.amdhsa_user_sgpr_count 15
		.amdhsa_user_sgpr_dispatch_ptr 0
		.amdhsa_user_sgpr_queue_ptr 0
		.amdhsa_user_sgpr_kernarg_segment_ptr 1
		.amdhsa_user_sgpr_dispatch_id 0
		.amdhsa_user_sgpr_private_segment_size 0
		.amdhsa_wavefront_size32 1
		.amdhsa_uses_dynamic_stack 0
		.amdhsa_enable_private_segment 0
		.amdhsa_system_sgpr_workgroup_id_x 1
		.amdhsa_system_sgpr_workgroup_id_y 0
		.amdhsa_system_sgpr_workgroup_id_z 0
		.amdhsa_system_sgpr_workgroup_info 0
		.amdhsa_system_vgpr_workitem_id 0
		.amdhsa_next_free_vgpr 12
		.amdhsa_next_free_sgpr 22
		.amdhsa_reserve_vcc 1
		.amdhsa_float_round_mode_32 0
		.amdhsa_float_round_mode_16_64 0
		.amdhsa_float_denorm_mode_32 3
		.amdhsa_float_denorm_mode_16_64 3
		.amdhsa_dx10_clamp 1
		.amdhsa_ieee_mode 1
		.amdhsa_fp16_overflow 0
		.amdhsa_workgroup_processor_mode 1
		.amdhsa_memory_ordered 1
		.amdhsa_forward_progress 0
		.amdhsa_shared_vgpr_count 0
		.amdhsa_exception_fp_ieee_invalid_op 0
		.amdhsa_exception_fp_denorm_src 0
		.amdhsa_exception_fp_ieee_div_zero 0
		.amdhsa_exception_fp_ieee_overflow 0
		.amdhsa_exception_fp_ieee_underflow 0
		.amdhsa_exception_fp_ieee_inexact 0
		.amdhsa_exception_int_div_zero 0
	.end_amdhsa_kernel
	.section	.text._ZN5aiter20topk_softplus_kernelIf6__halfDv1_fLb1ELi2EEEvPKT_PKT0_PfPimiiif,"axG",@progbits,_ZN5aiter20topk_softplus_kernelIf6__halfDv1_fLb1ELi2EEEvPKT_PKT0_PfPimiiif,comdat
.Lfunc_end53:
	.size	_ZN5aiter20topk_softplus_kernelIf6__halfDv1_fLb1ELi2EEEvPKT_PKT0_PfPimiiif, .Lfunc_end53-_ZN5aiter20topk_softplus_kernelIf6__halfDv1_fLb1ELi2EEEvPKT_PKT0_PfPimiiif
                                        ; -- End function
	.section	.AMDGPU.csdata,"",@progbits
; Kernel info:
; codeLenInByte = 1884
; NumSgprs: 24
; NumVgprs: 12
; ScratchSize: 0
; MemoryBound: 0
; FloatMode: 240
; IeeeMode: 1
; LDSByteSize: 0 bytes/workgroup (compile time only)
; SGPRBlocks: 2
; VGPRBlocks: 1
; NumSGPRsForWavesPerEU: 24
; NumVGPRsForWavesPerEU: 12
; Occupancy: 16
; WaveLimiterHint : 0
; COMPUTE_PGM_RSRC2:SCRATCH_EN: 0
; COMPUTE_PGM_RSRC2:USER_SGPR: 15
; COMPUTE_PGM_RSRC2:TRAP_HANDLER: 0
; COMPUTE_PGM_RSRC2:TGID_X_EN: 1
; COMPUTE_PGM_RSRC2:TGID_Y_EN: 0
; COMPUTE_PGM_RSRC2:TGID_Z_EN: 0
; COMPUTE_PGM_RSRC2:TIDIG_COMP_CNT: 0
	.section	.text._ZN5aiter20topk_softplus_kernelIf6__halfDv1_fLb0ELi2EEEvPKT_PKT0_PfPimiiif,"axG",@progbits,_ZN5aiter20topk_softplus_kernelIf6__halfDv1_fLb0ELi2EEEvPKT_PKT0_PfPimiiif,comdat
	.protected	_ZN5aiter20topk_softplus_kernelIf6__halfDv1_fLb0ELi2EEEvPKT_PKT0_PfPimiiif ; -- Begin function _ZN5aiter20topk_softplus_kernelIf6__halfDv1_fLb0ELi2EEEvPKT_PKT0_PfPimiiif
	.globl	_ZN5aiter20topk_softplus_kernelIf6__halfDv1_fLb0ELi2EEEvPKT_PKT0_PfPimiiif
	.p2align	8
	.type	_ZN5aiter20topk_softplus_kernelIf6__halfDv1_fLb0ELi2EEEvPKT_PKT0_PfPimiiif,@function
_ZN5aiter20topk_softplus_kernelIf6__halfDv1_fLb0ELi2EEEvPKT_PKT0_PfPimiiif: ; @_ZN5aiter20topk_softplus_kernelIf6__halfDv1_fLb0ELi2EEEvPKT_PKT0_PfPimiiif
; %bb.0:
	s_clause 0x1
	s_load_b64 s[12:13], s[0:1], 0x28
	s_load_b256 s[4:11], s[0:1], 0x0
	v_lshl_add_u32 v3, v0, 2, 0
	s_waitcnt lgkmcnt(0)
	s_mul_i32 s16, s15, s12
	v_cmp_gt_i32_e64 s2, s12, v0
	s_ashr_i32 s17, s16, 31
	s_delay_alu instid0(SALU_CYCLE_1) | instskip(NEXT) | instid1(SALU_CYCLE_1)
	s_lshl_b64 s[16:17], s[16:17], 2
	s_add_u32 s3, s4, s16
	s_addc_u32 s4, s5, s17
	s_and_saveexec_b32 s5, s2
	s_cbranch_execz .LBB54_3
; %bb.1:
	s_load_b32 s14, s[0:1], 0x44
	v_lshl_add_u32 v4, v0, 2, 0
	v_mov_b32_e32 v1, v0
	s_mov_b32 s16, 0
	s_waitcnt lgkmcnt(0)
	s_and_b32 s14, s14, 0xffff
	s_delay_alu instid0(SALU_CYCLE_1)
	s_lshl_b32 s17, s14, 2
.LBB54_2:                               ; =>This Inner Loop Header: Depth=1
	v_ashrrev_i32_e32 v2, 31, v1
	s_delay_alu instid0(VALU_DEP_1) | instskip(SKIP_1) | instid1(VALU_DEP_2)
	v_lshlrev_b64 v[5:6], 2, v[1:2]
	v_add_nc_u32_e32 v1, s14, v1
	v_add_co_u32 v5, vcc_lo, s3, v5
	s_delay_alu instid0(VALU_DEP_3) | instskip(NEXT) | instid1(VALU_DEP_3)
	v_add_co_ci_u32_e32 v6, vcc_lo, s4, v6, vcc_lo
	v_cmp_le_i32_e32 vcc_lo, s12, v1
	global_load_b32 v2, v[5:6], off
	s_or_b32 s16, vcc_lo, s16
	s_waitcnt vmcnt(0)
	ds_store_b32 v4, v2
	v_add_nc_u32_e32 v4, s17, v4
	s_and_not1_b32 exec_lo, exec_lo, s16
	s_cbranch_execnz .LBB54_2
.LBB54_3:
	s_or_b32 exec_lo, exec_lo, s5
	v_add_nc_u32_e32 v1, s12, v0
	s_mov_b32 s5, exec_lo
	s_delay_alu instid0(VALU_DEP_1)
	v_cmpx_gt_i32_e64 s12, v1
	s_cbranch_execz .LBB54_6
; %bb.4:
	s_load_b32 s14, s[0:1], 0x44
	v_lshl_add_u32 v4, v1, 2, 0
	s_mov_b32 s16, 0
	s_waitcnt lgkmcnt(0)
	s_and_b32 s14, s14, 0xffff
	s_delay_alu instid0(SALU_CYCLE_1)
	s_lshl_b32 s17, s14, 2
.LBB54_5:                               ; =>This Inner Loop Header: Depth=1
	v_ashrrev_i32_e32 v2, 31, v1
	s_delay_alu instid0(VALU_DEP_1) | instskip(SKIP_1) | instid1(VALU_DEP_2)
	v_lshlrev_b64 v[5:6], 2, v[1:2]
	v_add_nc_u32_e32 v1, s14, v1
	v_add_co_u32 v5, vcc_lo, s3, v5
	s_delay_alu instid0(VALU_DEP_3) | instskip(NEXT) | instid1(VALU_DEP_3)
	v_add_co_ci_u32_e32 v6, vcc_lo, s4, v6, vcc_lo
	v_cmp_le_i32_e32 vcc_lo, s12, v1
	global_load_b32 v2, v[5:6], off
	s_or_b32 s16, vcc_lo, s16
	s_waitcnt vmcnt(0)
	ds_store_b32 v4, v2
	v_add_nc_u32_e32 v4, s17, v4
	s_and_not1_b32 exec_lo, exec_lo, s16
	s_cbranch_execnz .LBB54_5
.LBB54_6:
	s_or_b32 exec_lo, exec_lo, s5
	v_mov_b32_e32 v2, 0xff800000
	s_waitcnt lgkmcnt(0)
	s_barrier
	buffer_gl0_inv
	s_and_saveexec_b32 s3, s2
	s_cbranch_execz .LBB54_10
; %bb.7:
	s_load_b32 s4, s[0:1], 0x44
	v_lshl_add_u32 v1, v0, 2, 0
	v_mov_b32_e32 v2, 0xff800000
	v_mov_b32_e32 v4, v0
	s_waitcnt lgkmcnt(0)
	s_and_b32 s5, s4, 0xffff
	s_mov_b32 s4, 0
	s_lshl_b32 s14, s5, 2
.LBB54_8:                               ; =>This Inner Loop Header: Depth=1
	ds_load_b32 v5, v1
	v_add_nc_u32_e32 v4, s5, v4
	v_dual_max_f32 v2, v2, v2 :: v_dual_add_nc_u32 v1, s14, v1
	s_waitcnt lgkmcnt(0)
	v_max_f32_e32 v5, v5, v5
	s_delay_alu instid0(VALU_DEP_3) | instskip(NEXT) | instid1(VALU_DEP_2)
	v_cmp_le_i32_e32 vcc_lo, s12, v4
	v_max_f32_e32 v2, v2, v5
	s_or_b32 s4, vcc_lo, s4
	s_delay_alu instid0(SALU_CYCLE_1)
	s_and_not1_b32 exec_lo, exec_lo, s4
	s_cbranch_execnz .LBB54_8
; %bb.9:
	s_or_b32 exec_lo, exec_lo, s4
.LBB54_10:
	s_delay_alu instid0(SALU_CYCLE_1)
	s_or_b32 exec_lo, exec_lo, s3
	v_mov_b32_e32 v1, 0
	;;#ASMSTART
	v_max_f32 v4, v2, v2 quad_perm:[1,0,3,2] row_mask:0xf bank_mask:0xf bound_ctrl:1
	;;#ASMEND
	;;#ASMSTART
	v_max_f32 v2, v4, v4 quad_perm:[2,3,0,1] row_mask:0xf bank_mask:0xf bound_ctrl:1
	;;#ASMEND
	;;#ASMSTART
	v_max_f32 v4, v2, v2 row_half_mirror row_mask:0xf bank_mask:0xf bound_ctrl:1
	;;#ASMEND
	;;#ASMSTART
	v_max_f32 v2, v4, v4 row_mirror row_mask:0xf bank_mask:0xf bound_ctrl:1
	;;#ASMEND
	s_and_saveexec_b32 s3, s2
	s_cbranch_execz .LBB54_14
; %bb.11:
	s_load_b32 s4, s[0:1], 0x44
	s_mov_b32 s5, 0x76543210
	v_lshl_add_u32 v4, v0, 2, 0
	v_permlanex16_b32 v1, v2, s5, 0xfedcba98 op_sel:[1,1]
	v_dual_mov_b32 v5, v0 :: v_dual_max_f32 v2, v2, v2
	s_delay_alu instid0(VALU_DEP_2) | instskip(NEXT) | instid1(VALU_DEP_1)
	v_max_f32_e32 v1, v1, v1
	v_dual_max_f32 v2, v2, v1 :: v_dual_mov_b32 v1, 0
	s_waitcnt lgkmcnt(0)
	s_and_b32 s5, s4, 0xffff
	s_mov_b32 s4, 0
	s_lshl_b32 s14, s5, 2
	.p2align	6
.LBB54_12:                              ; =>This Inner Loop Header: Depth=1
	ds_load_b32 v6, v4
	s_waitcnt lgkmcnt(0)
	v_dual_sub_f32 v6, v6, v2 :: v_dual_add_nc_u32 v5, s5, v5
	s_delay_alu instid0(VALU_DEP_1) | instskip(NEXT) | instid1(VALU_DEP_1)
	v_mul_f32_e32 v7, 0x3fb8aa3b, v6
	v_cmp_gt_f32_e32 vcc_lo, 0xc2fc0000, v7
	v_cndmask_b32_e64 v7, 0, 0x42800000, vcc_lo
	s_delay_alu instid0(VALU_DEP_1) | instskip(NEXT) | instid1(VALU_DEP_1)
	v_fmac_f32_e32 v7, 0x3fb8aa3b, v6
	v_exp_f32_e32 v6, v7
	v_cndmask_b32_e64 v7, 1.0, 0x1f800000, vcc_lo
	v_cmp_le_i32_e32 vcc_lo, s12, v5
	s_or_b32 s4, vcc_lo, s4
	s_waitcnt_depctr 0xfff
	v_mul_f32_e32 v8, v6, v7
	v_fmac_f32_e32 v1, v6, v7
	ds_store_b32 v4, v8
	v_add_nc_u32_e32 v4, s14, v4
	s_and_not1_b32 exec_lo, exec_lo, s4
	s_cbranch_execnz .LBB54_12
; %bb.13:
	s_or_b32 exec_lo, exec_lo, s4
.LBB54_14:
	s_delay_alu instid0(SALU_CYCLE_1) | instskip(SKIP_1) | instid1(VALU_DEP_1)
	s_or_b32 exec_lo, exec_lo, s3
	v_mov_b32_dpp v2, v1 quad_perm:[1,0,3,2] row_mask:0xf bank_mask:0xf
	v_add_f32_e32 v1, v1, v2
	s_delay_alu instid0(VALU_DEP_1) | instskip(NEXT) | instid1(VALU_DEP_1)
	v_mov_b32_dpp v2, v1 quad_perm:[2,3,0,1] row_mask:0xf bank_mask:0xf
	v_add_f32_e32 v1, v1, v2
	s_delay_alu instid0(VALU_DEP_1) | instskip(NEXT) | instid1(VALU_DEP_1)
	v_mov_b32_dpp v2, v1 row_xmask:7 row_mask:0xf bank_mask:0xf
	v_add_f32_e32 v1, v1, v2
	s_delay_alu instid0(VALU_DEP_1)
	v_mov_b32_dpp v2, v1 row_xmask:15 row_mask:0xf bank_mask:0xf
	s_and_saveexec_b32 s3, s2
	s_cbranch_execz .LBB54_19
; %bb.15:
	s_delay_alu instid0(VALU_DEP_1)
	v_add_f32_e32 v1, v1, v2
	s_load_b32 s5, s[0:1], 0x44
	s_mov_b32 s4, 0x76543210
	s_cmp_lg_u64 s[6:7], 0
	v_lshl_add_u32 v5, v0, 2, 0
	v_permlanex16_b32 v2, v1, s4, 0xfedcba98 op_sel:[1,1]
	s_cselect_b32 s4, -1, 0
	s_mov_b32 s14, 0
	s_delay_alu instid0(VALU_DEP_1) | instskip(NEXT) | instid1(VALU_DEP_1)
	v_add_f32_e32 v1, v1, v2
	v_rcp_f32_e32 v4, v1
	v_mov_b32_e32 v1, v0
	s_waitcnt lgkmcnt(0)
	s_and_b32 s5, s5, 0xffff
	s_delay_alu instid0(SALU_CYCLE_1)
	s_lshl_b32 s16, s5, 2
	s_set_inst_prefetch_distance 0x1
	s_branch .LBB54_17
	.p2align	6
.LBB54_16:                              ;   in Loop: Header=BB54_17 Depth=1
	v_add_nc_u32_e32 v1, s5, v1
	v_add_nc_u32_e32 v5, s16, v5
	s_delay_alu instid0(VALU_DEP_2) | instskip(SKIP_1) | instid1(SALU_CYCLE_1)
	v_cmp_le_i32_e32 vcc_lo, s12, v1
	s_or_b32 s14, vcc_lo, s14
	s_and_not1_b32 exec_lo, exec_lo, s14
	s_cbranch_execz .LBB54_19
.LBB54_17:                              ; =>This Inner Loop Header: Depth=1
	ds_load_b32 v2, v5
	s_and_not1_b32 vcc_lo, exec_lo, s4
	s_waitcnt lgkmcnt(0)
	v_mul_f32_e32 v6, v4, v2
	ds_store_b32 v5, v6
	s_cbranch_vccnz .LBB54_16
; %bb.18:                               ;   in Loop: Header=BB54_17 Depth=1
	v_ashrrev_i32_e32 v2, 31, v1
	s_delay_alu instid0(VALU_DEP_1) | instskip(NEXT) | instid1(VALU_DEP_1)
	v_lshlrev_b64 v[7:8], 1, v[1:2]
	v_add_co_u32 v7, vcc_lo, s6, v7
	s_delay_alu instid0(VALU_DEP_2) | instskip(SKIP_3) | instid1(VALU_DEP_1)
	v_add_co_ci_u32_e32 v8, vcc_lo, s7, v8, vcc_lo
	global_load_u16 v2, v[7:8], off
	s_waitcnt vmcnt(0)
	v_cvt_f32_f16_e32 v2, v2
	v_add_f32_e32 v2, v6, v2
	ds_store_b32 v5, v2
	s_branch .LBB54_16
.LBB54_19:
	s_set_inst_prefetch_distance 0x2
	s_or_b32 exec_lo, exec_lo, s3
	s_cmp_lt_i32 s13, 1
	s_waitcnt lgkmcnt(0)
	s_barrier
	buffer_gl0_inv
	s_cbranch_scc1 .LBB54_28
; %bb.20:
	s_add_u32 s4, s0, 56
	s_addc_u32 s5, s1, 0
	v_dual_mov_b32 v4, 0 :: v_dual_mov_b32 v1, 0
	v_dual_mov_b32 v5, 0xff800000 :: v_dual_mov_b32 v2, 0
	s_cmp_lg_u64 s[6:7], 0
	s_mov_b32 s14, 0
	s_cselect_b32 s3, -1, 0
	s_mov_b32 s18, 0x76543210
	s_branch .LBB54_22
.LBB54_21:                              ;   in Loop: Header=BB54_22 Depth=1
	v_cmp_eq_u32_e32 vcc_lo, s14, v0
	s_delay_alu instid0(VALU_DEP_2)
	s_lshl_b32 s17, s16, 2
	s_add_i32 s14, s14, 1
	s_add_i32 s17, s17, 0
	s_cmp_eq_u32 s14, s13
	v_cndmask_b32_e64 v1, v1, s16, vcc_lo
	v_mov_b32_e32 v6, s17
	v_cndmask_b32_e32 v2, v2, v8, vcc_lo
	ds_store_b32 v6, v5
	s_cbranch_scc1 .LBB54_29
.LBB54_22:                              ; =>This Loop Header: Depth=1
                                        ;     Child Loop BB54_24 Depth 2
	v_dual_mov_b32 v6, s14 :: v_dual_mov_b32 v7, 0xff800000
	s_and_saveexec_b32 s16, s2
	s_cbranch_execz .LBB54_26
; %bb.23:                               ;   in Loop: Header=BB54_22 Depth=1
	s_load_b32 s17, s[4:5], 0xc
	v_dual_mov_b32 v6, s14 :: v_dual_mov_b32 v7, 0xff800000
	v_dual_mov_b32 v8, v3 :: v_dual_mov_b32 v9, v0
	s_mov_b32 s19, 0
	s_waitcnt lgkmcnt(0)
	s_and_b32 s17, s17, 0xffff
	s_delay_alu instid0(SALU_CYCLE_1)
	s_lshl_b32 s20, s17, 2
.LBB54_24:                              ;   Parent Loop BB54_22 Depth=1
                                        ; =>  This Inner Loop Header: Depth=2
	ds_load_b32 v10, v8
	v_add_nc_u32_e32 v8, s20, v8
	s_waitcnt lgkmcnt(0)
	v_cmp_gt_f32_e32 vcc_lo, v10, v7
	v_dual_cndmask_b32 v7, v7, v10 :: v_dual_cndmask_b32 v6, v6, v9
	v_add_nc_u32_e32 v9, s17, v9
	s_delay_alu instid0(VALU_DEP_1) | instskip(SKIP_1) | instid1(SALU_CYCLE_1)
	v_cmp_le_i32_e32 vcc_lo, s12, v9
	s_or_b32 s19, vcc_lo, s19
	s_and_not1_b32 exec_lo, exec_lo, s19
	s_cbranch_execnz .LBB54_24
; %bb.25:                               ;   in Loop: Header=BB54_22 Depth=1
	s_or_b32 exec_lo, exec_lo, s19
.LBB54_26:                              ;   in Loop: Header=BB54_22 Depth=1
	s_delay_alu instid0(SALU_CYCLE_1)
	s_or_b32 exec_lo, exec_lo, s16
	;;#ASMSTART
	v_max_f32 v8, v7, v7 quad_perm:[1,0,3,2] row_mask:0xf bank_mask:0xf bound_ctrl:1
	;;#ASMEND
	;;#ASMSTART
	v_max_f32 v9, v8, v8 quad_perm:[2,3,0,1] row_mask:0xf bank_mask:0xf bound_ctrl:1
	;;#ASMEND
	;;#ASMSTART
	v_max_f32 v8, v9, v9 row_half_mirror row_mask:0xf bank_mask:0xf bound_ctrl:1
	;;#ASMEND
	;;#ASMSTART
	v_max_f32 v9, v8, v8 row_mirror row_mask:0xf bank_mask:0xf bound_ctrl:1
	;;#ASMEND
	v_permlanex16_b32 v8, v9, s18, 0xfedcba98 op_sel:[1,1]
	s_delay_alu instid0(VALU_DEP_1) | instskip(NEXT) | instid1(VALU_DEP_1)
	v_dual_max_f32 v9, v9, v9 :: v_dual_max_f32 v8, v8, v8
	v_max_f32_e32 v8, v9, v8
	s_delay_alu instid0(VALU_DEP_1)
	v_cmp_eq_f32_e32 vcc_lo, v7, v8
	s_ctz_i32_b32 s16, vcc_lo
	s_cmp_lg_u32 vcc_lo, 0
	s_cselect_b32 s16, s16, 0
	s_and_b32 vcc_lo, exec_lo, s3
	v_readlane_b32 s16, v6, s16
	s_cbranch_vccz .LBB54_21
; %bb.27:                               ;   in Loop: Header=BB54_22 Depth=1
	s_delay_alu instid0(VALU_DEP_1) | instskip(NEXT) | instid1(SALU_CYCLE_1)
	s_ashr_i32 s17, s16, 31
	s_lshl_b64 s[20:21], s[16:17], 1
	s_delay_alu instid0(SALU_CYCLE_1) | instskip(SKIP_4) | instid1(VALU_DEP_1)
	s_add_u32 s20, s6, s20
	s_addc_u32 s21, s7, s21
	global_load_u16 v6, v4, s[20:21]
	s_waitcnt vmcnt(0)
	v_cvt_f32_f16_e32 v6, v6
	v_sub_f32_e32 v8, v8, v6
	s_branch .LBB54_21
.LBB54_28:
	v_dual_mov_b32 v2, 0 :: v_dual_mov_b32 v1, 0
.LBB54_29:
	s_mov_b32 s2, exec_lo
	v_cmpx_gt_i32_e64 s13, v0
	s_cbranch_execz .LBB54_32
; %bb.30:
	s_clause 0x2
	s_load_b32 s4, s[0:1], 0x34
	s_load_b64 s[2:3], s[0:1], 0x20
	s_load_b32 s0, s[0:1], 0x44
	s_ashr_i32 s1, s15, 31
	s_waitcnt lgkmcnt(0)
	v_mul_f32_e32 v2, s4, v2
	s_mul_i32 s3, s15, s3
	s_mul_hi_u32 s4, s15, s2
	s_mul_i32 s5, s1, s2
	s_add_i32 s3, s4, s3
	s_mul_i32 s1, s15, s2
	s_and_b32 s2, s0, 0xffff
	s_add_i32 s3, s3, s5
	s_mov_b32 s4, 0
	.p2align	6
.LBB54_31:                              ; =>This Inner Loop Header: Depth=1
	v_ashrrev_i32_e32 v4, 31, v0
	v_add_co_u32 v3, vcc_lo, s1, v0
	v_add_nc_u32_e32 v0, s2, v0
	s_delay_alu instid0(VALU_DEP_3) | instskip(NEXT) | instid1(VALU_DEP_2)
	v_add_co_ci_u32_e32 v4, vcc_lo, s3, v4, vcc_lo
	v_cmp_le_i32_e32 vcc_lo, s13, v0
	s_delay_alu instid0(VALU_DEP_2) | instskip(SKIP_1) | instid1(VALU_DEP_1)
	v_lshlrev_b64 v[3:4], 2, v[3:4]
	s_or_b32 s4, vcc_lo, s4
	v_add_co_u32 v5, s0, s8, v3
	s_delay_alu instid0(VALU_DEP_1) | instskip(SKIP_1) | instid1(VALU_DEP_1)
	v_add_co_ci_u32_e64 v6, s0, s9, v4, s0
	v_add_co_u32 v3, s0, s10, v3
	v_add_co_ci_u32_e64 v4, s0, s11, v4, s0
	global_store_b32 v[5:6], v2, off
	global_store_b32 v[3:4], v1, off
	s_and_not1_b32 exec_lo, exec_lo, s4
	s_cbranch_execnz .LBB54_31
.LBB54_32:
	s_nop 0
	s_sendmsg sendmsg(MSG_DEALLOC_VGPRS)
	s_endpgm
	.section	.rodata,"a",@progbits
	.p2align	6, 0x0
	.amdhsa_kernel _ZN5aiter20topk_softplus_kernelIf6__halfDv1_fLb0ELi2EEEvPKT_PKT0_PfPimiiif
		.amdhsa_group_segment_fixed_size 0
		.amdhsa_private_segment_fixed_size 0
		.amdhsa_kernarg_size 312
		.amdhsa_user_sgpr_count 15
		.amdhsa_user_sgpr_dispatch_ptr 0
		.amdhsa_user_sgpr_queue_ptr 0
		.amdhsa_user_sgpr_kernarg_segment_ptr 1
		.amdhsa_user_sgpr_dispatch_id 0
		.amdhsa_user_sgpr_private_segment_size 0
		.amdhsa_wavefront_size32 1
		.amdhsa_uses_dynamic_stack 0
		.amdhsa_enable_private_segment 0
		.amdhsa_system_sgpr_workgroup_id_x 1
		.amdhsa_system_sgpr_workgroup_id_y 0
		.amdhsa_system_sgpr_workgroup_id_z 0
		.amdhsa_system_sgpr_workgroup_info 0
		.amdhsa_system_vgpr_workitem_id 0
		.amdhsa_next_free_vgpr 11
		.amdhsa_next_free_sgpr 22
		.amdhsa_reserve_vcc 1
		.amdhsa_float_round_mode_32 0
		.amdhsa_float_round_mode_16_64 0
		.amdhsa_float_denorm_mode_32 3
		.amdhsa_float_denorm_mode_16_64 3
		.amdhsa_dx10_clamp 1
		.amdhsa_ieee_mode 1
		.amdhsa_fp16_overflow 0
		.amdhsa_workgroup_processor_mode 1
		.amdhsa_memory_ordered 1
		.amdhsa_forward_progress 0
		.amdhsa_shared_vgpr_count 0
		.amdhsa_exception_fp_ieee_invalid_op 0
		.amdhsa_exception_fp_denorm_src 0
		.amdhsa_exception_fp_ieee_div_zero 0
		.amdhsa_exception_fp_ieee_overflow 0
		.amdhsa_exception_fp_ieee_underflow 0
		.amdhsa_exception_fp_ieee_inexact 0
		.amdhsa_exception_int_div_zero 0
	.end_amdhsa_kernel
	.section	.text._ZN5aiter20topk_softplus_kernelIf6__halfDv1_fLb0ELi2EEEvPKT_PKT0_PfPimiiif,"axG",@progbits,_ZN5aiter20topk_softplus_kernelIf6__halfDv1_fLb0ELi2EEEvPKT_PKT0_PfPimiiif,comdat
.Lfunc_end54:
	.size	_ZN5aiter20topk_softplus_kernelIf6__halfDv1_fLb0ELi2EEEvPKT_PKT0_PfPimiiif, .Lfunc_end54-_ZN5aiter20topk_softplus_kernelIf6__halfDv1_fLb0ELi2EEEvPKT_PKT0_PfPimiiif
                                        ; -- End function
	.section	.AMDGPU.csdata,"",@progbits
; Kernel info:
; codeLenInByte = 1760
; NumSgprs: 24
; NumVgprs: 11
; ScratchSize: 0
; MemoryBound: 0
; FloatMode: 240
; IeeeMode: 1
; LDSByteSize: 0 bytes/workgroup (compile time only)
; SGPRBlocks: 2
; VGPRBlocks: 1
; NumSGPRsForWavesPerEU: 24
; NumVGPRsForWavesPerEU: 11
; Occupancy: 16
; WaveLimiterHint : 0
; COMPUTE_PGM_RSRC2:SCRATCH_EN: 0
; COMPUTE_PGM_RSRC2:USER_SGPR: 15
; COMPUTE_PGM_RSRC2:TRAP_HANDLER: 0
; COMPUTE_PGM_RSRC2:TGID_X_EN: 1
; COMPUTE_PGM_RSRC2:TGID_Y_EN: 0
; COMPUTE_PGM_RSRC2:TGID_Z_EN: 0
; COMPUTE_PGM_RSRC2:TIDIG_COMP_CNT: 0
	.section	.text._ZN5aiter24topk_softplus_kernel_optIf6__halfLi64ELb1ELi0EEEvPKT_PKT0_PfPimiif,"axG",@progbits,_ZN5aiter24topk_softplus_kernel_optIf6__halfLi64ELb1ELi0EEEvPKT_PKT0_PfPimiif,comdat
	.protected	_ZN5aiter24topk_softplus_kernel_optIf6__halfLi64ELb1ELi0EEEvPKT_PKT0_PfPimiif ; -- Begin function _ZN5aiter24topk_softplus_kernel_optIf6__halfLi64ELb1ELi0EEEvPKT_PKT0_PfPimiif
	.globl	_ZN5aiter24topk_softplus_kernel_optIf6__halfLi64ELb1ELi0EEEvPKT_PKT0_PfPimiif
	.p2align	8
	.type	_ZN5aiter24topk_softplus_kernel_optIf6__halfLi64ELb1ELi0EEEvPKT_PKT0_PfPimiif,@function
_ZN5aiter24topk_softplus_kernel_optIf6__halfLi64ELb1ELi0EEEvPKT_PKT0_PfPimiif: ; @_ZN5aiter24topk_softplus_kernel_optIf6__halfLi64ELb1ELi0EEEvPKT_PKT0_PfPimiif
; %bb.0:
	s_load_b128 s[4:7], s[0:1], 0x0
	s_lshl_b32 s2, s15, 6
	v_lshlrev_b32_e32 v3, 2, v0
	s_ashr_i32 s3, s2, 31
	s_delay_alu instid0(SALU_CYCLE_1)
	s_lshl_b64 s[2:3], s[2:3], 2
	s_waitcnt lgkmcnt(0)
	s_add_u32 s4, s4, s2
	s_addc_u32 s5, s5, s3
	s_cmp_lg_u64 s[6:7], 0
	global_load_b32 v1, v3, s[4:5]
	s_cselect_b32 s3, -1, 0
	s_waitcnt vmcnt(0)
	v_mul_f32_e32 v2, 0x3fb8aa3b, v1
	s_delay_alu instid0(VALU_DEP_1) | instskip(SKIP_2) | instid1(VALU_DEP_2)
	v_cmp_gt_f32_e32 vcc_lo, 0xc2fc0000, v2
	v_cndmask_b32_e64 v2, 0, 0x42800000, vcc_lo
	v_cndmask_b32_e64 v4, 1.0, 0x1f800000, vcc_lo
	v_fmac_f32_e32 v2, 0x3fb8aa3b, v1
	s_delay_alu instid0(VALU_DEP_1) | instskip(SKIP_2) | instid1(VALU_DEP_1)
	v_exp_f32_e32 v2, v2
	s_waitcnt_depctr 0xfff
	v_fma_f32 v2, v2, v4, 1.0
	v_cmp_gt_f32_e32 vcc_lo, 0x800000, v2
	v_cndmask_b32_e64 v4, 1.0, 0x4f800000, vcc_lo
	s_delay_alu instid0(VALU_DEP_1) | instskip(SKIP_2) | instid1(VALU_DEP_3)
	v_mul_f32_e32 v2, v2, v4
	v_cndmask_b32_e64 v4, 0, 0x42000000, vcc_lo
	v_cmp_lt_f32_e32 vcc_lo, 0x41a00000, v1
	v_log_f32_e32 v2, v2
	s_waitcnt_depctr 0xfff
	v_sub_f32_e32 v2, v2, v4
	s_delay_alu instid0(VALU_DEP_1) | instskip(NEXT) | instid1(VALU_DEP_1)
	v_mul_f32_e32 v2, 0x3f317218, v2
	v_cndmask_b32_e32 v1, v2, v1, vcc_lo
	s_delay_alu instid0(VALU_DEP_1) | instskip(SKIP_1) | instid1(VALU_DEP_2)
	v_mul_f32_e32 v2, 0x4f800000, v1
	v_cmp_gt_f32_e32 vcc_lo, 0xf800000, v1
	v_cndmask_b32_e32 v1, v1, v2, vcc_lo
	s_delay_alu instid0(VALU_DEP_1) | instskip(SKIP_3) | instid1(VALU_DEP_2)
	v_sqrt_f32_e32 v2, v1
	s_waitcnt_depctr 0xfff
	v_add_nc_u32_e32 v4, -1, v2
	v_add_nc_u32_e32 v5, 1, v2
	v_fma_f32 v6, -v4, v2, v1
	s_delay_alu instid0(VALU_DEP_2) | instskip(NEXT) | instid1(VALU_DEP_2)
	v_fma_f32 v7, -v5, v2, v1
	v_cmp_ge_f32_e64 s2, 0, v6
	s_delay_alu instid0(VALU_DEP_1) | instskip(NEXT) | instid1(VALU_DEP_3)
	v_cndmask_b32_e64 v2, v2, v4, s2
	v_cmp_lt_f32_e64 s2, 0, v7
	s_delay_alu instid0(VALU_DEP_1) | instskip(NEXT) | instid1(VALU_DEP_1)
	v_cndmask_b32_e64 v2, v2, v5, s2
	v_dual_mul_f32 v4, 0x37800000, v2 :: v_dual_lshlrev_b32 v5, 1, v0
	s_delay_alu instid0(VALU_DEP_1) | instskip(SKIP_1) | instid1(VALU_DEP_2)
	v_cndmask_b32_e32 v2, v2, v4, vcc_lo
	v_cmp_class_f32_e64 vcc_lo, v1, 0x260
	v_cndmask_b32_e32 v4, v2, v1, vcc_lo
	v_add_co_u32 v1, s2, s4, v3
	s_delay_alu instid0(VALU_DEP_1) | instskip(NEXT) | instid1(VALU_DEP_3)
	v_add_co_ci_u32_e64 v2, null, s5, 0, s2
	v_mov_b32_e32 v6, v4
	s_and_b32 vcc_lo, exec_lo, s3
	s_cbranch_vccz .LBB55_2
; %bb.1:
	global_load_u16 v6, v5, s[6:7]
	s_waitcnt vmcnt(0)
	v_cvt_f32_f16_e32 v6, v6
	s_delay_alu instid0(VALU_DEP_1)
	v_add_f32_e32 v6, v4, v6
.LBB55_2:
	global_load_b32 v1, v[1:2], off offset:128
	s_waitcnt vmcnt(0)
	v_mul_f32_e32 v2, 0x3fb8aa3b, v1
	s_delay_alu instid0(VALU_DEP_1) | instskip(SKIP_2) | instid1(VALU_DEP_2)
	v_cmp_gt_f32_e32 vcc_lo, 0xc2fc0000, v2
	v_cndmask_b32_e64 v7, 0, 0x42800000, vcc_lo
	v_cndmask_b32_e64 v2, 1.0, 0x1f800000, vcc_lo
	v_fmac_f32_e32 v7, 0x3fb8aa3b, v1
	s_delay_alu instid0(VALU_DEP_1) | instskip(SKIP_2) | instid1(VALU_DEP_1)
	v_exp_f32_e32 v7, v7
	s_waitcnt_depctr 0xfff
	v_fma_f32 v2, v7, v2, 1.0
	v_cmp_gt_f32_e32 vcc_lo, 0x800000, v2
	v_cndmask_b32_e64 v7, 1.0, 0x4f800000, vcc_lo
	s_delay_alu instid0(VALU_DEP_1) | instskip(SKIP_2) | instid1(VALU_DEP_3)
	v_mul_f32_e32 v2, v2, v7
	v_cndmask_b32_e64 v7, 0, 0x42000000, vcc_lo
	v_cmp_lt_f32_e32 vcc_lo, 0x41a00000, v1
	v_log_f32_e32 v2, v2
	s_waitcnt_depctr 0xfff
	v_sub_f32_e32 v2, v2, v7
	s_delay_alu instid0(VALU_DEP_1) | instskip(NEXT) | instid1(VALU_DEP_1)
	v_mul_f32_e32 v2, 0x3f317218, v2
	v_cndmask_b32_e32 v1, v2, v1, vcc_lo
	s_delay_alu instid0(VALU_DEP_1) | instskip(SKIP_1) | instid1(VALU_DEP_2)
	v_mul_f32_e32 v2, 0x4f800000, v1
	v_cmp_gt_f32_e32 vcc_lo, 0xf800000, v1
	v_cndmask_b32_e32 v1, v1, v2, vcc_lo
	s_delay_alu instid0(VALU_DEP_1) | instskip(SKIP_3) | instid1(VALU_DEP_2)
	v_sqrt_f32_e32 v2, v1
	s_waitcnt_depctr 0xfff
	v_add_nc_u32_e32 v7, -1, v2
	v_add_nc_u32_e32 v8, 1, v2
	v_fma_f32 v9, -v7, v2, v1
	s_delay_alu instid0(VALU_DEP_2) | instskip(NEXT) | instid1(VALU_DEP_2)
	v_fma_f32 v10, -v8, v2, v1
	v_cmp_ge_f32_e64 s2, 0, v9
	s_delay_alu instid0(VALU_DEP_1) | instskip(NEXT) | instid1(VALU_DEP_3)
	v_cndmask_b32_e64 v2, v2, v7, s2
	v_cmp_lt_f32_e64 s2, 0, v10
	s_delay_alu instid0(VALU_DEP_1) | instskip(NEXT) | instid1(VALU_DEP_1)
	v_cndmask_b32_e64 v2, v2, v8, s2
	v_mul_f32_e32 v7, 0x37800000, v2
	s_delay_alu instid0(VALU_DEP_1) | instskip(SKIP_1) | instid1(VALU_DEP_2)
	v_cndmask_b32_e32 v2, v2, v7, vcc_lo
	v_cmp_class_f32_e64 vcc_lo, v1, 0x260
	v_cndmask_b32_e32 v11, v2, v1, vcc_lo
	s_and_not1_b32 vcc_lo, exec_lo, s3
	s_delay_alu instid0(VALU_DEP_1)
	v_mov_b32_e32 v10, v11
	s_cbranch_vccnz .LBB55_4
; %bb.3:
	global_load_u16 v1, v5, s[6:7] offset:64
	s_waitcnt vmcnt(0)
	v_cvt_f32_f16_e32 v1, v1
	s_delay_alu instid0(VALU_DEP_1)
	v_add_f32_e32 v10, v11, v1
.LBB55_4:
	s_clause 0x1
	s_load_b32 s8, s[0:1], 0x28
	s_load_b128 s[4:7], s[0:1], 0x10
	v_dual_mov_b32 v5, 0 :: v_dual_mov_b32 v2, 0
	v_mov_b32_e32 v1, 0
	s_waitcnt lgkmcnt(0)
	s_cmp_gt_i32 s8, 0
	s_cbranch_scc0 .LBB55_7
; %bb.5:
	v_cmp_lt_f32_e32 vcc_lo, v6, v10
	v_add_nc_u32_e32 v1, 32, v0
	s_mov_b32 s9, 0x76543210
	s_mov_b32 s10, s8
	v_mov_b32_e32 v5, 0
	v_cndmask_b32_e32 v9, v10, v6, vcc_lo
	v_cndmask_b32_e32 v6, v6, v10, vcc_lo
	;; [unrolled: 1-line block ×3, first 2 shown]
	v_dual_cndmask_b32 v7, v1, v0 :: v_dual_cndmask_b32 v8, v0, v1
	v_dual_cndmask_b32 v4, v4, v11 :: v_dual_mov_b32 v11, 0
	v_dual_mov_b32 v12, v0 :: v_dual_mov_b32 v1, 0
	v_mov_b32_e32 v2, 0
.LBB55_6:                               ; =>This Inner Loop Header: Depth=1
	s_delay_alu instid0(VALU_DEP_3) | instskip(SKIP_2) | instid1(VALU_DEP_1)
	v_cmp_eq_u32_e32 vcc_lo, 1, v11
	v_cmp_gt_u32_e64 s2, 2, v11
	v_dual_cndmask_b32 v13, v6, v9 :: v_dual_cndmask_b32 v14, v8, v7
	v_cndmask_b32_e64 v13, 0xff800000, v13, s2
	;;#ASMSTART
	v_max_f32 v16, v13, v13 quad_perm:[1,0,3,2] row_mask:0xf bank_mask:0xf bound_ctrl:1
	;;#ASMEND
	;;#ASMSTART
	v_max_f32 v17, v16, v16 quad_perm:[2,3,0,1] row_mask:0xf bank_mask:0xf bound_ctrl:1
	;;#ASMEND
	;;#ASMSTART
	v_max_f32 v16, v17, v17 row_half_mirror row_mask:0xf bank_mask:0xf bound_ctrl:1
	;;#ASMEND
	;;#ASMSTART
	v_max_f32 v17, v16, v16 row_mirror row_mask:0xf bank_mask:0xf bound_ctrl:1
	;;#ASMEND
	v_permlanex16_b32 v16, v17, s9, 0xfedcba98 op_sel:[1,1]
	v_max_f32_e32 v17, v17, v17
	v_cndmask_b32_e64 v15, 0, v14, s2
	s_delay_alu instid0(VALU_DEP_3) | instskip(NEXT) | instid1(VALU_DEP_1)
	v_max_f32_e32 v16, v16, v16
	v_max_f32_e32 v16, v17, v16
	s_delay_alu instid0(VALU_DEP_1) | instskip(SKIP_1) | instid1(VALU_DEP_2)
	v_cmp_eq_f32_e64 s3, v13, v16
	v_cndmask_b32_e32 v13, v4, v10, vcc_lo
	s_ctz_i32_b32 s11, s3
	s_cmp_lg_u32 s3, 0
	s_cselect_b32 s3, s11, 0
	s_add_i32 s10, s10, -1
	v_readlane_b32 s3, v15, s3
	s_delay_alu instid0(VALU_DEP_1)
	v_cmp_eq_u32_e32 vcc_lo, s3, v14
	s_and_b32 vcc_lo, s2, vcc_lo
	s_and_b32 s2, s3, 31
	v_cndmask_b32_e32 v13, 0, v13, vcc_lo
	v_add_co_ci_u32_e32 v11, vcc_lo, 0, v11, vcc_lo
	s_cmp_eq_u32 s10, 0
	s_delay_alu instid0(VALU_DEP_2) | instskip(SKIP_1) | instid1(VALU_DEP_2)
	v_readlane_b32 s11, v13, s2
	v_cmp_eq_u32_e64 s2, 0, v12
	v_dual_add_f32 v5, s11, v5 :: v_dual_add_nc_u32 v12, -1, v12
	s_delay_alu instid0(VALU_DEP_2)
	v_cndmask_b32_e64 v2, v2, s11, s2
	v_cndmask_b32_e64 v1, v1, s3, s2
	s_cbranch_scc0 .LBB55_6
.LBB55_7:
	s_mov_b32 s2, exec_lo
	v_cmpx_gt_i32_e64 s8, v0
	s_cbranch_execz .LBB55_9
; %bb.8:
	s_load_b32 s2, s[0:1], 0x30
	v_max_f32_e32 v0, v5, v5
	s_load_b64 s[0:1], s[0:1], 0x20
	s_ashr_i32 s3, s15, 31
	s_delay_alu instid0(VALU_DEP_1) | instskip(SKIP_1) | instid1(VALU_DEP_1)
	v_max_f32_e32 v0, 0x1e3ce508, v0
	s_waitcnt lgkmcnt(0)
	v_div_scale_f32 v4, null, v0, v0, s2
	s_mul_i32 s1, s15, s1
	s_mul_hi_u32 s8, s15, s0
	s_mul_i32 s3, s3, s0
	s_delay_alu instid0(VALU_DEP_1) | instskip(SKIP_3) | instid1(SALU_CYCLE_1)
	v_rcp_f32_e32 v5, v4
	s_add_i32 s1, s8, s1
	s_mul_i32 s0, s15, s0
	s_add_i32 s1, s1, s3
	s_lshl_b64 s[0:1], s[0:1], 2
	s_waitcnt_depctr 0xfff
	v_fma_f32 v6, -v4, v5, 1.0
	s_delay_alu instid0(VALU_DEP_1) | instskip(SKIP_1) | instid1(VALU_DEP_1)
	v_fmac_f32_e32 v5, v6, v5
	v_div_scale_f32 v7, vcc_lo, s2, v0, s2
	v_mul_f32_e32 v6, v7, v5
	s_delay_alu instid0(VALU_DEP_1) | instskip(NEXT) | instid1(VALU_DEP_1)
	v_fma_f32 v8, -v4, v6, v7
	v_fmac_f32_e32 v6, v8, v5
	s_delay_alu instid0(VALU_DEP_1) | instskip(NEXT) | instid1(VALU_DEP_1)
	v_fma_f32 v4, -v4, v6, v7
	v_div_fmas_f32 v4, v4, v5, v6
	s_delay_alu instid0(VALU_DEP_1)
	v_div_fixup_f32 v0, v4, v0, s2
	s_add_u32 s2, s4, s0
	s_addc_u32 s3, s5, s1
	s_add_u32 s0, s6, s0
	s_addc_u32 s1, s7, s1
	v_mul_f32_e32 v0, v2, v0
	s_clause 0x1
	global_store_b32 v3, v0, s[2:3]
	global_store_b32 v3, v1, s[0:1]
.LBB55_9:
	s_nop 0
	s_sendmsg sendmsg(MSG_DEALLOC_VGPRS)
	s_endpgm
	.section	.rodata,"a",@progbits
	.p2align	6, 0x0
	.amdhsa_kernel _ZN5aiter24topk_softplus_kernel_optIf6__halfLi64ELb1ELi0EEEvPKT_PKT0_PfPimiif
		.amdhsa_group_segment_fixed_size 0
		.amdhsa_private_segment_fixed_size 0
		.amdhsa_kernarg_size 52
		.amdhsa_user_sgpr_count 15
		.amdhsa_user_sgpr_dispatch_ptr 0
		.amdhsa_user_sgpr_queue_ptr 0
		.amdhsa_user_sgpr_kernarg_segment_ptr 1
		.amdhsa_user_sgpr_dispatch_id 0
		.amdhsa_user_sgpr_private_segment_size 0
		.amdhsa_wavefront_size32 1
		.amdhsa_uses_dynamic_stack 0
		.amdhsa_enable_private_segment 0
		.amdhsa_system_sgpr_workgroup_id_x 1
		.amdhsa_system_sgpr_workgroup_id_y 0
		.amdhsa_system_sgpr_workgroup_id_z 0
		.amdhsa_system_sgpr_workgroup_info 0
		.amdhsa_system_vgpr_workitem_id 0
		.amdhsa_next_free_vgpr 18
		.amdhsa_next_free_sgpr 16
		.amdhsa_reserve_vcc 1
		.amdhsa_float_round_mode_32 0
		.amdhsa_float_round_mode_16_64 0
		.amdhsa_float_denorm_mode_32 3
		.amdhsa_float_denorm_mode_16_64 3
		.amdhsa_dx10_clamp 1
		.amdhsa_ieee_mode 1
		.amdhsa_fp16_overflow 0
		.amdhsa_workgroup_processor_mode 1
		.amdhsa_memory_ordered 1
		.amdhsa_forward_progress 0
		.amdhsa_shared_vgpr_count 0
		.amdhsa_exception_fp_ieee_invalid_op 0
		.amdhsa_exception_fp_denorm_src 0
		.amdhsa_exception_fp_ieee_div_zero 0
		.amdhsa_exception_fp_ieee_overflow 0
		.amdhsa_exception_fp_ieee_underflow 0
		.amdhsa_exception_fp_ieee_inexact 0
		.amdhsa_exception_int_div_zero 0
	.end_amdhsa_kernel
	.section	.text._ZN5aiter24topk_softplus_kernel_optIf6__halfLi64ELb1ELi0EEEvPKT_PKT0_PfPimiif,"axG",@progbits,_ZN5aiter24topk_softplus_kernel_optIf6__halfLi64ELb1ELi0EEEvPKT_PKT0_PfPimiif,comdat
.Lfunc_end55:
	.size	_ZN5aiter24topk_softplus_kernel_optIf6__halfLi64ELb1ELi0EEEvPKT_PKT0_PfPimiif, .Lfunc_end55-_ZN5aiter24topk_softplus_kernel_optIf6__halfLi64ELb1ELi0EEEvPKT_PKT0_PfPimiif
                                        ; -- End function
	.section	.AMDGPU.csdata,"",@progbits
; Kernel info:
; codeLenInByte = 1352
; NumSgprs: 18
; NumVgprs: 18
; ScratchSize: 0
; MemoryBound: 0
; FloatMode: 240
; IeeeMode: 1
; LDSByteSize: 0 bytes/workgroup (compile time only)
; SGPRBlocks: 2
; VGPRBlocks: 2
; NumSGPRsForWavesPerEU: 18
; NumVGPRsForWavesPerEU: 18
; Occupancy: 16
; WaveLimiterHint : 0
; COMPUTE_PGM_RSRC2:SCRATCH_EN: 0
; COMPUTE_PGM_RSRC2:USER_SGPR: 15
; COMPUTE_PGM_RSRC2:TRAP_HANDLER: 0
; COMPUTE_PGM_RSRC2:TGID_X_EN: 1
; COMPUTE_PGM_RSRC2:TGID_Y_EN: 0
; COMPUTE_PGM_RSRC2:TGID_Z_EN: 0
; COMPUTE_PGM_RSRC2:TIDIG_COMP_CNT: 0
	.section	.text._ZN5aiter24topk_softplus_kernel_optIf6__halfLi64ELb0ELi0EEEvPKT_PKT0_PfPimiif,"axG",@progbits,_ZN5aiter24topk_softplus_kernel_optIf6__halfLi64ELb0ELi0EEEvPKT_PKT0_PfPimiif,comdat
	.protected	_ZN5aiter24topk_softplus_kernel_optIf6__halfLi64ELb0ELi0EEEvPKT_PKT0_PfPimiif ; -- Begin function _ZN5aiter24topk_softplus_kernel_optIf6__halfLi64ELb0ELi0EEEvPKT_PKT0_PfPimiif
	.globl	_ZN5aiter24topk_softplus_kernel_optIf6__halfLi64ELb0ELi0EEEvPKT_PKT0_PfPimiif
	.p2align	8
	.type	_ZN5aiter24topk_softplus_kernel_optIf6__halfLi64ELb0ELi0EEEvPKT_PKT0_PfPimiif,@function
_ZN5aiter24topk_softplus_kernel_optIf6__halfLi64ELb0ELi0EEEvPKT_PKT0_PfPimiif: ; @_ZN5aiter24topk_softplus_kernel_optIf6__halfLi64ELb0ELi0EEEvPKT_PKT0_PfPimiif
; %bb.0:
	s_load_b128 s[4:7], s[0:1], 0x0
	s_lshl_b32 s2, s15, 6
	v_lshlrev_b32_e32 v3, 2, v0
	s_ashr_i32 s3, s2, 31
	s_delay_alu instid0(SALU_CYCLE_1)
	s_lshl_b64 s[2:3], s[2:3], 2
	s_waitcnt lgkmcnt(0)
	s_add_u32 s4, s4, s2
	s_addc_u32 s5, s5, s3
	s_cmp_lg_u64 s[6:7], 0
	global_load_b32 v1, v3, s[4:5]
	s_cselect_b32 s3, -1, 0
	s_waitcnt vmcnt(0)
	v_mul_f32_e32 v2, 0x3fb8aa3b, v1
	s_delay_alu instid0(VALU_DEP_1) | instskip(SKIP_2) | instid1(VALU_DEP_2)
	v_cmp_gt_f32_e32 vcc_lo, 0xc2fc0000, v2
	v_cndmask_b32_e64 v2, 0, 0x42800000, vcc_lo
	v_cndmask_b32_e64 v4, 1.0, 0x1f800000, vcc_lo
	v_fmac_f32_e32 v2, 0x3fb8aa3b, v1
	s_delay_alu instid0(VALU_DEP_1) | instskip(SKIP_2) | instid1(VALU_DEP_1)
	v_exp_f32_e32 v2, v2
	s_waitcnt_depctr 0xfff
	v_fma_f32 v2, v2, v4, 1.0
	v_cmp_gt_f32_e32 vcc_lo, 0x800000, v2
	v_cndmask_b32_e64 v4, 1.0, 0x4f800000, vcc_lo
	s_delay_alu instid0(VALU_DEP_1) | instskip(SKIP_2) | instid1(VALU_DEP_3)
	v_mul_f32_e32 v2, v2, v4
	v_cndmask_b32_e64 v4, 0, 0x42000000, vcc_lo
	v_cmp_lt_f32_e32 vcc_lo, 0x41a00000, v1
	v_log_f32_e32 v2, v2
	s_waitcnt_depctr 0xfff
	v_sub_f32_e32 v2, v2, v4
	s_delay_alu instid0(VALU_DEP_1) | instskip(NEXT) | instid1(VALU_DEP_1)
	v_mul_f32_e32 v2, 0x3f317218, v2
	v_cndmask_b32_e32 v1, v2, v1, vcc_lo
	s_delay_alu instid0(VALU_DEP_1) | instskip(SKIP_1) | instid1(VALU_DEP_2)
	v_mul_f32_e32 v2, 0x4f800000, v1
	v_cmp_gt_f32_e32 vcc_lo, 0xf800000, v1
	v_cndmask_b32_e32 v1, v1, v2, vcc_lo
	s_delay_alu instid0(VALU_DEP_1) | instskip(SKIP_3) | instid1(VALU_DEP_2)
	v_sqrt_f32_e32 v2, v1
	s_waitcnt_depctr 0xfff
	v_add_nc_u32_e32 v4, -1, v2
	v_add_nc_u32_e32 v5, 1, v2
	v_fma_f32 v6, -v4, v2, v1
	s_delay_alu instid0(VALU_DEP_2) | instskip(NEXT) | instid1(VALU_DEP_2)
	v_fma_f32 v7, -v5, v2, v1
	v_cmp_ge_f32_e64 s2, 0, v6
	v_lshlrev_b32_e32 v6, 1, v0
	s_delay_alu instid0(VALU_DEP_2) | instskip(NEXT) | instid1(VALU_DEP_4)
	v_cndmask_b32_e64 v2, v2, v4, s2
	v_cmp_lt_f32_e64 s2, 0, v7
	s_delay_alu instid0(VALU_DEP_1) | instskip(NEXT) | instid1(VALU_DEP_1)
	v_cndmask_b32_e64 v2, v2, v5, s2
	v_mul_f32_e32 v4, 0x37800000, v2
	s_delay_alu instid0(VALU_DEP_1) | instskip(SKIP_1) | instid1(VALU_DEP_2)
	v_cndmask_b32_e32 v2, v2, v4, vcc_lo
	v_cmp_class_f32_e64 vcc_lo, v1, 0x260
	v_cndmask_b32_e32 v4, v2, v1, vcc_lo
	v_add_co_u32 v1, s2, s4, v3
	s_delay_alu instid0(VALU_DEP_1) | instskip(NEXT) | instid1(VALU_DEP_3)
	v_add_co_ci_u32_e64 v2, null, s5, 0, s2
	v_mov_b32_e32 v5, v4
	s_and_b32 vcc_lo, exec_lo, s3
	s_cbranch_vccz .LBB56_2
; %bb.1:
	global_load_u16 v5, v6, s[6:7]
	s_waitcnt vmcnt(0)
	v_cvt_f32_f16_e32 v5, v5
	s_delay_alu instid0(VALU_DEP_1)
	v_add_f32_e32 v5, v4, v5
.LBB56_2:
	global_load_b32 v1, v[1:2], off offset:128
	s_waitcnt vmcnt(0)
	v_mul_f32_e32 v2, 0x3fb8aa3b, v1
	s_delay_alu instid0(VALU_DEP_1) | instskip(SKIP_2) | instid1(VALU_DEP_2)
	v_cmp_gt_f32_e32 vcc_lo, 0xc2fc0000, v2
	v_cndmask_b32_e64 v7, 0, 0x42800000, vcc_lo
	v_cndmask_b32_e64 v2, 1.0, 0x1f800000, vcc_lo
	v_fmac_f32_e32 v7, 0x3fb8aa3b, v1
	s_delay_alu instid0(VALU_DEP_1) | instskip(SKIP_2) | instid1(VALU_DEP_1)
	v_exp_f32_e32 v7, v7
	s_waitcnt_depctr 0xfff
	v_fma_f32 v2, v7, v2, 1.0
	v_cmp_gt_f32_e32 vcc_lo, 0x800000, v2
	v_cndmask_b32_e64 v7, 1.0, 0x4f800000, vcc_lo
	s_delay_alu instid0(VALU_DEP_1) | instskip(SKIP_2) | instid1(VALU_DEP_3)
	v_mul_f32_e32 v2, v2, v7
	v_cndmask_b32_e64 v7, 0, 0x42000000, vcc_lo
	v_cmp_lt_f32_e32 vcc_lo, 0x41a00000, v1
	v_log_f32_e32 v2, v2
	s_waitcnt_depctr 0xfff
	v_sub_f32_e32 v2, v2, v7
	s_delay_alu instid0(VALU_DEP_1) | instskip(NEXT) | instid1(VALU_DEP_1)
	v_mul_f32_e32 v2, 0x3f317218, v2
	v_cndmask_b32_e32 v1, v2, v1, vcc_lo
	s_delay_alu instid0(VALU_DEP_1) | instskip(SKIP_1) | instid1(VALU_DEP_2)
	v_mul_f32_e32 v2, 0x4f800000, v1
	v_cmp_gt_f32_e32 vcc_lo, 0xf800000, v1
	v_cndmask_b32_e32 v1, v1, v2, vcc_lo
	s_delay_alu instid0(VALU_DEP_1) | instskip(SKIP_3) | instid1(VALU_DEP_2)
	v_sqrt_f32_e32 v2, v1
	s_waitcnt_depctr 0xfff
	v_add_nc_u32_e32 v7, -1, v2
	v_add_nc_u32_e32 v8, 1, v2
	v_fma_f32 v9, -v7, v2, v1
	s_delay_alu instid0(VALU_DEP_2) | instskip(NEXT) | instid1(VALU_DEP_2)
	v_fma_f32 v10, -v8, v2, v1
	v_cmp_ge_f32_e64 s2, 0, v9
	s_delay_alu instid0(VALU_DEP_1) | instskip(NEXT) | instid1(VALU_DEP_3)
	v_cndmask_b32_e64 v2, v2, v7, s2
	v_cmp_lt_f32_e64 s2, 0, v10
	s_delay_alu instid0(VALU_DEP_1) | instskip(NEXT) | instid1(VALU_DEP_1)
	v_cndmask_b32_e64 v2, v2, v8, s2
	v_mul_f32_e32 v7, 0x37800000, v2
	s_delay_alu instid0(VALU_DEP_1) | instskip(SKIP_1) | instid1(VALU_DEP_2)
	v_cndmask_b32_e32 v2, v2, v7, vcc_lo
	v_cmp_class_f32_e64 vcc_lo, v1, 0x260
	v_cndmask_b32_e32 v2, v2, v1, vcc_lo
	s_and_not1_b32 vcc_lo, exec_lo, s3
	s_delay_alu instid0(VALU_DEP_1)
	v_mov_b32_e32 v9, v2
	s_cbranch_vccnz .LBB56_4
; %bb.3:
	global_load_u16 v1, v6, s[6:7] offset:64
	s_waitcnt vmcnt(0)
	v_cvt_f32_f16_e32 v1, v1
	s_delay_alu instid0(VALU_DEP_1)
	v_add_f32_e32 v9, v2, v1
.LBB56_4:
	s_clause 0x1
	s_load_b32 s8, s[0:1], 0x28
	s_load_b128 s[4:7], s[0:1], 0x10
	v_mov_b32_e32 v1, 0
	s_waitcnt lgkmcnt(0)
	s_cmp_gt_i32 s8, 0
	s_cbranch_scc0 .LBB56_10
; %bb.5:
	v_cmp_lt_f32_e32 vcc_lo, v5, v9
	v_add_nc_u32_e32 v1, 32, v0
	s_mov_b32 s9, 0x76543210
	s_mov_b32 s10, s8
	v_mov_b32_e32 v10, 0
	v_cndmask_b32_e32 v8, v9, v5, vcc_lo
	v_dual_cndmask_b32 v6, v1, v0 :: v_dual_cndmask_b32 v7, v0, v1
	v_cndmask_b32_e32 v5, v5, v9, vcc_lo
	v_dual_cndmask_b32 v9, v2, v4 :: v_dual_cndmask_b32 v4, v4, v2
	v_dual_mov_b32 v2, 0 :: v_dual_mov_b32 v11, v0
	v_mov_b32_e32 v1, 0
.LBB56_6:                               ; =>This Inner Loop Header: Depth=1
	v_cmp_eq_u32_e32 vcc_lo, 1, v10
	v_cmp_gt_u32_e64 s2, 2, v10
	v_cndmask_b32_e32 v12, v5, v8, vcc_lo
	s_delay_alu instid0(VALU_DEP_1)
	v_cndmask_b32_e64 v12, 0xff800000, v12, s2
	;;#ASMSTART
	v_max_f32 v13, v12, v12 quad_perm:[1,0,3,2] row_mask:0xf bank_mask:0xf bound_ctrl:1
	;;#ASMEND
	;;#ASMSTART
	v_max_f32 v14, v13, v13 quad_perm:[2,3,0,1] row_mask:0xf bank_mask:0xf bound_ctrl:1
	;;#ASMEND
	;;#ASMSTART
	v_max_f32 v13, v14, v14 row_half_mirror row_mask:0xf bank_mask:0xf bound_ctrl:1
	;;#ASMEND
	;;#ASMSTART
	v_max_f32 v14, v13, v13 row_mirror row_mask:0xf bank_mask:0xf bound_ctrl:1
	;;#ASMEND
	v_permlanex16_b32 v13, v14, s9, 0xfedcba98 op_sel:[1,1]
	s_delay_alu instid0(VALU_DEP_1) | instskip(NEXT) | instid1(VALU_DEP_1)
	v_dual_max_f32 v14, v14, v14 :: v_dual_max_f32 v13, v13, v13
	v_dual_max_f32 v13, v14, v13 :: v_dual_cndmask_b32 v14, v7, v6
	s_delay_alu instid0(VALU_DEP_1) | instskip(NEXT) | instid1(VALU_DEP_2)
	v_cmp_eq_f32_e64 s3, v12, v13
	v_cndmask_b32_e64 v12, 0, v14, s2
	s_delay_alu instid0(VALU_DEP_2)
	s_ctz_i32_b32 s11, s3
	s_cmp_lg_u32 s3, 0
	s_cselect_b32 s3, s11, 0
	s_add_i32 s10, s10, -1
	v_readlane_b32 s3, v12, s3
	v_cndmask_b32_e32 v12, v4, v9, vcc_lo
	s_delay_alu instid0(VALU_DEP_2) | instskip(SKIP_2) | instid1(VALU_DEP_2)
	v_cmp_eq_u32_e32 vcc_lo, s3, v14
	s_and_b32 vcc_lo, s2, vcc_lo
	s_and_b32 s2, s3, 31
	v_cndmask_b32_e32 v12, 0, v12, vcc_lo
	v_add_co_ci_u32_e32 v10, vcc_lo, 0, v10, vcc_lo
	s_cmp_eq_u32 s10, 0
	s_delay_alu instid0(VALU_DEP_2) | instskip(SKIP_2) | instid1(VALU_DEP_2)
	v_readlane_b32 s11, v12, s2
	v_cmp_eq_u32_e64 s2, 0, v11
	v_add_nc_u32_e32 v11, -1, v11
	v_cndmask_b32_e64 v2, v2, s11, s2
	v_cndmask_b32_e64 v1, v1, s3, s2
	s_cbranch_scc0 .LBB56_6
; %bb.7:
	s_mov_b32 s2, exec_lo
	v_cmpx_gt_i32_e64 s8, v0
	s_cbranch_execz .LBB56_9
.LBB56_8:
	s_clause 0x1
	s_load_b64 s[2:3], s[0:1], 0x20
	s_load_b32 s8, s[0:1], 0x30
	s_ashr_i32 s0, s15, 31
	s_waitcnt lgkmcnt(0)
	s_mul_i32 s1, s15, s3
	s_mul_hi_u32 s3, s15, s2
	s_mul_i32 s0, s0, s2
	s_add_i32 s1, s3, s1
	v_mul_f32_e32 v0, s8, v2
	s_add_i32 s1, s1, s0
	s_mul_i32 s0, s15, s2
	s_delay_alu instid0(SALU_CYCLE_1) | instskip(NEXT) | instid1(SALU_CYCLE_1)
	s_lshl_b64 s[0:1], s[0:1], 2
	s_add_u32 s2, s4, s0
	s_addc_u32 s3, s5, s1
	s_add_u32 s0, s6, s0
	s_addc_u32 s1, s7, s1
	s_clause 0x1
	global_store_b32 v3, v0, s[2:3]
	global_store_b32 v3, v1, s[0:1]
.LBB56_9:
	s_nop 0
	s_sendmsg sendmsg(MSG_DEALLOC_VGPRS)
	s_endpgm
.LBB56_10:
	v_mov_b32_e32 v2, 0
	s_mov_b32 s2, exec_lo
	v_cmpx_gt_i32_e64 s8, v0
	s_cbranch_execnz .LBB56_8
	s_branch .LBB56_9
	.section	.rodata,"a",@progbits
	.p2align	6, 0x0
	.amdhsa_kernel _ZN5aiter24topk_softplus_kernel_optIf6__halfLi64ELb0ELi0EEEvPKT_PKT0_PfPimiif
		.amdhsa_group_segment_fixed_size 0
		.amdhsa_private_segment_fixed_size 0
		.amdhsa_kernarg_size 52
		.amdhsa_user_sgpr_count 15
		.amdhsa_user_sgpr_dispatch_ptr 0
		.amdhsa_user_sgpr_queue_ptr 0
		.amdhsa_user_sgpr_kernarg_segment_ptr 1
		.amdhsa_user_sgpr_dispatch_id 0
		.amdhsa_user_sgpr_private_segment_size 0
		.amdhsa_wavefront_size32 1
		.amdhsa_uses_dynamic_stack 0
		.amdhsa_enable_private_segment 0
		.amdhsa_system_sgpr_workgroup_id_x 1
		.amdhsa_system_sgpr_workgroup_id_y 0
		.amdhsa_system_sgpr_workgroup_id_z 0
		.amdhsa_system_sgpr_workgroup_info 0
		.amdhsa_system_vgpr_workitem_id 0
		.amdhsa_next_free_vgpr 15
		.amdhsa_next_free_sgpr 16
		.amdhsa_reserve_vcc 1
		.amdhsa_float_round_mode_32 0
		.amdhsa_float_round_mode_16_64 0
		.amdhsa_float_denorm_mode_32 3
		.amdhsa_float_denorm_mode_16_64 3
		.amdhsa_dx10_clamp 1
		.amdhsa_ieee_mode 1
		.amdhsa_fp16_overflow 0
		.amdhsa_workgroup_processor_mode 1
		.amdhsa_memory_ordered 1
		.amdhsa_forward_progress 0
		.amdhsa_shared_vgpr_count 0
		.amdhsa_exception_fp_ieee_invalid_op 0
		.amdhsa_exception_fp_denorm_src 0
		.amdhsa_exception_fp_ieee_div_zero 0
		.amdhsa_exception_fp_ieee_overflow 0
		.amdhsa_exception_fp_ieee_underflow 0
		.amdhsa_exception_fp_ieee_inexact 0
		.amdhsa_exception_int_div_zero 0
	.end_amdhsa_kernel
	.section	.text._ZN5aiter24topk_softplus_kernel_optIf6__halfLi64ELb0ELi0EEEvPKT_PKT0_PfPimiif,"axG",@progbits,_ZN5aiter24topk_softplus_kernel_optIf6__halfLi64ELb0ELi0EEEvPKT_PKT0_PfPimiif,comdat
.Lfunc_end56:
	.size	_ZN5aiter24topk_softplus_kernel_optIf6__halfLi64ELb0ELi0EEEvPKT_PKT0_PfPimiif, .Lfunc_end56-_ZN5aiter24topk_softplus_kernel_optIf6__halfLi64ELb0ELi0EEEvPKT_PKT0_PfPimiif
                                        ; -- End function
	.section	.AMDGPU.csdata,"",@progbits
; Kernel info:
; codeLenInByte = 1256
; NumSgprs: 18
; NumVgprs: 15
; ScratchSize: 0
; MemoryBound: 0
; FloatMode: 240
; IeeeMode: 1
; LDSByteSize: 0 bytes/workgroup (compile time only)
; SGPRBlocks: 2
; VGPRBlocks: 1
; NumSGPRsForWavesPerEU: 18
; NumVGPRsForWavesPerEU: 15
; Occupancy: 16
; WaveLimiterHint : 0
; COMPUTE_PGM_RSRC2:SCRATCH_EN: 0
; COMPUTE_PGM_RSRC2:USER_SGPR: 15
; COMPUTE_PGM_RSRC2:TRAP_HANDLER: 0
; COMPUTE_PGM_RSRC2:TGID_X_EN: 1
; COMPUTE_PGM_RSRC2:TGID_Y_EN: 0
; COMPUTE_PGM_RSRC2:TGID_Z_EN: 0
; COMPUTE_PGM_RSRC2:TIDIG_COMP_CNT: 0
	.section	.text._ZN5aiter24topk_softplus_kernel_optIf6__halfLi128ELb1ELi0EEEvPKT_PKT0_PfPimiif,"axG",@progbits,_ZN5aiter24topk_softplus_kernel_optIf6__halfLi128ELb1ELi0EEEvPKT_PKT0_PfPimiif,comdat
	.protected	_ZN5aiter24topk_softplus_kernel_optIf6__halfLi128ELb1ELi0EEEvPKT_PKT0_PfPimiif ; -- Begin function _ZN5aiter24topk_softplus_kernel_optIf6__halfLi128ELb1ELi0EEEvPKT_PKT0_PfPimiif
	.globl	_ZN5aiter24topk_softplus_kernel_optIf6__halfLi128ELb1ELi0EEEvPKT_PKT0_PfPimiif
	.p2align	8
	.type	_ZN5aiter24topk_softplus_kernel_optIf6__halfLi128ELb1ELi0EEEvPKT_PKT0_PfPimiif,@function
_ZN5aiter24topk_softplus_kernel_optIf6__halfLi128ELb1ELi0EEEvPKT_PKT0_PfPimiif: ; @_ZN5aiter24topk_softplus_kernel_optIf6__halfLi128ELb1ELi0EEEvPKT_PKT0_PfPimiif
; %bb.0:
	s_load_b128 s[4:7], s[0:1], 0x0
	s_lshl_b32 s2, s15, 7
	v_lshlrev_b32_e32 v3, 2, v0
	s_ashr_i32 s3, s2, 31
	s_delay_alu instid0(SALU_CYCLE_1)
	s_lshl_b64 s[2:3], s[2:3], 2
	s_waitcnt lgkmcnt(0)
	s_add_u32 s4, s4, s2
	s_addc_u32 s5, s5, s3
	s_cmp_lg_u64 s[6:7], 0
	global_load_b32 v1, v3, s[4:5]
	s_cselect_b32 s3, -1, 0
	s_waitcnt vmcnt(0)
	v_mul_f32_e32 v2, 0x3fb8aa3b, v1
	s_delay_alu instid0(VALU_DEP_1) | instskip(SKIP_2) | instid1(VALU_DEP_2)
	v_cmp_gt_f32_e32 vcc_lo, 0xc2fc0000, v2
	v_cndmask_b32_e64 v2, 0, 0x42800000, vcc_lo
	v_cndmask_b32_e64 v4, 1.0, 0x1f800000, vcc_lo
	v_fmac_f32_e32 v2, 0x3fb8aa3b, v1
	s_delay_alu instid0(VALU_DEP_1) | instskip(SKIP_2) | instid1(VALU_DEP_1)
	v_exp_f32_e32 v2, v2
	s_waitcnt_depctr 0xfff
	v_fma_f32 v2, v2, v4, 1.0
	v_cmp_gt_f32_e32 vcc_lo, 0x800000, v2
	v_cndmask_b32_e64 v4, 1.0, 0x4f800000, vcc_lo
	s_delay_alu instid0(VALU_DEP_1) | instskip(SKIP_2) | instid1(VALU_DEP_3)
	v_mul_f32_e32 v2, v2, v4
	v_cndmask_b32_e64 v4, 0, 0x42000000, vcc_lo
	v_cmp_lt_f32_e32 vcc_lo, 0x41a00000, v1
	v_log_f32_e32 v2, v2
	s_waitcnt_depctr 0xfff
	v_sub_f32_e32 v2, v2, v4
	s_delay_alu instid0(VALU_DEP_1) | instskip(NEXT) | instid1(VALU_DEP_1)
	v_mul_f32_e32 v2, 0x3f317218, v2
	v_cndmask_b32_e32 v1, v2, v1, vcc_lo
	s_delay_alu instid0(VALU_DEP_1) | instskip(SKIP_1) | instid1(VALU_DEP_2)
	v_mul_f32_e32 v2, 0x4f800000, v1
	v_cmp_gt_f32_e32 vcc_lo, 0xf800000, v1
	v_cndmask_b32_e32 v1, v1, v2, vcc_lo
	s_delay_alu instid0(VALU_DEP_1) | instskip(SKIP_3) | instid1(VALU_DEP_2)
	v_sqrt_f32_e32 v2, v1
	s_waitcnt_depctr 0xfff
	v_add_nc_u32_e32 v4, -1, v2
	v_add_nc_u32_e32 v5, 1, v2
	v_fma_f32 v6, -v4, v2, v1
	s_delay_alu instid0(VALU_DEP_2) | instskip(NEXT) | instid1(VALU_DEP_2)
	v_fma_f32 v7, -v5, v2, v1
	v_cmp_ge_f32_e64 s2, 0, v6
	s_delay_alu instid0(VALU_DEP_1) | instskip(NEXT) | instid1(VALU_DEP_3)
	v_cndmask_b32_e64 v2, v2, v4, s2
	v_cmp_lt_f32_e64 s2, 0, v7
	s_delay_alu instid0(VALU_DEP_1) | instskip(NEXT) | instid1(VALU_DEP_1)
	v_cndmask_b32_e64 v2, v2, v5, s2
	v_mul_f32_e32 v4, 0x37800000, v2
	s_delay_alu instid0(VALU_DEP_1) | instskip(SKIP_1) | instid1(VALU_DEP_2)
	v_cndmask_b32_e32 v2, v2, v4, vcc_lo
	v_cmp_class_f32_e64 vcc_lo, v1, 0x260
	v_dual_cndmask_b32 v5, v2, v1 :: v_dual_lshlrev_b32 v4, 1, v0
	v_add_co_u32 v1, s2, s4, v3
	s_delay_alu instid0(VALU_DEP_1) | instskip(NEXT) | instid1(VALU_DEP_3)
	v_add_co_ci_u32_e64 v2, null, s5, 0, s2
	v_mov_b32_e32 v6, v5
	s_and_b32 vcc_lo, exec_lo, s3
	s_cbranch_vccz .LBB57_2
; %bb.1:
	global_load_u16 v6, v4, s[6:7]
	s_waitcnt vmcnt(0)
	v_cvt_f32_f16_e32 v6, v6
	s_delay_alu instid0(VALU_DEP_1)
	v_add_f32_e32 v6, v5, v6
.LBB57_2:
	global_load_b32 v7, v[1:2], off offset:128
	s_waitcnt vmcnt(0)
	v_mul_f32_e32 v8, 0x3fb8aa3b, v7
	s_delay_alu instid0(VALU_DEP_1) | instskip(SKIP_2) | instid1(VALU_DEP_2)
	v_cmp_gt_f32_e32 vcc_lo, 0xc2fc0000, v8
	v_cndmask_b32_e64 v9, 0, 0x42800000, vcc_lo
	v_cndmask_b32_e64 v8, 1.0, 0x1f800000, vcc_lo
	v_fmac_f32_e32 v9, 0x3fb8aa3b, v7
	s_delay_alu instid0(VALU_DEP_1) | instskip(SKIP_2) | instid1(VALU_DEP_1)
	v_exp_f32_e32 v9, v9
	s_waitcnt_depctr 0xfff
	v_fma_f32 v8, v9, v8, 1.0
	v_cmp_gt_f32_e32 vcc_lo, 0x800000, v8
	v_cndmask_b32_e64 v9, 1.0, 0x4f800000, vcc_lo
	s_delay_alu instid0(VALU_DEP_1) | instskip(SKIP_2) | instid1(VALU_DEP_3)
	v_mul_f32_e32 v8, v8, v9
	v_cndmask_b32_e64 v9, 0, 0x42000000, vcc_lo
	v_cmp_lt_f32_e32 vcc_lo, 0x41a00000, v7
	v_log_f32_e32 v8, v8
	s_waitcnt_depctr 0xfff
	v_sub_f32_e32 v8, v8, v9
	s_delay_alu instid0(VALU_DEP_1) | instskip(NEXT) | instid1(VALU_DEP_1)
	v_mul_f32_e32 v8, 0x3f317218, v8
	v_cndmask_b32_e32 v7, v8, v7, vcc_lo
	s_delay_alu instid0(VALU_DEP_1) | instskip(SKIP_1) | instid1(VALU_DEP_2)
	v_mul_f32_e32 v8, 0x4f800000, v7
	v_cmp_gt_f32_e32 vcc_lo, 0xf800000, v7
	v_cndmask_b32_e32 v7, v7, v8, vcc_lo
	s_delay_alu instid0(VALU_DEP_1) | instskip(SKIP_3) | instid1(VALU_DEP_2)
	v_sqrt_f32_e32 v8, v7
	s_waitcnt_depctr 0xfff
	v_add_nc_u32_e32 v9, -1, v8
	v_add_nc_u32_e32 v10, 1, v8
	v_fma_f32 v11, -v9, v8, v7
	s_delay_alu instid0(VALU_DEP_2) | instskip(NEXT) | instid1(VALU_DEP_2)
	v_fma_f32 v12, -v10, v8, v7
	v_cmp_ge_f32_e64 s2, 0, v11
	s_delay_alu instid0(VALU_DEP_1) | instskip(NEXT) | instid1(VALU_DEP_3)
	v_cndmask_b32_e64 v8, v8, v9, s2
	v_cmp_lt_f32_e64 s2, 0, v12
	s_delay_alu instid0(VALU_DEP_1) | instskip(NEXT) | instid1(VALU_DEP_1)
	v_cndmask_b32_e64 v8, v8, v10, s2
	v_mul_f32_e32 v9, 0x37800000, v8
	s_delay_alu instid0(VALU_DEP_1) | instskip(SKIP_2) | instid1(VALU_DEP_3)
	v_cndmask_b32_e32 v9, v8, v9, vcc_lo
	v_cmp_class_f32_e64 vcc_lo, v7, 0x260
	v_cndmask_b32_e64 v8, 0, 1, s3
	v_cndmask_b32_e32 v9, v9, v7, vcc_lo
	s_and_not1_b32 vcc_lo, exec_lo, s3
	s_delay_alu instid0(VALU_DEP_1)
	v_mov_b32_e32 v10, v9
	s_cbranch_vccnz .LBB57_4
; %bb.3:
	global_load_u16 v7, v4, s[6:7] offset:64
	s_waitcnt vmcnt(0)
	v_cvt_f32_f16_e32 v7, v7
	s_delay_alu instid0(VALU_DEP_1)
	v_add_f32_e32 v10, v9, v7
.LBB57_4:
	global_load_b32 v7, v[1:2], off offset:256
	s_waitcnt vmcnt(0)
	v_mul_f32_e32 v11, 0x3fb8aa3b, v7
	s_delay_alu instid0(VALU_DEP_1) | instskip(SKIP_2) | instid1(VALU_DEP_2)
	v_cmp_gt_f32_e32 vcc_lo, 0xc2fc0000, v11
	v_cndmask_b32_e64 v12, 0, 0x42800000, vcc_lo
	v_cndmask_b32_e64 v11, 1.0, 0x1f800000, vcc_lo
	v_fmac_f32_e32 v12, 0x3fb8aa3b, v7
	s_delay_alu instid0(VALU_DEP_1) | instskip(SKIP_2) | instid1(VALU_DEP_1)
	v_exp_f32_e32 v12, v12
	s_waitcnt_depctr 0xfff
	v_fma_f32 v11, v12, v11, 1.0
	v_cmp_gt_f32_e32 vcc_lo, 0x800000, v11
	v_cndmask_b32_e64 v12, 1.0, 0x4f800000, vcc_lo
	s_delay_alu instid0(VALU_DEP_1) | instskip(SKIP_2) | instid1(VALU_DEP_3)
	v_mul_f32_e32 v11, v11, v12
	v_cndmask_b32_e64 v12, 0, 0x42000000, vcc_lo
	v_cmp_lt_f32_e32 vcc_lo, 0x41a00000, v7
	v_log_f32_e32 v11, v11
	s_waitcnt_depctr 0xfff
	v_sub_f32_e32 v11, v11, v12
	s_delay_alu instid0(VALU_DEP_1) | instskip(NEXT) | instid1(VALU_DEP_1)
	v_mul_f32_e32 v11, 0x3f317218, v11
	v_cndmask_b32_e32 v7, v11, v7, vcc_lo
	s_delay_alu instid0(VALU_DEP_1) | instskip(SKIP_1) | instid1(VALU_DEP_2)
	v_mul_f32_e32 v11, 0x4f800000, v7
	v_cmp_gt_f32_e32 vcc_lo, 0xf800000, v7
	v_cndmask_b32_e32 v7, v7, v11, vcc_lo
	s_delay_alu instid0(VALU_DEP_1) | instskip(SKIP_3) | instid1(VALU_DEP_2)
	v_sqrt_f32_e32 v11, v7
	s_waitcnt_depctr 0xfff
	v_add_nc_u32_e32 v12, -1, v11
	v_add_nc_u32_e32 v13, 1, v11
	v_fma_f32 v14, -v12, v11, v7
	s_delay_alu instid0(VALU_DEP_2) | instskip(NEXT) | instid1(VALU_DEP_2)
	v_fma_f32 v15, -v13, v11, v7
	v_cmp_ge_f32_e64 s2, 0, v14
	s_delay_alu instid0(VALU_DEP_1) | instskip(NEXT) | instid1(VALU_DEP_3)
	v_cndmask_b32_e64 v11, v11, v12, s2
	v_cmp_lt_f32_e64 s2, 0, v15
	s_delay_alu instid0(VALU_DEP_1) | instskip(NEXT) | instid1(VALU_DEP_1)
	v_cndmask_b32_e64 v11, v11, v13, s2
	v_mul_f32_e32 v12, 0x37800000, v11
	s_delay_alu instid0(VALU_DEP_1) | instskip(SKIP_1) | instid1(VALU_DEP_2)
	v_cndmask_b32_e32 v11, v11, v12, vcc_lo
	v_cmp_class_f32_e64 vcc_lo, v7, 0x260
	v_cndmask_b32_e32 v12, v11, v7, vcc_lo
	v_cmp_ne_u32_e32 vcc_lo, 1, v8
	s_delay_alu instid0(VALU_DEP_2)
	v_mov_b32_e32 v7, v12
	s_cbranch_vccnz .LBB57_6
; %bb.5:
	global_load_u16 v7, v4, s[6:7] offset:128
	s_waitcnt vmcnt(0)
	v_cvt_f32_f16_e32 v7, v7
	s_delay_alu instid0(VALU_DEP_1)
	v_add_f32_e32 v7, v12, v7
.LBB57_6:
	global_load_b32 v1, v[1:2], off offset:384
	s_waitcnt vmcnt(0)
	v_mul_f32_e32 v2, 0x3fb8aa3b, v1
	s_delay_alu instid0(VALU_DEP_1) | instskip(SKIP_2) | instid1(VALU_DEP_2)
	v_cmp_gt_f32_e32 vcc_lo, 0xc2fc0000, v2
	v_cndmask_b32_e64 v11, 0, 0x42800000, vcc_lo
	v_cndmask_b32_e64 v2, 1.0, 0x1f800000, vcc_lo
	v_fmac_f32_e32 v11, 0x3fb8aa3b, v1
	s_delay_alu instid0(VALU_DEP_1) | instskip(SKIP_2) | instid1(VALU_DEP_1)
	v_exp_f32_e32 v11, v11
	s_waitcnt_depctr 0xfff
	v_fma_f32 v2, v11, v2, 1.0
	v_cmp_gt_f32_e32 vcc_lo, 0x800000, v2
	v_cndmask_b32_e64 v11, 1.0, 0x4f800000, vcc_lo
	s_delay_alu instid0(VALU_DEP_1) | instskip(SKIP_2) | instid1(VALU_DEP_3)
	v_mul_f32_e32 v2, v2, v11
	v_cndmask_b32_e64 v11, 0, 0x42000000, vcc_lo
	v_cmp_lt_f32_e32 vcc_lo, 0x41a00000, v1
	v_log_f32_e32 v2, v2
	s_waitcnt_depctr 0xfff
	v_sub_f32_e32 v2, v2, v11
	s_delay_alu instid0(VALU_DEP_1) | instskip(NEXT) | instid1(VALU_DEP_1)
	v_mul_f32_e32 v2, 0x3f317218, v2
	v_cndmask_b32_e32 v1, v2, v1, vcc_lo
	s_delay_alu instid0(VALU_DEP_1) | instskip(SKIP_1) | instid1(VALU_DEP_2)
	v_mul_f32_e32 v2, 0x4f800000, v1
	v_cmp_gt_f32_e32 vcc_lo, 0xf800000, v1
	v_cndmask_b32_e32 v1, v1, v2, vcc_lo
	s_delay_alu instid0(VALU_DEP_1) | instskip(SKIP_3) | instid1(VALU_DEP_2)
	v_sqrt_f32_e32 v2, v1
	s_waitcnt_depctr 0xfff
	v_add_nc_u32_e32 v11, -1, v2
	v_add_nc_u32_e32 v13, 1, v2
	v_fma_f32 v14, -v11, v2, v1
	s_delay_alu instid0(VALU_DEP_2) | instskip(NEXT) | instid1(VALU_DEP_2)
	v_fma_f32 v15, -v13, v2, v1
	v_cmp_ge_f32_e64 s2, 0, v14
	s_delay_alu instid0(VALU_DEP_1) | instskip(NEXT) | instid1(VALU_DEP_3)
	v_cndmask_b32_e64 v2, v2, v11, s2
	v_cmp_lt_f32_e64 s2, 0, v15
	s_delay_alu instid0(VALU_DEP_1) | instskip(NEXT) | instid1(VALU_DEP_1)
	v_cndmask_b32_e64 v2, v2, v13, s2
	v_mul_f32_e32 v11, 0x37800000, v2
	s_delay_alu instid0(VALU_DEP_1) | instskip(SKIP_1) | instid1(VALU_DEP_2)
	v_cndmask_b32_e32 v2, v2, v11, vcc_lo
	v_cmp_class_f32_e64 vcc_lo, v1, 0x260
	v_cndmask_b32_e32 v1, v2, v1, vcc_lo
	v_cmp_ne_u32_e32 vcc_lo, 1, v8
	s_delay_alu instid0(VALU_DEP_2)
	v_mov_b32_e32 v2, v1
	s_cbranch_vccnz .LBB57_8
; %bb.7:
	global_load_u16 v2, v4, s[6:7] offset:192
	s_waitcnt vmcnt(0)
	v_cvt_f32_f16_e32 v2, v2
	s_delay_alu instid0(VALU_DEP_1)
	v_add_f32_e32 v2, v1, v2
.LBB57_8:
	v_cmp_lt_f32_e32 vcc_lo, v6, v10
	v_add_nc_u32_e32 v13, 32, v0
	v_dual_mov_b32 v17, v7 :: v_dual_add_nc_u32 v4, 0x60, v0
	s_mov_b32 s2, exec_lo
	v_cndmask_b32_e32 v8, v9, v5, vcc_lo
	v_cndmask_b32_e32 v5, v5, v9, vcc_lo
	v_dual_cndmask_b32 v14, v0, v13 :: v_dual_add_nc_u32 v15, 64, v0
	v_cndmask_b32_e32 v11, v13, v0, vcc_lo
	v_cndmask_b32_e32 v9, v10, v6, vcc_lo
	;; [unrolled: 1-line block ×3, first 2 shown]
	v_cmpx_lt_f32_e32 v7, v2
	s_xor_b32 s2, exec_lo, s2
; %bb.9:
	v_dual_mov_b32 v16, v7 :: v_dual_mov_b32 v7, v2
	v_dual_mov_b32 v6, v12 :: v_dual_mov_b32 v13, v15
	v_swap_b32 v12, v1
	v_swap_b32 v15, v4
	s_delay_alu instid0(VALU_DEP_4)
	v_dual_mov_b32 v17, v2 :: v_dual_mov_b32 v2, v16
; %bb.10:
	s_or_b32 exec_lo, exec_lo, s2
	v_cmp_lt_f32_e32 vcc_lo, v10, v7
	s_mov_b32 s2, exec_lo
	v_dual_cndmask_b32 v16, v12, v5 :: v_dual_cndmask_b32 v5, v5, v12
	v_dual_cndmask_b32 v13, v15, v14 :: v_dual_cndmask_b32 v6, v14, v15
	;; [unrolled: 1-line block ×3, first 2 shown]
	v_mov_b32_e32 v15, v9
	v_cmpx_lt_f32_e32 v9, v2
; %bb.11:
	v_dual_mov_b32 v10, v8 :: v_dual_mov_b32 v17, v9
	v_dual_mov_b32 v12, v11 :: v_dual_mov_b32 v9, v2
	v_swap_b32 v8, v1
	v_swap_b32 v11, v4
	s_delay_alu instid0(VALU_DEP_4)
	v_dual_mov_b32 v15, v2 :: v_dual_mov_b32 v2, v17
; %bb.12:
	s_or_b32 exec_lo, exec_lo, s2
	s_clause 0x1
	s_load_b32 s8, s[0:1], 0x28
	s_load_b128 s[4:7], s[0:1], 0x10
	v_mov_b32_e32 v10, 0
	s_waitcnt lgkmcnt(0)
	s_cmp_lt_i32 s8, 1
	s_cbranch_scc1 .LBB57_18
; %bb.13:
	v_cmp_lt_f32_e32 vcc_lo, v9, v14
	v_mov_b32_e32 v18, v0
	s_mov_b32 s9, 0x76543210
	s_mov_b32 s10, s8
	v_mov_b32_e32 v10, 0
	v_dual_cndmask_b32 v12, v13, v11 :: v_dual_cndmask_b32 v11, v11, v13
	v_dual_cndmask_b32 v13, v14, v9 :: v_dual_cndmask_b32 v14, v15, v14
	v_cndmask_b32_e32 v15, v16, v8, vcc_lo
	v_dual_cndmask_b32 v16, v8, v16 :: v_dual_mov_b32 v17, 0
	v_dual_mov_b32 v8, 0 :: v_dual_mov_b32 v9, 0
.LBB57_14:                              ; =>This Inner Loop Header: Depth=1
	s_delay_alu instid0(VALU_DEP_2) | instskip(SKIP_4) | instid1(VALU_DEP_3)
	v_cmp_eq_u32_e32 vcc_lo, 1, v17
	v_cmp_eq_u32_e64 s2, 2, v17
	v_dual_cndmask_b32 v19, v7, v14 :: v_dual_cndmask_b32 v20, v6, v11
	v_cndmask_b32_e32 v21, v5, v16, vcc_lo
	v_cmp_eq_u32_e32 vcc_lo, 3, v17
	v_cndmask_b32_e64 v19, v19, v13, s2
	s_delay_alu instid0(VALU_DEP_4) | instskip(NEXT) | instid1(VALU_DEP_4)
	v_cndmask_b32_e64 v20, v20, v12, s2
	v_cndmask_b32_e64 v21, v21, v15, s2
	v_cmp_gt_u32_e64 s2, 4, v17
	s_delay_alu instid0(VALU_DEP_3) | instskip(NEXT) | instid1(VALU_DEP_1)
	v_dual_cndmask_b32 v19, v19, v2 :: v_dual_cndmask_b32 v20, v20, v4
	v_cndmask_b32_e64 v19, 0xff800000, v19, s2
	;;#ASMSTART
	v_max_f32 v23, v19, v19 quad_perm:[1,0,3,2] row_mask:0xf bank_mask:0xf bound_ctrl:1
	;;#ASMEND
	;;#ASMSTART
	v_max_f32 v24, v23, v23 quad_perm:[2,3,0,1] row_mask:0xf bank_mask:0xf bound_ctrl:1
	;;#ASMEND
	;;#ASMSTART
	v_max_f32 v23, v24, v24 row_half_mirror row_mask:0xf bank_mask:0xf bound_ctrl:1
	;;#ASMEND
	;;#ASMSTART
	v_max_f32 v24, v23, v23 row_mirror row_mask:0xf bank_mask:0xf bound_ctrl:1
	;;#ASMEND
	v_permlanex16_b32 v23, v24, s9, 0xfedcba98 op_sel:[1,1]
	v_max_f32_e32 v24, v24, v24
	v_cndmask_b32_e64 v22, 0, v20, s2
	s_delay_alu instid0(VALU_DEP_3) | instskip(NEXT) | instid1(VALU_DEP_1)
	v_max_f32_e32 v23, v23, v23
	v_max_f32_e32 v23, v24, v23
	s_delay_alu instid0(VALU_DEP_1) | instskip(SKIP_1) | instid1(VALU_DEP_2)
	v_cmp_eq_f32_e64 s3, v19, v23
	v_cndmask_b32_e32 v19, v21, v1, vcc_lo
	s_ctz_i32_b32 s11, s3
	s_cmp_lg_u32 s3, 0
	s_cselect_b32 s3, s11, 0
	s_add_i32 s10, s10, -1
	v_readlane_b32 s3, v22, s3
	s_delay_alu instid0(VALU_DEP_1)
	v_cmp_eq_u32_e32 vcc_lo, s3, v20
	s_and_b32 vcc_lo, s2, vcc_lo
	s_and_b32 s2, s3, 31
	v_cndmask_b32_e32 v19, 0, v19, vcc_lo
	v_add_co_ci_u32_e32 v17, vcc_lo, 0, v17, vcc_lo
	s_cmp_eq_u32 s10, 0
	s_delay_alu instid0(VALU_DEP_2) | instskip(SKIP_2) | instid1(VALU_DEP_3)
	v_readlane_b32 s11, v19, s2
	v_cmp_eq_u32_e64 s2, 0, v18
	v_add_nc_u32_e32 v18, -1, v18
	v_add_f32_e32 v10, s11, v10
	s_delay_alu instid0(VALU_DEP_3)
	v_cndmask_b32_e64 v9, v9, s11, s2
	v_cndmask_b32_e64 v8, v8, s3, s2
	s_cbranch_scc0 .LBB57_14
; %bb.15:
	s_mov_b32 s2, exec_lo
	v_cmpx_gt_i32_e64 s8, v0
	s_cbranch_execz .LBB57_17
.LBB57_16:
	s_load_b32 s2, s[0:1], 0x30
	v_max_f32_e32 v0, v10, v10
	s_load_b64 s[0:1], s[0:1], 0x20
	s_ashr_i32 s3, s15, 31
	s_delay_alu instid0(VALU_DEP_1) | instskip(SKIP_1) | instid1(VALU_DEP_1)
	v_max_f32_e32 v0, 0x1e3ce508, v0
	s_waitcnt lgkmcnt(0)
	v_div_scale_f32 v1, null, v0, v0, s2
	v_div_scale_f32 v5, vcc_lo, s2, v0, s2
	s_mul_i32 s1, s15, s1
	s_delay_alu instid0(VALU_DEP_2)
	v_rcp_f32_e32 v2, v1
	s_mul_hi_u32 s8, s15, s0
	s_mul_i32 s3, s3, s0
	s_add_i32 s1, s8, s1
	s_mul_i32 s0, s15, s0
	s_add_i32 s1, s1, s3
	s_delay_alu instid0(SALU_CYCLE_1) | instskip(SKIP_2) | instid1(VALU_DEP_1)
	s_lshl_b64 s[0:1], s[0:1], 2
	s_waitcnt_depctr 0xfff
	v_fma_f32 v4, -v1, v2, 1.0
	v_fmac_f32_e32 v2, v4, v2
	s_delay_alu instid0(VALU_DEP_1) | instskip(NEXT) | instid1(VALU_DEP_1)
	v_mul_f32_e32 v4, v5, v2
	v_fma_f32 v6, -v1, v4, v5
	s_delay_alu instid0(VALU_DEP_1) | instskip(NEXT) | instid1(VALU_DEP_1)
	v_fmac_f32_e32 v4, v6, v2
	v_fma_f32 v1, -v1, v4, v5
	s_delay_alu instid0(VALU_DEP_1) | instskip(NEXT) | instid1(VALU_DEP_1)
	v_div_fmas_f32 v1, v1, v2, v4
	v_div_fixup_f32 v0, v1, v0, s2
	s_add_u32 s2, s4, s0
	s_addc_u32 s3, s5, s1
	s_add_u32 s0, s6, s0
	s_addc_u32 s1, s7, s1
	v_mul_f32_e32 v0, v9, v0
	s_clause 0x1
	global_store_b32 v3, v0, s[2:3]
	global_store_b32 v3, v8, s[0:1]
.LBB57_17:
	s_nop 0
	s_sendmsg sendmsg(MSG_DEALLOC_VGPRS)
	s_endpgm
.LBB57_18:
	v_dual_mov_b32 v8, 0 :: v_dual_mov_b32 v9, 0
	s_mov_b32 s2, exec_lo
	v_cmpx_gt_i32_e64 s8, v0
	s_cbranch_execnz .LBB57_16
	s_branch .LBB57_17
	.section	.rodata,"a",@progbits
	.p2align	6, 0x0
	.amdhsa_kernel _ZN5aiter24topk_softplus_kernel_optIf6__halfLi128ELb1ELi0EEEvPKT_PKT0_PfPimiif
		.amdhsa_group_segment_fixed_size 0
		.amdhsa_private_segment_fixed_size 0
		.amdhsa_kernarg_size 52
		.amdhsa_user_sgpr_count 15
		.amdhsa_user_sgpr_dispatch_ptr 0
		.amdhsa_user_sgpr_queue_ptr 0
		.amdhsa_user_sgpr_kernarg_segment_ptr 1
		.amdhsa_user_sgpr_dispatch_id 0
		.amdhsa_user_sgpr_private_segment_size 0
		.amdhsa_wavefront_size32 1
		.amdhsa_uses_dynamic_stack 0
		.amdhsa_enable_private_segment 0
		.amdhsa_system_sgpr_workgroup_id_x 1
		.amdhsa_system_sgpr_workgroup_id_y 0
		.amdhsa_system_sgpr_workgroup_id_z 0
		.amdhsa_system_sgpr_workgroup_info 0
		.amdhsa_system_vgpr_workitem_id 0
		.amdhsa_next_free_vgpr 25
		.amdhsa_next_free_sgpr 16
		.amdhsa_reserve_vcc 1
		.amdhsa_float_round_mode_32 0
		.amdhsa_float_round_mode_16_64 0
		.amdhsa_float_denorm_mode_32 3
		.amdhsa_float_denorm_mode_16_64 3
		.amdhsa_dx10_clamp 1
		.amdhsa_ieee_mode 1
		.amdhsa_fp16_overflow 0
		.amdhsa_workgroup_processor_mode 1
		.amdhsa_memory_ordered 1
		.amdhsa_forward_progress 0
		.amdhsa_shared_vgpr_count 0
		.amdhsa_exception_fp_ieee_invalid_op 0
		.amdhsa_exception_fp_denorm_src 0
		.amdhsa_exception_fp_ieee_div_zero 0
		.amdhsa_exception_fp_ieee_overflow 0
		.amdhsa_exception_fp_ieee_underflow 0
		.amdhsa_exception_fp_ieee_inexact 0
		.amdhsa_exception_int_div_zero 0
	.end_amdhsa_kernel
	.section	.text._ZN5aiter24topk_softplus_kernel_optIf6__halfLi128ELb1ELi0EEEvPKT_PKT0_PfPimiif,"axG",@progbits,_ZN5aiter24topk_softplus_kernel_optIf6__halfLi128ELb1ELi0EEEvPKT_PKT0_PfPimiif,comdat
.Lfunc_end57:
	.size	_ZN5aiter24topk_softplus_kernel_optIf6__halfLi128ELb1ELi0EEEvPKT_PKT0_PfPimiif, .Lfunc_end57-_ZN5aiter24topk_softplus_kernel_optIf6__halfLi128ELb1ELi0EEEvPKT_PKT0_PfPimiif
                                        ; -- End function
	.section	.AMDGPU.csdata,"",@progbits
; Kernel info:
; codeLenInByte = 2284
; NumSgprs: 18
; NumVgprs: 25
; ScratchSize: 0
; MemoryBound: 0
; FloatMode: 240
; IeeeMode: 1
; LDSByteSize: 0 bytes/workgroup (compile time only)
; SGPRBlocks: 2
; VGPRBlocks: 3
; NumSGPRsForWavesPerEU: 18
; NumVGPRsForWavesPerEU: 25
; Occupancy: 16
; WaveLimiterHint : 0
; COMPUTE_PGM_RSRC2:SCRATCH_EN: 0
; COMPUTE_PGM_RSRC2:USER_SGPR: 15
; COMPUTE_PGM_RSRC2:TRAP_HANDLER: 0
; COMPUTE_PGM_RSRC2:TGID_X_EN: 1
; COMPUTE_PGM_RSRC2:TGID_Y_EN: 0
; COMPUTE_PGM_RSRC2:TGID_Z_EN: 0
; COMPUTE_PGM_RSRC2:TIDIG_COMP_CNT: 0
	.section	.text._ZN5aiter24topk_softplus_kernel_optIf6__halfLi128ELb0ELi0EEEvPKT_PKT0_PfPimiif,"axG",@progbits,_ZN5aiter24topk_softplus_kernel_optIf6__halfLi128ELb0ELi0EEEvPKT_PKT0_PfPimiif,comdat
	.protected	_ZN5aiter24topk_softplus_kernel_optIf6__halfLi128ELb0ELi0EEEvPKT_PKT0_PfPimiif ; -- Begin function _ZN5aiter24topk_softplus_kernel_optIf6__halfLi128ELb0ELi0EEEvPKT_PKT0_PfPimiif
	.globl	_ZN5aiter24topk_softplus_kernel_optIf6__halfLi128ELb0ELi0EEEvPKT_PKT0_PfPimiif
	.p2align	8
	.type	_ZN5aiter24topk_softplus_kernel_optIf6__halfLi128ELb0ELi0EEEvPKT_PKT0_PfPimiif,@function
_ZN5aiter24topk_softplus_kernel_optIf6__halfLi128ELb0ELi0EEEvPKT_PKT0_PfPimiif: ; @_ZN5aiter24topk_softplus_kernel_optIf6__halfLi128ELb0ELi0EEEvPKT_PKT0_PfPimiif
; %bb.0:
	s_load_b128 s[4:7], s[0:1], 0x0
	s_lshl_b32 s2, s15, 7
	v_lshlrev_b32_e32 v3, 2, v0
	s_ashr_i32 s3, s2, 31
	s_delay_alu instid0(SALU_CYCLE_1)
	s_lshl_b64 s[2:3], s[2:3], 2
	s_waitcnt lgkmcnt(0)
	s_add_u32 s4, s4, s2
	s_addc_u32 s5, s5, s3
	s_cmp_lg_u64 s[6:7], 0
	global_load_b32 v1, v3, s[4:5]
	s_cselect_b32 s3, -1, 0
	s_waitcnt vmcnt(0)
	v_mul_f32_e32 v2, 0x3fb8aa3b, v1
	s_delay_alu instid0(VALU_DEP_1) | instskip(SKIP_2) | instid1(VALU_DEP_2)
	v_cmp_gt_f32_e32 vcc_lo, 0xc2fc0000, v2
	v_cndmask_b32_e64 v2, 0, 0x42800000, vcc_lo
	v_cndmask_b32_e64 v4, 1.0, 0x1f800000, vcc_lo
	v_fmac_f32_e32 v2, 0x3fb8aa3b, v1
	s_delay_alu instid0(VALU_DEP_1) | instskip(SKIP_2) | instid1(VALU_DEP_1)
	v_exp_f32_e32 v2, v2
	s_waitcnt_depctr 0xfff
	v_fma_f32 v2, v2, v4, 1.0
	v_cmp_gt_f32_e32 vcc_lo, 0x800000, v2
	v_cndmask_b32_e64 v4, 1.0, 0x4f800000, vcc_lo
	s_delay_alu instid0(VALU_DEP_1) | instskip(SKIP_2) | instid1(VALU_DEP_3)
	v_mul_f32_e32 v2, v2, v4
	v_cndmask_b32_e64 v4, 0, 0x42000000, vcc_lo
	v_cmp_lt_f32_e32 vcc_lo, 0x41a00000, v1
	v_log_f32_e32 v2, v2
	s_waitcnt_depctr 0xfff
	v_sub_f32_e32 v2, v2, v4
	s_delay_alu instid0(VALU_DEP_1) | instskip(NEXT) | instid1(VALU_DEP_1)
	v_mul_f32_e32 v2, 0x3f317218, v2
	v_cndmask_b32_e32 v1, v2, v1, vcc_lo
	s_delay_alu instid0(VALU_DEP_1) | instskip(SKIP_1) | instid1(VALU_DEP_2)
	v_mul_f32_e32 v2, 0x4f800000, v1
	v_cmp_gt_f32_e32 vcc_lo, 0xf800000, v1
	v_cndmask_b32_e32 v1, v1, v2, vcc_lo
	s_delay_alu instid0(VALU_DEP_1) | instskip(SKIP_3) | instid1(VALU_DEP_2)
	v_sqrt_f32_e32 v2, v1
	s_waitcnt_depctr 0xfff
	v_add_nc_u32_e32 v4, -1, v2
	v_add_nc_u32_e32 v5, 1, v2
	v_fma_f32 v6, -v4, v2, v1
	s_delay_alu instid0(VALU_DEP_2) | instskip(NEXT) | instid1(VALU_DEP_2)
	v_fma_f32 v7, -v5, v2, v1
	v_cmp_ge_f32_e64 s2, 0, v6
	s_delay_alu instid0(VALU_DEP_1) | instskip(NEXT) | instid1(VALU_DEP_3)
	v_cndmask_b32_e64 v2, v2, v4, s2
	v_cmp_lt_f32_e64 s2, 0, v7
	s_delay_alu instid0(VALU_DEP_1) | instskip(NEXT) | instid1(VALU_DEP_1)
	v_cndmask_b32_e64 v2, v2, v5, s2
	v_mul_f32_e32 v4, 0x37800000, v2
	s_delay_alu instid0(VALU_DEP_1) | instskip(SKIP_1) | instid1(VALU_DEP_2)
	v_cndmask_b32_e32 v2, v2, v4, vcc_lo
	v_cmp_class_f32_e64 vcc_lo, v1, 0x260
	v_dual_cndmask_b32 v5, v2, v1 :: v_dual_lshlrev_b32 v4, 1, v0
	v_add_co_u32 v1, s2, s4, v3
	s_delay_alu instid0(VALU_DEP_1) | instskip(NEXT) | instid1(VALU_DEP_3)
	v_add_co_ci_u32_e64 v2, null, s5, 0, s2
	v_mov_b32_e32 v6, v5
	s_and_b32 vcc_lo, exec_lo, s3
	s_cbranch_vccz .LBB58_2
; %bb.1:
	global_load_u16 v6, v4, s[6:7]
	s_waitcnt vmcnt(0)
	v_cvt_f32_f16_e32 v6, v6
	s_delay_alu instid0(VALU_DEP_1)
	v_add_f32_e32 v6, v5, v6
.LBB58_2:
	global_load_b32 v7, v[1:2], off offset:128
	s_waitcnt vmcnt(0)
	v_mul_f32_e32 v8, 0x3fb8aa3b, v7
	s_delay_alu instid0(VALU_DEP_1) | instskip(SKIP_2) | instid1(VALU_DEP_2)
	v_cmp_gt_f32_e32 vcc_lo, 0xc2fc0000, v8
	v_cndmask_b32_e64 v9, 0, 0x42800000, vcc_lo
	v_cndmask_b32_e64 v8, 1.0, 0x1f800000, vcc_lo
	v_fmac_f32_e32 v9, 0x3fb8aa3b, v7
	s_delay_alu instid0(VALU_DEP_1) | instskip(SKIP_2) | instid1(VALU_DEP_1)
	v_exp_f32_e32 v9, v9
	s_waitcnt_depctr 0xfff
	v_fma_f32 v8, v9, v8, 1.0
	v_cmp_gt_f32_e32 vcc_lo, 0x800000, v8
	v_cndmask_b32_e64 v9, 1.0, 0x4f800000, vcc_lo
	s_delay_alu instid0(VALU_DEP_1) | instskip(SKIP_2) | instid1(VALU_DEP_3)
	v_mul_f32_e32 v8, v8, v9
	v_cndmask_b32_e64 v9, 0, 0x42000000, vcc_lo
	v_cmp_lt_f32_e32 vcc_lo, 0x41a00000, v7
	v_log_f32_e32 v8, v8
	s_waitcnt_depctr 0xfff
	v_sub_f32_e32 v8, v8, v9
	s_delay_alu instid0(VALU_DEP_1) | instskip(NEXT) | instid1(VALU_DEP_1)
	v_mul_f32_e32 v8, 0x3f317218, v8
	v_cndmask_b32_e32 v7, v8, v7, vcc_lo
	s_delay_alu instid0(VALU_DEP_1) | instskip(SKIP_1) | instid1(VALU_DEP_2)
	v_mul_f32_e32 v8, 0x4f800000, v7
	v_cmp_gt_f32_e32 vcc_lo, 0xf800000, v7
	v_cndmask_b32_e32 v7, v7, v8, vcc_lo
	s_delay_alu instid0(VALU_DEP_1) | instskip(SKIP_3) | instid1(VALU_DEP_2)
	v_sqrt_f32_e32 v8, v7
	s_waitcnt_depctr 0xfff
	v_add_nc_u32_e32 v9, -1, v8
	v_add_nc_u32_e32 v10, 1, v8
	v_fma_f32 v11, -v9, v8, v7
	s_delay_alu instid0(VALU_DEP_2) | instskip(NEXT) | instid1(VALU_DEP_2)
	v_fma_f32 v12, -v10, v8, v7
	v_cmp_ge_f32_e64 s2, 0, v11
	s_delay_alu instid0(VALU_DEP_1) | instskip(NEXT) | instid1(VALU_DEP_3)
	v_cndmask_b32_e64 v8, v8, v9, s2
	v_cmp_lt_f32_e64 s2, 0, v12
	s_delay_alu instid0(VALU_DEP_1) | instskip(NEXT) | instid1(VALU_DEP_1)
	v_cndmask_b32_e64 v8, v8, v10, s2
	v_mul_f32_e32 v9, 0x37800000, v8
	s_delay_alu instid0(VALU_DEP_1) | instskip(SKIP_2) | instid1(VALU_DEP_3)
	v_cndmask_b32_e32 v9, v8, v9, vcc_lo
	v_cmp_class_f32_e64 vcc_lo, v7, 0x260
	v_cndmask_b32_e64 v8, 0, 1, s3
	v_cndmask_b32_e32 v9, v9, v7, vcc_lo
	s_and_not1_b32 vcc_lo, exec_lo, s3
	s_delay_alu instid0(VALU_DEP_1)
	v_mov_b32_e32 v10, v9
	s_cbranch_vccnz .LBB58_4
; %bb.3:
	global_load_u16 v7, v4, s[6:7] offset:64
	s_waitcnt vmcnt(0)
	v_cvt_f32_f16_e32 v7, v7
	s_delay_alu instid0(VALU_DEP_1)
	v_add_f32_e32 v10, v9, v7
.LBB58_4:
	global_load_b32 v7, v[1:2], off offset:256
	s_waitcnt vmcnt(0)
	v_mul_f32_e32 v11, 0x3fb8aa3b, v7
	s_delay_alu instid0(VALU_DEP_1) | instskip(SKIP_2) | instid1(VALU_DEP_2)
	v_cmp_gt_f32_e32 vcc_lo, 0xc2fc0000, v11
	v_cndmask_b32_e64 v12, 0, 0x42800000, vcc_lo
	v_cndmask_b32_e64 v11, 1.0, 0x1f800000, vcc_lo
	v_fmac_f32_e32 v12, 0x3fb8aa3b, v7
	s_delay_alu instid0(VALU_DEP_1) | instskip(SKIP_2) | instid1(VALU_DEP_1)
	v_exp_f32_e32 v12, v12
	s_waitcnt_depctr 0xfff
	v_fma_f32 v11, v12, v11, 1.0
	v_cmp_gt_f32_e32 vcc_lo, 0x800000, v11
	v_cndmask_b32_e64 v12, 1.0, 0x4f800000, vcc_lo
	s_delay_alu instid0(VALU_DEP_1) | instskip(SKIP_2) | instid1(VALU_DEP_3)
	v_mul_f32_e32 v11, v11, v12
	v_cndmask_b32_e64 v12, 0, 0x42000000, vcc_lo
	v_cmp_lt_f32_e32 vcc_lo, 0x41a00000, v7
	v_log_f32_e32 v11, v11
	s_waitcnt_depctr 0xfff
	v_sub_f32_e32 v11, v11, v12
	s_delay_alu instid0(VALU_DEP_1) | instskip(NEXT) | instid1(VALU_DEP_1)
	v_mul_f32_e32 v11, 0x3f317218, v11
	v_cndmask_b32_e32 v7, v11, v7, vcc_lo
	s_delay_alu instid0(VALU_DEP_1) | instskip(SKIP_1) | instid1(VALU_DEP_2)
	v_mul_f32_e32 v11, 0x4f800000, v7
	v_cmp_gt_f32_e32 vcc_lo, 0xf800000, v7
	v_cndmask_b32_e32 v7, v7, v11, vcc_lo
	s_delay_alu instid0(VALU_DEP_1) | instskip(SKIP_3) | instid1(VALU_DEP_2)
	v_sqrt_f32_e32 v11, v7
	s_waitcnt_depctr 0xfff
	v_add_nc_u32_e32 v12, -1, v11
	v_add_nc_u32_e32 v13, 1, v11
	v_fma_f32 v14, -v12, v11, v7
	s_delay_alu instid0(VALU_DEP_2) | instskip(NEXT) | instid1(VALU_DEP_2)
	v_fma_f32 v15, -v13, v11, v7
	v_cmp_ge_f32_e64 s2, 0, v14
	s_delay_alu instid0(VALU_DEP_1) | instskip(NEXT) | instid1(VALU_DEP_3)
	v_cndmask_b32_e64 v11, v11, v12, s2
	v_cmp_lt_f32_e64 s2, 0, v15
	s_delay_alu instid0(VALU_DEP_1) | instskip(NEXT) | instid1(VALU_DEP_1)
	v_cndmask_b32_e64 v11, v11, v13, s2
	v_mul_f32_e32 v12, 0x37800000, v11
	s_delay_alu instid0(VALU_DEP_1) | instskip(SKIP_1) | instid1(VALU_DEP_2)
	v_cndmask_b32_e32 v11, v11, v12, vcc_lo
	v_cmp_class_f32_e64 vcc_lo, v7, 0x260
	v_cndmask_b32_e32 v11, v11, v7, vcc_lo
	v_cmp_ne_u32_e32 vcc_lo, 1, v8
	s_delay_alu instid0(VALU_DEP_2)
	v_mov_b32_e32 v7, v11
	s_cbranch_vccnz .LBB58_6
; %bb.5:
	global_load_u16 v7, v4, s[6:7] offset:128
	s_waitcnt vmcnt(0)
	v_cvt_f32_f16_e32 v7, v7
	s_delay_alu instid0(VALU_DEP_1)
	v_add_f32_e32 v7, v11, v7
.LBB58_6:
	global_load_b32 v1, v[1:2], off offset:384
	s_waitcnt vmcnt(0)
	v_mul_f32_e32 v2, 0x3fb8aa3b, v1
	s_delay_alu instid0(VALU_DEP_1) | instskip(SKIP_2) | instid1(VALU_DEP_2)
	v_cmp_gt_f32_e32 vcc_lo, 0xc2fc0000, v2
	v_cndmask_b32_e64 v12, 0, 0x42800000, vcc_lo
	v_cndmask_b32_e64 v2, 1.0, 0x1f800000, vcc_lo
	v_fmac_f32_e32 v12, 0x3fb8aa3b, v1
	s_delay_alu instid0(VALU_DEP_1) | instskip(SKIP_2) | instid1(VALU_DEP_1)
	v_exp_f32_e32 v12, v12
	s_waitcnt_depctr 0xfff
	v_fma_f32 v2, v12, v2, 1.0
	v_cmp_gt_f32_e32 vcc_lo, 0x800000, v2
	v_cndmask_b32_e64 v12, 1.0, 0x4f800000, vcc_lo
	s_delay_alu instid0(VALU_DEP_1) | instskip(SKIP_2) | instid1(VALU_DEP_3)
	v_mul_f32_e32 v2, v2, v12
	v_cndmask_b32_e64 v12, 0, 0x42000000, vcc_lo
	v_cmp_lt_f32_e32 vcc_lo, 0x41a00000, v1
	v_log_f32_e32 v2, v2
	s_waitcnt_depctr 0xfff
	v_sub_f32_e32 v2, v2, v12
	s_delay_alu instid0(VALU_DEP_1) | instskip(NEXT) | instid1(VALU_DEP_1)
	v_mul_f32_e32 v2, 0x3f317218, v2
	v_cndmask_b32_e32 v1, v2, v1, vcc_lo
	s_delay_alu instid0(VALU_DEP_1) | instskip(SKIP_1) | instid1(VALU_DEP_2)
	v_mul_f32_e32 v2, 0x4f800000, v1
	v_cmp_gt_f32_e32 vcc_lo, 0xf800000, v1
	v_cndmask_b32_e32 v1, v1, v2, vcc_lo
	s_delay_alu instid0(VALU_DEP_1) | instskip(SKIP_3) | instid1(VALU_DEP_2)
	v_sqrt_f32_e32 v2, v1
	s_waitcnt_depctr 0xfff
	v_add_nc_u32_e32 v12, -1, v2
	v_add_nc_u32_e32 v13, 1, v2
	v_fma_f32 v14, -v12, v2, v1
	s_delay_alu instid0(VALU_DEP_2) | instskip(NEXT) | instid1(VALU_DEP_2)
	v_fma_f32 v15, -v13, v2, v1
	v_cmp_ge_f32_e64 s2, 0, v14
	s_delay_alu instid0(VALU_DEP_1) | instskip(NEXT) | instid1(VALU_DEP_3)
	v_cndmask_b32_e64 v2, v2, v12, s2
	v_cmp_lt_f32_e64 s2, 0, v15
	s_delay_alu instid0(VALU_DEP_1) | instskip(NEXT) | instid1(VALU_DEP_1)
	v_cndmask_b32_e64 v2, v2, v13, s2
	v_mul_f32_e32 v12, 0x37800000, v2
	s_delay_alu instid0(VALU_DEP_1) | instskip(SKIP_1) | instid1(VALU_DEP_2)
	v_cndmask_b32_e32 v2, v2, v12, vcc_lo
	v_cmp_class_f32_e64 vcc_lo, v1, 0x260
	v_cndmask_b32_e32 v1, v2, v1, vcc_lo
	v_cmp_ne_u32_e32 vcc_lo, 1, v8
	s_delay_alu instid0(VALU_DEP_2)
	v_mov_b32_e32 v2, v1
	s_cbranch_vccnz .LBB58_8
; %bb.7:
	global_load_u16 v2, v4, s[6:7] offset:192
	s_waitcnt vmcnt(0)
	v_cvt_f32_f16_e32 v2, v2
	s_delay_alu instid0(VALU_DEP_1)
	v_add_f32_e32 v2, v1, v2
.LBB58_8:
	v_cmp_lt_f32_e32 vcc_lo, v6, v10
	v_add_nc_u32_e32 v13, 32, v0
	v_add_nc_u32_e32 v14, 64, v0
	v_mov_b32_e32 v16, v7
	s_mov_b32 s2, exec_lo
	v_cndmask_b32_e32 v8, v9, v5, vcc_lo
	v_dual_cndmask_b32 v5, v5, v9 :: v_dual_add_nc_u32 v4, 0x60, v0
	v_dual_cndmask_b32 v12, v13, v0 :: v_dual_cndmask_b32 v9, v10, v6
	v_dual_cndmask_b32 v13, v0, v13 :: v_dual_cndmask_b32 v10, v6, v10
	v_cmpx_lt_f32_e32 v7, v2
	s_xor_b32 s2, exec_lo, s2
; %bb.9:
	v_dual_mov_b32 v17, v7 :: v_dual_mov_b32 v16, v2
	v_dual_mov_b32 v6, v11 :: v_dual_mov_b32 v15, v14
	v_swap_b32 v11, v1
	v_swap_b32 v14, v4
	s_delay_alu instid0(VALU_DEP_4)
	v_dual_mov_b32 v7, v2 :: v_dual_mov_b32 v2, v17
; %bb.10:
	s_or_b32 exec_lo, exec_lo, s2
	s_delay_alu instid0(VALU_DEP_1) | instskip(SKIP_1) | instid1(VALU_DEP_3)
	v_cmp_lt_f32_e32 vcc_lo, v10, v7
	s_mov_b32 s2, exec_lo
	v_dual_cndmask_b32 v15, v11, v5 :: v_dual_cndmask_b32 v6, v13, v14
	v_cndmask_b32_e32 v5, v5, v11, vcc_lo
	v_dual_cndmask_b32 v11, v14, v13 :: v_dual_mov_b32 v14, v9
	v_cndmask_b32_e32 v13, v16, v10, vcc_lo
	v_cndmask_b32_e32 v7, v10, v7, vcc_lo
	v_cmpx_lt_f32_e32 v9, v2
; %bb.11:
	v_mov_b32_e32 v16, v9
	v_dual_mov_b32 v10, v8 :: v_dual_mov_b32 v9, v2
	v_mov_b32_e32 v14, v12
	v_swap_b32 v8, v1
	v_swap_b32 v12, v4
	v_mov_b32_e32 v14, v2
	v_mov_b32_e32 v2, v16
; %bb.12:
	s_or_b32 exec_lo, exec_lo, s2
	s_clause 0x1
	s_load_b32 s8, s[0:1], 0x28
	s_load_b128 s[4:7], s[0:1], 0x10
	s_waitcnt lgkmcnt(0)
	s_cmp_lt_i32 s8, 1
	s_cbranch_scc1 .LBB58_18
; %bb.13:
	v_cmp_lt_f32_e32 vcc_lo, v9, v13
	v_dual_mov_b32 v16, 0 :: v_dual_mov_b32 v17, v0
	s_mov_b32 s9, 0x76543210
	s_mov_b32 s10, s8
	v_dual_cndmask_b32 v10, v11, v12 :: v_dual_cndmask_b32 v11, v12, v11
	v_cndmask_b32_e32 v12, v13, v9, vcc_lo
	v_dual_cndmask_b32 v13, v14, v13 :: v_dual_cndmask_b32 v14, v15, v8
	v_cndmask_b32_e32 v15, v8, v15, vcc_lo
	v_dual_mov_b32 v9, 0 :: v_dual_mov_b32 v8, 0
.LBB58_14:                              ; =>This Inner Loop Header: Depth=1
	v_cmp_eq_u32_e32 vcc_lo, 1, v16
	v_cmp_eq_u32_e64 s2, 2, v16
	v_cmp_gt_u32_e64 s3, 4, v16
	v_dual_cndmask_b32 v18, v7, v13 :: v_dual_cndmask_b32 v19, v6, v11
	v_cndmask_b32_e32 v20, v5, v15, vcc_lo
	v_cmp_eq_u32_e32 vcc_lo, 3, v16
	s_delay_alu instid0(VALU_DEP_3) | instskip(NEXT) | instid1(VALU_DEP_4)
	v_cndmask_b32_e64 v18, v18, v12, s2
	v_cndmask_b32_e64 v19, v19, v10, s2
	s_delay_alu instid0(VALU_DEP_1) | instskip(NEXT) | instid1(VALU_DEP_1)
	v_dual_cndmask_b32 v18, v18, v2 :: v_dual_cndmask_b32 v19, v19, v4
	v_cndmask_b32_e64 v18, 0xff800000, v18, s3
	;;#ASMSTART
	v_max_f32 v21, v18, v18 quad_perm:[1,0,3,2] row_mask:0xf bank_mask:0xf bound_ctrl:1
	;;#ASMEND
	;;#ASMSTART
	v_max_f32 v22, v21, v21 quad_perm:[2,3,0,1] row_mask:0xf bank_mask:0xf bound_ctrl:1
	;;#ASMEND
	;;#ASMSTART
	v_max_f32 v21, v22, v22 row_half_mirror row_mask:0xf bank_mask:0xf bound_ctrl:1
	;;#ASMEND
	;;#ASMSTART
	v_max_f32 v22, v21, v21 row_mirror row_mask:0xf bank_mask:0xf bound_ctrl:1
	;;#ASMEND
	v_permlanex16_b32 v21, v22, s9, 0xfedcba98 op_sel:[1,1]
	s_delay_alu instid0(VALU_DEP_1) | instskip(NEXT) | instid1(VALU_DEP_1)
	v_dual_max_f32 v22, v22, v22 :: v_dual_max_f32 v21, v21, v21
	v_max_f32_e32 v21, v22, v21
	v_cndmask_b32_e64 v20, v20, v14, s2
	s_delay_alu instid0(VALU_DEP_2) | instskip(SKIP_1) | instid1(VALU_DEP_2)
	v_cmp_eq_f32_e64 s2, v18, v21
	v_cndmask_b32_e64 v18, 0, v19, s3
	s_ctz_i32_b32 s11, s2
	s_cmp_lg_u32 s2, 0
	s_cselect_b32 s2, s11, 0
	s_add_i32 s10, s10, -1
	v_readlane_b32 s11, v18, s2
	v_cndmask_b32_e32 v18, v20, v1, vcc_lo
	s_delay_alu instid0(VALU_DEP_2)
	v_cmp_eq_u32_e32 vcc_lo, s11, v19
	s_and_b32 s2, s11, 31
	s_and_b32 vcc_lo, s3, vcc_lo
	s_cmp_eq_u32 s10, 0
	v_cndmask_b32_e32 v18, 0, v18, vcc_lo
	v_add_co_ci_u32_e32 v16, vcc_lo, 0, v16, vcc_lo
	s_delay_alu instid0(VALU_DEP_2) | instskip(SKIP_2) | instid1(VALU_DEP_2)
	v_readlane_b32 s3, v18, s2
	v_cmp_eq_u32_e64 s2, 0, v17
	v_add_nc_u32_e32 v17, -1, v17
	v_cndmask_b32_e64 v9, v9, s3, s2
	v_cndmask_b32_e64 v8, v8, s11, s2
	s_cbranch_scc0 .LBB58_14
; %bb.15:
	s_mov_b32 s2, exec_lo
	v_cmpx_gt_i32_e64 s8, v0
	s_cbranch_execz .LBB58_17
.LBB58_16:
	s_clause 0x1
	s_load_b64 s[2:3], s[0:1], 0x20
	s_load_b32 s8, s[0:1], 0x30
	s_ashr_i32 s0, s15, 31
	s_waitcnt lgkmcnt(0)
	s_mul_i32 s1, s15, s3
	s_mul_hi_u32 s3, s15, s2
	s_mul_i32 s0, s0, s2
	s_add_i32 s1, s3, s1
	v_mul_f32_e32 v0, s8, v9
	s_add_i32 s1, s1, s0
	s_mul_i32 s0, s15, s2
	s_delay_alu instid0(SALU_CYCLE_1) | instskip(NEXT) | instid1(SALU_CYCLE_1)
	s_lshl_b64 s[0:1], s[0:1], 2
	s_add_u32 s2, s4, s0
	s_addc_u32 s3, s5, s1
	s_add_u32 s0, s6, s0
	s_addc_u32 s1, s7, s1
	s_clause 0x1
	global_store_b32 v3, v0, s[2:3]
	global_store_b32 v3, v8, s[0:1]
.LBB58_17:
	s_nop 0
	s_sendmsg sendmsg(MSG_DEALLOC_VGPRS)
	s_endpgm
.LBB58_18:
	v_dual_mov_b32 v8, 0 :: v_dual_mov_b32 v9, 0
	s_mov_b32 s2, exec_lo
	v_cmpx_gt_i32_e64 s8, v0
	s_cbranch_execnz .LBB58_16
	s_branch .LBB58_17
	.section	.rodata,"a",@progbits
	.p2align	6, 0x0
	.amdhsa_kernel _ZN5aiter24topk_softplus_kernel_optIf6__halfLi128ELb0ELi0EEEvPKT_PKT0_PfPimiif
		.amdhsa_group_segment_fixed_size 0
		.amdhsa_private_segment_fixed_size 0
		.amdhsa_kernarg_size 52
		.amdhsa_user_sgpr_count 15
		.amdhsa_user_sgpr_dispatch_ptr 0
		.amdhsa_user_sgpr_queue_ptr 0
		.amdhsa_user_sgpr_kernarg_segment_ptr 1
		.amdhsa_user_sgpr_dispatch_id 0
		.amdhsa_user_sgpr_private_segment_size 0
		.amdhsa_wavefront_size32 1
		.amdhsa_uses_dynamic_stack 0
		.amdhsa_enable_private_segment 0
		.amdhsa_system_sgpr_workgroup_id_x 1
		.amdhsa_system_sgpr_workgroup_id_y 0
		.amdhsa_system_sgpr_workgroup_id_z 0
		.amdhsa_system_sgpr_workgroup_info 0
		.amdhsa_system_vgpr_workitem_id 0
		.amdhsa_next_free_vgpr 23
		.amdhsa_next_free_sgpr 16
		.amdhsa_reserve_vcc 1
		.amdhsa_float_round_mode_32 0
		.amdhsa_float_round_mode_16_64 0
		.amdhsa_float_denorm_mode_32 3
		.amdhsa_float_denorm_mode_16_64 3
		.amdhsa_dx10_clamp 1
		.amdhsa_ieee_mode 1
		.amdhsa_fp16_overflow 0
		.amdhsa_workgroup_processor_mode 1
		.amdhsa_memory_ordered 1
		.amdhsa_forward_progress 0
		.amdhsa_shared_vgpr_count 0
		.amdhsa_exception_fp_ieee_invalid_op 0
		.amdhsa_exception_fp_denorm_src 0
		.amdhsa_exception_fp_ieee_div_zero 0
		.amdhsa_exception_fp_ieee_overflow 0
		.amdhsa_exception_fp_ieee_underflow 0
		.amdhsa_exception_fp_ieee_inexact 0
		.amdhsa_exception_int_div_zero 0
	.end_amdhsa_kernel
	.section	.text._ZN5aiter24topk_softplus_kernel_optIf6__halfLi128ELb0ELi0EEEvPKT_PKT0_PfPimiif,"axG",@progbits,_ZN5aiter24topk_softplus_kernel_optIf6__halfLi128ELb0ELi0EEEvPKT_PKT0_PfPimiif,comdat
.Lfunc_end58:
	.size	_ZN5aiter24topk_softplus_kernel_optIf6__halfLi128ELb0ELi0EEEvPKT_PKT0_PfPimiif, .Lfunc_end58-_ZN5aiter24topk_softplus_kernel_optIf6__halfLi128ELb0ELi0EEEvPKT_PKT0_PfPimiif
                                        ; -- End function
	.section	.AMDGPU.csdata,"",@progbits
; Kernel info:
; codeLenInByte = 2160
; NumSgprs: 18
; NumVgprs: 23
; ScratchSize: 0
; MemoryBound: 0
; FloatMode: 240
; IeeeMode: 1
; LDSByteSize: 0 bytes/workgroup (compile time only)
; SGPRBlocks: 2
; VGPRBlocks: 2
; NumSGPRsForWavesPerEU: 18
; NumVGPRsForWavesPerEU: 23
; Occupancy: 16
; WaveLimiterHint : 0
; COMPUTE_PGM_RSRC2:SCRATCH_EN: 0
; COMPUTE_PGM_RSRC2:USER_SGPR: 15
; COMPUTE_PGM_RSRC2:TRAP_HANDLER: 0
; COMPUTE_PGM_RSRC2:TGID_X_EN: 1
; COMPUTE_PGM_RSRC2:TGID_Y_EN: 0
; COMPUTE_PGM_RSRC2:TGID_Z_EN: 0
; COMPUTE_PGM_RSRC2:TIDIG_COMP_CNT: 0
	.section	.text._ZN5aiter24topk_softplus_kernel_optIf6__halfLi256ELb1ELi0EEEvPKT_PKT0_PfPimiif,"axG",@progbits,_ZN5aiter24topk_softplus_kernel_optIf6__halfLi256ELb1ELi0EEEvPKT_PKT0_PfPimiif,comdat
	.protected	_ZN5aiter24topk_softplus_kernel_optIf6__halfLi256ELb1ELi0EEEvPKT_PKT0_PfPimiif ; -- Begin function _ZN5aiter24topk_softplus_kernel_optIf6__halfLi256ELb1ELi0EEEvPKT_PKT0_PfPimiif
	.globl	_ZN5aiter24topk_softplus_kernel_optIf6__halfLi256ELb1ELi0EEEvPKT_PKT0_PfPimiif
	.p2align	8
	.type	_ZN5aiter24topk_softplus_kernel_optIf6__halfLi256ELb1ELi0EEEvPKT_PKT0_PfPimiif,@function
_ZN5aiter24topk_softplus_kernel_optIf6__halfLi256ELb1ELi0EEEvPKT_PKT0_PfPimiif: ; @_ZN5aiter24topk_softplus_kernel_optIf6__halfLi256ELb1ELi0EEEvPKT_PKT0_PfPimiif
; %bb.0:
	s_load_b128 s[4:7], s[0:1], 0x0
	s_lshl_b32 s2, s15, 8
	v_lshlrev_b32_e32 v96, 2, v0
	s_ashr_i32 s3, s2, 31
	s_delay_alu instid0(SALU_CYCLE_1)
	s_lshl_b64 s[2:3], s[2:3], 2
	s_waitcnt lgkmcnt(0)
	s_add_u32 s4, s4, s2
	s_addc_u32 s5, s5, s3
	s_cmp_lg_u64 s[6:7], 0
	global_load_b32 v1, v96, s[4:5]
	s_cselect_b32 s3, -1, 0
	s_waitcnt vmcnt(0)
	v_mul_f32_e32 v2, 0x3fb8aa3b, v1
	s_delay_alu instid0(VALU_DEP_1) | instskip(SKIP_2) | instid1(VALU_DEP_2)
	v_cmp_gt_f32_e32 vcc_lo, 0xc2fc0000, v2
	v_cndmask_b32_e64 v2, 0, 0x42800000, vcc_lo
	v_cndmask_b32_e64 v3, 1.0, 0x1f800000, vcc_lo
	v_fmac_f32_e32 v2, 0x3fb8aa3b, v1
	s_delay_alu instid0(VALU_DEP_1) | instskip(SKIP_2) | instid1(VALU_DEP_1)
	v_exp_f32_e32 v2, v2
	s_waitcnt_depctr 0xfff
	v_fma_f32 v2, v2, v3, 1.0
	v_cmp_gt_f32_e32 vcc_lo, 0x800000, v2
	v_cndmask_b32_e64 v3, 1.0, 0x4f800000, vcc_lo
	s_delay_alu instid0(VALU_DEP_1) | instskip(SKIP_2) | instid1(VALU_DEP_3)
	v_mul_f32_e32 v2, v2, v3
	v_cndmask_b32_e64 v3, 0, 0x42000000, vcc_lo
	v_cmp_lt_f32_e32 vcc_lo, 0x41a00000, v1
	v_log_f32_e32 v2, v2
	s_waitcnt_depctr 0xfff
	v_sub_f32_e32 v2, v2, v3
	s_delay_alu instid0(VALU_DEP_1) | instskip(NEXT) | instid1(VALU_DEP_1)
	v_mul_f32_e32 v2, 0x3f317218, v2
	v_cndmask_b32_e32 v1, v2, v1, vcc_lo
	s_delay_alu instid0(VALU_DEP_1) | instskip(SKIP_1) | instid1(VALU_DEP_2)
	v_mul_f32_e32 v2, 0x4f800000, v1
	v_cmp_gt_f32_e32 vcc_lo, 0xf800000, v1
	v_cndmask_b32_e32 v1, v1, v2, vcc_lo
	s_delay_alu instid0(VALU_DEP_1) | instskip(SKIP_3) | instid1(VALU_DEP_2)
	v_sqrt_f32_e32 v2, v1
	s_waitcnt_depctr 0xfff
	v_add_nc_u32_e32 v3, -1, v2
	v_add_nc_u32_e32 v4, 1, v2
	v_fma_f32 v5, -v3, v2, v1
	s_delay_alu instid0(VALU_DEP_2) | instskip(NEXT) | instid1(VALU_DEP_2)
	v_fma_f32 v6, -v4, v2, v1
	v_cmp_ge_f32_e64 s2, 0, v5
	s_delay_alu instid0(VALU_DEP_1) | instskip(NEXT) | instid1(VALU_DEP_3)
	v_cndmask_b32_e64 v2, v2, v3, s2
	v_cmp_lt_f32_e64 s2, 0, v6
	s_delay_alu instid0(VALU_DEP_1) | instskip(NEXT) | instid1(VALU_DEP_1)
	v_cndmask_b32_e64 v2, v2, v4, s2
	v_mul_f32_e32 v3, 0x37800000, v2
	s_delay_alu instid0(VALU_DEP_1) | instskip(SKIP_1) | instid1(VALU_DEP_2)
	v_cndmask_b32_e32 v2, v2, v3, vcc_lo
	v_cmp_class_f32_e64 vcc_lo, v1, 0x260
	v_dual_cndmask_b32 v56, v2, v1 :: v_dual_lshlrev_b32 v3, 1, v0
	v_add_co_u32 v1, s2, s4, v96
	s_delay_alu instid0(VALU_DEP_1) | instskip(NEXT) | instid1(VALU_DEP_3)
	v_add_co_ci_u32_e64 v2, null, s5, 0, s2
	v_mov_b32_e32 v24, v56
	s_and_b32 vcc_lo, exec_lo, s3
	s_cbranch_vccz .LBB59_2
; %bb.1:
	global_load_u16 v4, v3, s[6:7]
	s_waitcnt vmcnt(0)
	v_cvt_f32_f16_e32 v4, v4
	s_delay_alu instid0(VALU_DEP_1)
	v_add_f32_e32 v24, v56, v4
.LBB59_2:
	global_load_b32 v4, v[1:2], off offset:128
	s_waitcnt vmcnt(0)
	v_mul_f32_e32 v5, 0x3fb8aa3b, v4
	s_delay_alu instid0(VALU_DEP_1) | instskip(SKIP_2) | instid1(VALU_DEP_2)
	v_cmp_gt_f32_e32 vcc_lo, 0xc2fc0000, v5
	v_cndmask_b32_e64 v6, 0, 0x42800000, vcc_lo
	v_cndmask_b32_e64 v5, 1.0, 0x1f800000, vcc_lo
	v_fmac_f32_e32 v6, 0x3fb8aa3b, v4
	s_delay_alu instid0(VALU_DEP_1) | instskip(SKIP_2) | instid1(VALU_DEP_1)
	v_exp_f32_e32 v6, v6
	s_waitcnt_depctr 0xfff
	v_fma_f32 v5, v6, v5, 1.0
	v_cmp_gt_f32_e32 vcc_lo, 0x800000, v5
	v_cndmask_b32_e64 v6, 1.0, 0x4f800000, vcc_lo
	s_delay_alu instid0(VALU_DEP_1) | instskip(SKIP_2) | instid1(VALU_DEP_3)
	v_mul_f32_e32 v5, v5, v6
	v_cndmask_b32_e64 v6, 0, 0x42000000, vcc_lo
	v_cmp_lt_f32_e32 vcc_lo, 0x41a00000, v4
	v_log_f32_e32 v5, v5
	s_waitcnt_depctr 0xfff
	v_sub_f32_e32 v5, v5, v6
	s_delay_alu instid0(VALU_DEP_1) | instskip(NEXT) | instid1(VALU_DEP_1)
	v_mul_f32_e32 v5, 0x3f317218, v5
	v_cndmask_b32_e32 v4, v5, v4, vcc_lo
	s_delay_alu instid0(VALU_DEP_1) | instskip(SKIP_1) | instid1(VALU_DEP_2)
	v_mul_f32_e32 v5, 0x4f800000, v4
	v_cmp_gt_f32_e32 vcc_lo, 0xf800000, v4
	v_cndmask_b32_e32 v5, v4, v5, vcc_lo
	s_delay_alu instid0(VALU_DEP_1) | instskip(SKIP_3) | instid1(VALU_DEP_2)
	v_sqrt_f32_e32 v4, v5
	s_waitcnt_depctr 0xfff
	v_add_nc_u32_e32 v6, -1, v4
	v_add_nc_u32_e32 v7, 1, v4
	v_fma_f32 v8, -v6, v4, v5
	s_delay_alu instid0(VALU_DEP_2) | instskip(NEXT) | instid1(VALU_DEP_2)
	v_fma_f32 v9, -v7, v4, v5
	v_cmp_ge_f32_e64 s2, 0, v8
	s_delay_alu instid0(VALU_DEP_1) | instskip(NEXT) | instid1(VALU_DEP_3)
	v_cndmask_b32_e64 v4, v4, v6, s2
	v_cmp_lt_f32_e64 s2, 0, v9
	s_delay_alu instid0(VALU_DEP_1) | instskip(NEXT) | instid1(VALU_DEP_1)
	v_cndmask_b32_e64 v4, v4, v7, s2
	v_mul_f32_e32 v6, 0x37800000, v4
	s_delay_alu instid0(VALU_DEP_1) | instskip(SKIP_2) | instid1(VALU_DEP_3)
	v_cndmask_b32_e32 v6, v4, v6, vcc_lo
	v_cmp_class_f32_e64 vcc_lo, v5, 0x260
	v_cndmask_b32_e64 v4, 0, 1, s3
	v_cndmask_b32_e32 v9, v6, v5, vcc_lo
	s_and_not1_b32 vcc_lo, exec_lo, s3
	s_delay_alu instid0(VALU_DEP_1)
	v_mov_b32_e32 v25, v9
	s_cbranch_vccnz .LBB59_4
; %bb.3:
	global_load_u16 v5, v3, s[6:7] offset:64
	s_waitcnt vmcnt(0)
	v_cvt_f32_f16_e32 v5, v5
	s_delay_alu instid0(VALU_DEP_1)
	v_add_f32_e32 v25, v9, v5
.LBB59_4:
	global_load_b32 v5, v[1:2], off offset:256
	s_waitcnt vmcnt(0)
	v_mul_f32_e32 v6, 0x3fb8aa3b, v5
	s_delay_alu instid0(VALU_DEP_1) | instskip(SKIP_2) | instid1(VALU_DEP_2)
	v_cmp_gt_f32_e32 vcc_lo, 0xc2fc0000, v6
	v_cndmask_b32_e64 v7, 0, 0x42800000, vcc_lo
	v_cndmask_b32_e64 v6, 1.0, 0x1f800000, vcc_lo
	v_fmac_f32_e32 v7, 0x3fb8aa3b, v5
	s_delay_alu instid0(VALU_DEP_1) | instskip(SKIP_2) | instid1(VALU_DEP_1)
	v_exp_f32_e32 v7, v7
	s_waitcnt_depctr 0xfff
	v_fma_f32 v6, v7, v6, 1.0
	v_cmp_gt_f32_e32 vcc_lo, 0x800000, v6
	v_cndmask_b32_e64 v7, 1.0, 0x4f800000, vcc_lo
	s_delay_alu instid0(VALU_DEP_1) | instskip(SKIP_2) | instid1(VALU_DEP_3)
	v_mul_f32_e32 v6, v6, v7
	v_cndmask_b32_e64 v7, 0, 0x42000000, vcc_lo
	v_cmp_lt_f32_e32 vcc_lo, 0x41a00000, v5
	v_log_f32_e32 v6, v6
	s_waitcnt_depctr 0xfff
	v_sub_f32_e32 v6, v6, v7
	s_delay_alu instid0(VALU_DEP_1) | instskip(NEXT) | instid1(VALU_DEP_1)
	v_mul_f32_e32 v6, 0x3f317218, v6
	v_cndmask_b32_e32 v5, v6, v5, vcc_lo
	s_delay_alu instid0(VALU_DEP_1) | instskip(SKIP_1) | instid1(VALU_DEP_2)
	v_mul_f32_e32 v6, 0x4f800000, v5
	v_cmp_gt_f32_e32 vcc_lo, 0xf800000, v5
	v_cndmask_b32_e32 v5, v5, v6, vcc_lo
	s_delay_alu instid0(VALU_DEP_1) | instskip(SKIP_3) | instid1(VALU_DEP_2)
	v_sqrt_f32_e32 v6, v5
	s_waitcnt_depctr 0xfff
	v_add_nc_u32_e32 v7, -1, v6
	v_add_nc_u32_e32 v8, 1, v6
	v_fma_f32 v10, -v7, v6, v5
	s_delay_alu instid0(VALU_DEP_2) | instskip(NEXT) | instid1(VALU_DEP_2)
	v_fma_f32 v11, -v8, v6, v5
	v_cmp_ge_f32_e64 s2, 0, v10
	s_delay_alu instid0(VALU_DEP_1) | instskip(NEXT) | instid1(VALU_DEP_3)
	v_cndmask_b32_e64 v6, v6, v7, s2
	v_cmp_lt_f32_e64 s2, 0, v11
	s_delay_alu instid0(VALU_DEP_1) | instskip(NEXT) | instid1(VALU_DEP_1)
	v_cndmask_b32_e64 v6, v6, v8, s2
	v_mul_f32_e32 v7, 0x37800000, v6
	s_delay_alu instid0(VALU_DEP_1) | instskip(SKIP_1) | instid1(VALU_DEP_2)
	v_cndmask_b32_e32 v6, v6, v7, vcc_lo
	v_cmp_class_f32_e64 vcc_lo, v5, 0x260
	v_cndmask_b32_e32 v10, v6, v5, vcc_lo
	v_cmp_ne_u32_e32 vcc_lo, 1, v4
	s_delay_alu instid0(VALU_DEP_2)
	v_mov_b32_e32 v26, v10
	s_cbranch_vccnz .LBB59_6
; %bb.5:
	global_load_u16 v5, v3, s[6:7] offset:128
	s_waitcnt vmcnt(0)
	v_cvt_f32_f16_e32 v5, v5
	s_delay_alu instid0(VALU_DEP_1)
	v_add_f32_e32 v26, v10, v5
.LBB59_6:
	global_load_b32 v5, v[1:2], off offset:384
	s_waitcnt vmcnt(0)
	v_mul_f32_e32 v6, 0x3fb8aa3b, v5
	s_delay_alu instid0(VALU_DEP_1) | instskip(SKIP_2) | instid1(VALU_DEP_2)
	v_cmp_gt_f32_e32 vcc_lo, 0xc2fc0000, v6
	v_cndmask_b32_e64 v7, 0, 0x42800000, vcc_lo
	v_cndmask_b32_e64 v6, 1.0, 0x1f800000, vcc_lo
	v_fmac_f32_e32 v7, 0x3fb8aa3b, v5
	s_delay_alu instid0(VALU_DEP_1) | instskip(SKIP_2) | instid1(VALU_DEP_1)
	v_exp_f32_e32 v7, v7
	s_waitcnt_depctr 0xfff
	v_fma_f32 v6, v7, v6, 1.0
	v_cmp_gt_f32_e32 vcc_lo, 0x800000, v6
	v_cndmask_b32_e64 v7, 1.0, 0x4f800000, vcc_lo
	s_delay_alu instid0(VALU_DEP_1) | instskip(SKIP_2) | instid1(VALU_DEP_3)
	v_mul_f32_e32 v6, v6, v7
	v_cndmask_b32_e64 v7, 0, 0x42000000, vcc_lo
	v_cmp_lt_f32_e32 vcc_lo, 0x41a00000, v5
	v_log_f32_e32 v6, v6
	s_waitcnt_depctr 0xfff
	v_sub_f32_e32 v6, v6, v7
	s_delay_alu instid0(VALU_DEP_1) | instskip(NEXT) | instid1(VALU_DEP_1)
	v_mul_f32_e32 v6, 0x3f317218, v6
	v_cndmask_b32_e32 v5, v6, v5, vcc_lo
	s_delay_alu instid0(VALU_DEP_1) | instskip(SKIP_1) | instid1(VALU_DEP_2)
	v_mul_f32_e32 v6, 0x4f800000, v5
	v_cmp_gt_f32_e32 vcc_lo, 0xf800000, v5
	v_cndmask_b32_e32 v5, v5, v6, vcc_lo
	s_delay_alu instid0(VALU_DEP_1) | instskip(SKIP_3) | instid1(VALU_DEP_2)
	v_sqrt_f32_e32 v6, v5
	s_waitcnt_depctr 0xfff
	v_add_nc_u32_e32 v7, -1, v6
	v_add_nc_u32_e32 v8, 1, v6
	v_fma_f32 v11, -v7, v6, v5
	s_delay_alu instid0(VALU_DEP_2) | instskip(NEXT) | instid1(VALU_DEP_2)
	v_fma_f32 v12, -v8, v6, v5
	v_cmp_ge_f32_e64 s2, 0, v11
	s_delay_alu instid0(VALU_DEP_1) | instskip(NEXT) | instid1(VALU_DEP_3)
	v_cndmask_b32_e64 v6, v6, v7, s2
	v_cmp_lt_f32_e64 s2, 0, v12
	s_delay_alu instid0(VALU_DEP_1) | instskip(NEXT) | instid1(VALU_DEP_1)
	v_cndmask_b32_e64 v6, v6, v8, s2
	v_mul_f32_e32 v7, 0x37800000, v6
	s_delay_alu instid0(VALU_DEP_1) | instskip(SKIP_1) | instid1(VALU_DEP_2)
	v_cndmask_b32_e32 v6, v6, v7, vcc_lo
	v_cmp_class_f32_e64 vcc_lo, v5, 0x260
	v_cndmask_b32_e32 v11, v6, v5, vcc_lo
	v_cmp_ne_u32_e32 vcc_lo, 1, v4
	s_delay_alu instid0(VALU_DEP_2)
	;; [unrolled: 58-line block ×5, first 2 shown]
	v_mov_b32_e32 v30, v14
	s_cbranch_vccnz .LBB59_14
; %bb.13:
	global_load_u16 v5, v3, s[6:7] offset:384
	s_waitcnt vmcnt(0)
	v_cvt_f32_f16_e32 v5, v5
	s_delay_alu instid0(VALU_DEP_1)
	v_add_f32_e32 v30, v14, v5
.LBB59_14:
	global_load_b32 v1, v[1:2], off offset:896
	s_waitcnt vmcnt(0)
	v_mul_f32_e32 v2, 0x3fb8aa3b, v1
	s_delay_alu instid0(VALU_DEP_1) | instskip(SKIP_2) | instid1(VALU_DEP_2)
	v_cmp_gt_f32_e32 vcc_lo, 0xc2fc0000, v2
	v_cndmask_b32_e64 v5, 0, 0x42800000, vcc_lo
	v_cndmask_b32_e64 v2, 1.0, 0x1f800000, vcc_lo
	v_fmac_f32_e32 v5, 0x3fb8aa3b, v1
	s_delay_alu instid0(VALU_DEP_1) | instskip(SKIP_2) | instid1(VALU_DEP_1)
	v_exp_f32_e32 v5, v5
	s_waitcnt_depctr 0xfff
	v_fma_f32 v2, v5, v2, 1.0
	v_cmp_gt_f32_e32 vcc_lo, 0x800000, v2
	v_cndmask_b32_e64 v5, 1.0, 0x4f800000, vcc_lo
	s_delay_alu instid0(VALU_DEP_1) | instskip(SKIP_2) | instid1(VALU_DEP_3)
	v_mul_f32_e32 v2, v2, v5
	v_cndmask_b32_e64 v5, 0, 0x42000000, vcc_lo
	v_cmp_lt_f32_e32 vcc_lo, 0x41a00000, v1
	v_log_f32_e32 v2, v2
	s_waitcnt_depctr 0xfff
	v_sub_f32_e32 v2, v2, v5
	s_delay_alu instid0(VALU_DEP_1) | instskip(NEXT) | instid1(VALU_DEP_1)
	v_mul_f32_e32 v2, 0x3f317218, v2
	v_cndmask_b32_e32 v1, v2, v1, vcc_lo
	s_delay_alu instid0(VALU_DEP_1) | instskip(SKIP_1) | instid1(VALU_DEP_2)
	v_mul_f32_e32 v2, 0x4f800000, v1
	v_cmp_gt_f32_e32 vcc_lo, 0xf800000, v1
	v_cndmask_b32_e32 v1, v1, v2, vcc_lo
	s_delay_alu instid0(VALU_DEP_1) | instskip(SKIP_3) | instid1(VALU_DEP_2)
	v_sqrt_f32_e32 v2, v1
	s_waitcnt_depctr 0xfff
	v_add_nc_u32_e32 v5, -1, v2
	v_add_nc_u32_e32 v6, 1, v2
	v_fma_f32 v7, -v5, v2, v1
	s_delay_alu instid0(VALU_DEP_2) | instskip(NEXT) | instid1(VALU_DEP_2)
	v_fma_f32 v8, -v6, v2, v1
	v_cmp_ge_f32_e64 s2, 0, v7
	s_delay_alu instid0(VALU_DEP_1) | instskip(NEXT) | instid1(VALU_DEP_3)
	v_cndmask_b32_e64 v2, v2, v5, s2
	v_cmp_lt_f32_e64 s2, 0, v8
	s_delay_alu instid0(VALU_DEP_1) | instskip(NEXT) | instid1(VALU_DEP_1)
	v_cndmask_b32_e64 v2, v2, v6, s2
	v_mul_f32_e32 v5, 0x37800000, v2
	s_delay_alu instid0(VALU_DEP_1) | instskip(SKIP_1) | instid1(VALU_DEP_2)
	v_cndmask_b32_e32 v2, v2, v5, vcc_lo
	v_cmp_class_f32_e64 vcc_lo, v1, 0x260
	v_cndmask_b32_e32 v15, v2, v1, vcc_lo
	v_cmp_ne_u32_e32 vcc_lo, 1, v4
	s_cbranch_vccnz .LBB59_16
; %bb.15:
	global_load_u16 v1, v3, s[6:7] offset:448
	s_waitcnt vmcnt(0)
	v_cvt_f32_f16_e32 v1, v1
	s_delay_alu instid0(VALU_DEP_1)
	v_add_f32_e32 v31, v15, v1
	s_branch .LBB59_17
.LBB59_16:
	s_delay_alu instid0(VALU_DEP_2)
	v_mov_b32_e32 v31, v15
.LBB59_17:
	v_add_nc_u32_e32 v7, 0xe0, v0
	v_dual_mov_b32 v16, v24 :: v_dual_add_nc_u32 v1, 32, v0
	v_dual_mov_b32 v17, v25 :: v_dual_add_nc_u32 v2, 64, v0
	;; [unrolled: 1-line block ×6, first 2 shown]
	v_dual_mov_b32 v22, v30 :: v_dual_mov_b32 v39, v7
	s_delay_alu instid0(VALU_DEP_2)
	v_dual_mov_b32 v47, v7 :: v_dual_mov_b32 v46, v6
	v_dual_mov_b32 v71, v7 :: v_dual_mov_b32 v70, v6
	v_dual_mov_b32 v55, v7 :: v_dual_mov_b32 v54, v6
	v_dual_mov_b32 v38, v6 :: v_dual_mov_b32 v37, v5
	v_dual_mov_b32 v36, v4 :: v_dual_mov_b32 v35, v3
	v_dual_mov_b32 v34, v2 :: v_dual_mov_b32 v33, v1
	v_dual_mov_b32 v32, v0 :: v_dual_mov_b32 v45, v5
	v_dual_mov_b32 v44, v4 :: v_dual_mov_b32 v43, v3
	v_dual_mov_b32 v42, v2 :: v_dual_mov_b32 v41, v1
	v_dual_mov_b32 v40, v0 :: v_dual_mov_b32 v69, v5
	v_dual_mov_b32 v68, v4 :: v_dual_mov_b32 v67, v3
	v_dual_mov_b32 v66, v2 :: v_dual_mov_b32 v65, v1
	v_dual_mov_b32 v64, v0 :: v_dual_mov_b32 v53, v5
	v_dual_mov_b32 v52, v4 :: v_dual_mov_b32 v51, v3
	v_dual_mov_b32 v50, v2 :: v_dual_mov_b32 v49, v1
	v_dual_mov_b32 v48, v0 :: v_dual_mov_b32 v23, v31
	v_mov_b32_e32 v8, v56
	s_mov_b32 s2, exec_lo
	v_cmpx_lt_f32_e32 v24, v25
	s_xor_b32 s2, exec_lo, s2
	s_cbranch_execz .LBB59_19
; %bb.18:
	v_dual_mov_b32 v38, v6 :: v_dual_mov_b32 v39, v7
	v_dual_mov_b32 v32, v1 :: v_dual_mov_b32 v33, v0
	;; [unrolled: 1-line block ×4, first 2 shown]
	s_delay_alu instid0(VALU_DEP_4)
	v_dual_mov_b32 v47, v39 :: v_dual_mov_b32 v46, v38
	v_dual_mov_b32 v71, v39 :: v_dual_mov_b32 v70, v38
	;; [unrolled: 1-line block ×17, first 2 shown]
	v_mov_b32_e32 v9, v56
	v_mov_b32_e32 v1, v0
.LBB59_19:
	s_or_b32 exec_lo, exec_lo, s2
	v_dual_mov_b32 v63, v15 :: v_dual_mov_b32 v62, v14
	v_dual_mov_b32 v79, v15 :: v_dual_mov_b32 v78, v14
	;; [unrolled: 1-line block ×16, first 2 shown]
	v_mov_b32_e32 v24, v18
	s_mov_b32 s2, exec_lo
	v_cmpx_lt_f32_e32 v25, v18
	s_cbranch_execz .LBB59_21
; %bb.20:
	v_dual_mov_b32 v55, v39 :: v_dual_mov_b32 v54, v38
	v_dual_mov_b32 v51, v35 :: v_dual_mov_b32 v50, v34
	;; [unrolled: 1-line block ×16, first 2 shown]
	v_mov_b32_e32 v83, v11
	v_dual_mov_b32 v85, v93 :: v_dual_mov_b32 v86, v94
	v_dual_mov_b32 v87, v95 :: v_dual_mov_b32 v40, v64
	v_dual_mov_b32 v81, v89 :: v_dual_mov_b32 v82, v90
	v_mov_b32_e32 v42, v66
	v_dual_mov_b32 v17, v18 :: v_dual_mov_b32 v72, v80
	v_dual_mov_b32 v41, v65 :: v_dual_mov_b32 v44, v68
	;; [unrolled: 1-line block ×10, first 2 shown]
	s_delay_alu instid0(VALU_DEP_2)
	v_dual_mov_b32 v56, v72 :: v_dual_mov_b32 v57, v73
	v_dual_mov_b32 v36, v44 :: v_dual_mov_b32 v37, v45
	;; [unrolled: 1-line block ×11, first 2 shown]
	v_mov_b32_e32 v2, v1
.LBB59_21:
	s_or_b32 exec_lo, exec_lo, s2
	v_mov_b32_e32 v1, v19
	s_mov_b32 s2, exec_lo
	v_cmpx_lt_f32_e32 v24, v19
	s_cbranch_execz .LBB59_23
; %bb.22:
	v_mov_b32_e32 v90, v11
	v_mov_b32_e32 v50, v3
	v_dual_mov_b32 v80, v88 :: v_dual_mov_b32 v81, v89
	v_dual_mov_b32 v71, v55 :: v_dual_mov_b32 v70, v54
	;; [unrolled: 1-line block ×3, first 2 shown]
	s_delay_alu instid0(VALU_DEP_4)
	v_dual_mov_b32 v83, v91 :: v_dual_mov_b32 v66, v50
	v_dual_mov_b32 v65, v49 :: v_dual_mov_b32 v68, v52
	;; [unrolled: 1-line block ×3, first 2 shown]
	v_mov_b32_e32 v67, v2
	v_dual_mov_b32 v82, v90 :: v_dual_mov_b32 v87, v95
	v_dual_mov_b32 v85, v93 :: v_dual_mov_b32 v86, v94
	;; [unrolled: 1-line block ×11, first 2 shown]
	v_mov_b32_e32 v44, v4
	v_dual_mov_b32 v56, v72 :: v_dual_mov_b32 v57, v73
	v_dual_mov_b32 v32, v40 :: v_dual_mov_b32 v35, v43
	;; [unrolled: 1-line block ×3, first 2 shown]
	s_delay_alu instid0(VALU_DEP_4)
	v_dual_mov_b32 v37, v45 :: v_dual_mov_b32 v36, v44
	v_dual_mov_b32 v39, v47 :: v_dual_mov_b32 v38, v46
	;; [unrolled: 1-line block ×3, first 2 shown]
	v_mov_b32_e32 v63, v79
	v_dual_mov_b32 v61, v77 :: v_dual_mov_b32 v62, v78
	v_mov_b32_e32 v39, v7
	v_dual_mov_b32 v18, v19 :: v_dual_mov_b32 v19, v24
	v_dual_mov_b32 v60, v76 :: v_dual_mov_b32 v37, v5
	;; [unrolled: 1-line block ×4, first 2 shown]
	v_mov_b32_e32 v1, v24
	v_mov_b32_e32 v11, v10
	;; [unrolled: 1-line block ×3, first 2 shown]
.LBB59_23:
	s_or_b32 exec_lo, exec_lo, s2
	v_mov_b32_e32 v2, v20
	s_mov_b32 s2, exec_lo
	v_cmpx_lt_f32_e32 v1, v20
	s_cbranch_execz .LBB59_25
; %bb.24:
	v_mov_b32_e32 v91, v12
	v_mov_b32_e32 v51, v4
	v_mov_b32_e32 v72, v88
	v_mov_b32_e32 v74, v90
	v_dual_mov_b32 v40, v48 :: v_dual_mov_b32 v41, v49
	v_dual_mov_b32 v42, v50 :: v_dual_mov_b32 v47, v55
	v_dual_mov_b32 v76, v92 :: v_dual_mov_b32 v43, v51
	v_dual_mov_b32 v44, v52 :: v_dual_mov_b32 v77, v93
	v_mov_b32_e32 v44, v3
	v_dual_mov_b32 v76, v11 :: v_dual_mov_b32 v19, v20
	v_dual_mov_b32 v45, v53 :: v_dual_mov_b32 v46, v54
	;; [unrolled: 1-line block ×4, first 2 shown]
	v_mov_b32_e32 v73, v89
	v_mov_b32_e32 v56, v72
	v_dual_mov_b32 v32, v40 :: v_dual_mov_b32 v33, v41
	v_dual_mov_b32 v60, v76 :: v_dual_mov_b32 v61, v77
	;; [unrolled: 1-line block ×9, first 2 shown]
	v_mov_b32_e32 v59, v75
	v_dual_mov_b32 v37, v5 :: v_dual_mov_b32 v38, v6
	v_dual_mov_b32 v39, v7 :: v_dual_mov_b32 v62, v14
	;; [unrolled: 1-line block ×10, first 2 shown]
	v_mov_b32_e32 v4, v3
.LBB59_25:
	s_or_b32 exec_lo, exec_lo, s2
	v_mov_b32_e32 v1, v21
	s_mov_b32 s2, exec_lo
	v_cmpx_lt_f32_e32 v2, v21
	s_cbranch_execz .LBB59_27
; %bb.26:
	v_mov_b32_e32 v68, v5
	v_dual_mov_b32 v20, v21 :: v_dual_mov_b32 v21, v2
	v_mov_b32_e32 v84, v13
	v_dual_mov_b32 v32, v64 :: v_dual_mov_b32 v33, v65
	v_dual_mov_b32 v39, v71 :: v_dual_mov_b32 v56, v80
	;; [unrolled: 1-line block ×7, first 2 shown]
	v_mov_b32_e32 v61, v12
	v_dual_mov_b32 v72, v80 :: v_dual_mov_b32 v73, v81
	v_dual_mov_b32 v40, v64 :: v_dual_mov_b32 v41, v65
	;; [unrolled: 1-line block ×9, first 2 shown]
	v_mov_b32_e32 v45, v69
	v_mov_b32_e32 v1, v2
	;; [unrolled: 1-line block ×3, first 2 shown]
	v_dual_mov_b32 v5, v4 :: v_dual_mov_b32 v78, v86
	v_dual_mov_b32 v79, v87 :: v_dual_mov_b32 v46, v70
	v_mov_b32_e32 v47, v71
.LBB59_27:
	s_or_b32 exec_lo, exec_lo, s2
	v_mov_b32_e32 v2, v22
	s_mov_b32 s2, exec_lo
	v_cmpx_lt_f32_e32 v1, v22
	s_cbranch_execz .LBB59_29
; %bb.28:
	v_dual_mov_b32 v77, v14 :: v_dual_mov_b32 v78, v13
	v_dual_mov_b32 v45, v6 :: v_dual_mov_b32 v46, v5
	v_mov_b32_e32 v79, v15
	v_dual_mov_b32 v21, v22 :: v_dual_mov_b32 v22, v1
	v_dual_mov_b32 v47, v7 :: v_dual_mov_b32 v56, v72
	;; [unrolled: 1-line block ×10, first 2 shown]
.LBB59_29:
	s_or_b32 exec_lo, exec_lo, s2
	s_delay_alu instid0(VALU_DEP_1)
	v_cmp_lt_f32_e32 vcc_lo, v2, v23
	v_mov_b32_e32 v43, v59
	v_cmp_lt_f32_e64 s2, v16, v17
	v_dual_mov_b32 v41, v57 :: v_dual_mov_b32 v42, v58
	v_dual_cndmask_b32 v9, v23, v2 :: v_dual_mov_b32 v44, v60
	v_dual_cndmask_b32 v22, v22, v23 :: v_dual_cndmask_b32 v47, v63, v62
	s_delay_alu instid0(VALU_DEP_2)
	v_dual_mov_b32 v40, v56 :: v_dual_mov_b32 v23, v9
	v_dual_cndmask_b32 v46, v62, v63 :: v_dual_mov_b32 v1, v16
	v_dual_mov_b32 v4, v19 :: v_dual_mov_b32 v45, v61
	v_dual_cndmask_b32 v54, v38, v39 :: v_dual_cndmask_b32 v55, v39, v38
	v_dual_mov_b32 v2, v17 :: v_dual_mov_b32 v3, v18
	v_dual_mov_b32 v6, v21 :: v_dual_mov_b32 v5, v20
	;; [unrolled: 1-line block ×6, first 2 shown]
	s_and_saveexec_b32 s3, s2
	s_delay_alu instid0(SALU_CYCLE_1)
	s_xor_b32 s2, exec_lo, s3
	s_cbranch_execz .LBB59_31
; %bb.30:
	v_dual_mov_b32 v2, v17 :: v_dual_mov_b32 v3, v16
	v_dual_mov_b32 v4, v18 :: v_dual_mov_b32 v5, v19
	;; [unrolled: 1-line block ×4, first 2 shown]
	s_delay_alu instid0(VALU_DEP_4)
	v_dual_mov_b32 v1, v2 :: v_dual_mov_b32 v40, v57
	v_dual_mov_b32 v2, v3 :: v_dual_mov_b32 v41, v56
	;; [unrolled: 1-line block ×10, first 2 shown]
.LBB59_31:
	s_or_b32 exec_lo, exec_lo, s2
	v_dual_mov_b32 v26, v40 :: v_dual_mov_b32 v27, v41
	v_dual_mov_b32 v79, v47 :: v_dual_mov_b32 v78, v46
	;; [unrolled: 1-line block ×22, first 2 shown]
	v_mov_b32_e32 v34, v3
	s_mov_b32 s2, exec_lo
	v_dual_mov_b32 v77, v45 :: v_dual_mov_b32 v76, v44
	v_dual_mov_b32 v69, v53 :: v_dual_mov_b32 v68, v52
	v_cmpx_lt_f32_e32 v17, v3
	s_cbranch_execz .LBB59_33
; %bb.32:
	v_dual_mov_b32 v9, v48 :: v_dual_mov_b32 v10, v49
	v_dual_mov_b32 v15, v54 :: v_dual_mov_b32 v16, v55
	v_mov_b32_e32 v10, v50
	v_dual_mov_b32 v11, v50 :: v_dual_mov_b32 v12, v51
	v_dual_mov_b32 v13, v52 :: v_dual_mov_b32 v14, v53
	;; [unrolled: 1-line block ×3, first 2 shown]
	v_mov_b32_e32 v11, v49
	v_dual_mov_b32 v59, v43 :: v_dual_mov_b32 v58, v42
	v_dual_mov_b32 v57, v41 :: v_dual_mov_b32 v56, v40
	;; [unrolled: 1-line block ×14, first 2 shown]
	v_mov_b32_e32 v23, v69
	v_dual_mov_b32 v23, v53 :: v_dual_mov_b32 v26, v72
	v_dual_mov_b32 v19, v65 :: v_dual_mov_b32 v22, v68
	;; [unrolled: 1-line block ×12, first 2 shown]
	v_mov_b32_e32 v42, v41
	v_mov_b32_e32 v50, v49
.LBB59_33:
	s_or_b32 exec_lo, exec_lo, s2
	v_mov_b32_e32 v17, v4
	s_mov_b32 s2, exec_lo
	v_cmpx_lt_f32_e32 v34, v4
	s_cbranch_execz .LBB59_35
; %bb.34:
	v_mov_b32_e32 v11, v51
	v_dual_mov_b32 v3, v4 :: v_dual_mov_b32 v4, v34
	v_dual_mov_b32 v58, v43 :: v_dual_mov_b32 v71, v16
	v_mov_b32_e32 v64, v9
	v_dual_mov_b32 v70, v15 :: v_dual_mov_b32 v69, v14
	v_dual_mov_b32 v79, v63 :: v_dual_mov_b32 v76, v60
	;; [unrolled: 1-line block ×5, first 2 shown]
	v_mov_b32_e32 v67, v50
	v_dual_mov_b32 v78, v62 :: v_dual_mov_b32 v77, v61
	v_dual_mov_b32 v74, v58 :: v_dual_mov_b32 v73, v57
	v_dual_mov_b32 v18, v64 :: v_dual_mov_b32 v75, v42
	v_dual_mov_b32 v22, v68 :: v_dual_mov_b32 v23, v69
	v_dual_mov_b32 v22, v52 :: v_dual_mov_b32 v23, v53
	v_dual_mov_b32 v26, v72 :: v_dual_mov_b32 v21, v67
	v_dual_mov_b32 v24, v70 :: v_dual_mov_b32 v25, v71
	v_dual_mov_b32 v24, v54 :: v_dual_mov_b32 v27, v73
	v_dual_mov_b32 v30, v76 :: v_dual_mov_b32 v29, v75
	v_dual_mov_b32 v32, v78 :: v_dual_mov_b32 v31, v77
	v_dual_mov_b32 v30, v44 :: v_dual_mov_b32 v33, v79
	v_dual_mov_b32 v32, v46 :: v_dual_mov_b32 v19, v65
	v_dual_mov_b32 v20, v66 :: v_dual_mov_b32 v25, v55
	v_dual_mov_b32 v28, v74 :: v_dual_mov_b32 v31, v45
	v_mov_b32_e32 v33, v47
	v_mov_b32_e32 v17, v34
	;; [unrolled: 1-line block ×4, first 2 shown]
.LBB59_35:
	s_or_b32 exec_lo, exec_lo, s2
	v_mov_b32_e32 v12, v5
	s_mov_b32 s2, exec_lo
	v_cmpx_lt_f32_e32 v17, v5
	s_cbranch_execz .LBB59_37
; %bb.36:
	v_mov_b32_e32 v12, v52
	v_dual_mov_b32 v4, v5 :: v_dual_mov_b32 v59, v44
	v_mov_b32_e32 v5, v17
	v_dual_mov_b32 v25, v16 :: v_dual_mov_b32 v24, v15
	v_dual_mov_b32 v26, v56 :: v_dual_mov_b32 v27, v57
	;; [unrolled: 1-line block ×19, first 2 shown]
	v_mov_b32_e32 v12, v17
	v_mov_b32_e32 v44, v43
	v_dual_mov_b32 v52, v51 :: v_dual_mov_b32 v77, v61
	v_mov_b32_e32 v76, v60
.LBB59_37:
	s_or_b32 exec_lo, exec_lo, s2
	v_mov_b32_e32 v9, v6
	s_mov_b32 s2, exec_lo
	v_cmpx_lt_f32_e32 v12, v6
	s_cbranch_execz .LBB59_39
; %bb.38:
	v_dual_mov_b32 v68, v53 :: v_dual_mov_b32 v69, v52
	v_dual_mov_b32 v70, v54 :: v_dual_mov_b32 v77, v44
	;; [unrolled: 1-line block ×13, first 2 shown]
	v_mov_b32_e32 v9, v12
.LBB59_39:
	s_or_b32 exec_lo, exec_lo, s2
	s_delay_alu instid0(VALU_DEP_1)
	v_cmp_lt_f32_e32 vcc_lo, v9, v7
	v_mov_b32_e32 v11, v3
	v_mov_b32_e32 v13, v5
	s_mov_b32 s2, exec_lo
	v_dual_mov_b32 v10, v2 :: v_dual_cndmask_b32 v17, v32, v31
	v_dual_cndmask_b32 v31, v31, v32 :: v_dual_cndmask_b32 v66, v24, v23
	v_dual_cndmask_b32 v23, v23, v24 :: v_dual_cndmask_b32 v14, v6, v7
	v_dual_cndmask_b32 v15, v7, v9 :: v_dual_mov_b32 v12, v4
	v_dual_mov_b32 v9, v1 :: v_dual_mov_b32 v16, v8
	v_cmpx_lt_f32_e32 v1, v2
	s_cbranch_execz .LBB59_41
; %bb.40:
	s_delay_alu instid0(VALU_DEP_2) | instskip(NEXT) | instid1(VALU_DEP_3)
	v_dual_mov_b32 v2, v10 :: v_dual_mov_b32 v3, v9
	v_dual_mov_b32 v8, v15 :: v_dual_mov_b32 v9, v16
	;; [unrolled: 1-line block ×4, first 2 shown]
	s_delay_alu instid0(VALU_DEP_3) | instskip(NEXT) | instid1(VALU_DEP_4)
	v_mov_b32_e32 v16, v9
	v_dual_mov_b32 v24, v26 :: v_dual_mov_b32 v15, v8
	s_delay_alu instid0(VALU_DEP_4)
	v_dual_mov_b32 v32, v18 :: v_dual_mov_b32 v11, v4
	v_swap_b32 v26, v27
	v_swap_b32 v18, v19
	v_dual_mov_b32 v14, v7 :: v_dual_mov_b32 v13, v6
	v_mov_b32_e32 v12, v5
	v_dual_mov_b32 v10, v3 :: v_dual_mov_b32 v9, v2
	v_mov_b32_e32 v2, v1
.LBB59_41:
	s_or_b32 exec_lo, exec_lo, s2
	v_mov_b32_e32 v24, v66
	v_mov_b32_e32 v32, v17
	;; [unrolled: 1-line block ×4, first 2 shown]
	s_delay_alu instid0(VALU_DEP_4)
	v_dual_mov_b32 v41, v33 :: v_dual_mov_b32 v48, v24
	v_dual_mov_b32 v34, v26 :: v_dual_mov_b32 v65, v33
	;; [unrolled: 1-line block ×15, first 2 shown]
	v_mov_b32_e32 v50, v18
	s_mov_b32 s2, exec_lo
	v_cmpx_lt_f32_e32 v2, v11
	s_cbranch_execz .LBB59_43
; %bb.42:
	v_dual_mov_b32 v57, v25 :: v_dual_mov_b32 v56, v24
	v_dual_mov_b32 v53, v21 :: v_dual_mov_b32 v52, v20
	;; [unrolled: 1-line block ×7, first 2 shown]
	s_delay_alu instid0(VALU_DEP_4)
	v_dual_mov_b32 v42, v50 :: v_dual_mov_b32 v43, v51
	v_dual_mov_b32 v63, v31 :: v_dual_mov_b32 v62, v30
	;; [unrolled: 1-line block ×18, first 2 shown]
	v_mov_b32_e32 v1, v2
.LBB59_43:
	s_or_b32 exec_lo, exec_lo, s2
	v_mov_b32_e32 v2, v12
	s_mov_b32 s2, exec_lo
	s_delay_alu instid0(VALU_DEP_2)
	v_cmpx_lt_f32_e32 v1, v12
	s_cbranch_execz .LBB59_45
; %bb.44:
	v_dual_mov_b32 v52, v21 :: v_dual_mov_b32 v11, v12
	v_mov_b32_e32 v60, v29
	v_dual_mov_b32 v42, v50 :: v_dual_mov_b32 v45, v53
	v_dual_mov_b32 v47, v55 :: v_dual_mov_b32 v34, v58
	s_delay_alu instid0(VALU_DEP_4)
	v_dual_mov_b32 v37, v61 :: v_dual_mov_b32 v44, v52
	v_dual_mov_b32 v49, v57 :: v_dual_mov_b32 v46, v54
	v_mov_b32_e32 v45, v20
	v_dual_mov_b32 v48, v56 :: v_dual_mov_b32 v47, v23
	v_dual_mov_b32 v36, v60 :: v_dual_mov_b32 v39, v63
	;; [unrolled: 1-line block ×9, first 2 shown]
	v_mov_b32_e32 v41, v33
	v_dual_mov_b32 v2, v1 :: v_dual_mov_b32 v21, v20
.LBB59_45:
	s_or_b32 exec_lo, exec_lo, s2
	v_mov_b32_e32 v1, v13
	s_mov_b32 s2, exec_lo
	s_delay_alu instid0(VALU_DEP_2)
	v_cmpx_lt_f32_e32 v2, v13
	s_cbranch_execz .LBB59_47
; %bb.46:
	v_dual_mov_b32 v53, v22 :: v_dual_mov_b32 v54, v21
	v_dual_mov_b32 v55, v23 :: v_dual_mov_b32 v56, v66
	;; [unrolled: 1-line block ×4, first 2 shown]
	v_mov_b32_e32 v57, v25
	v_dual_mov_b32 v65, v33 :: v_dual_mov_b32 v42, v50
	v_mov_b32_e32 v34, v58
	v_dual_mov_b32 v12, v13 :: v_dual_mov_b32 v13, v2
	v_dual_mov_b32 v35, v59 :: v_dual_mov_b32 v36, v60
	;; [unrolled: 1-line block ×7, first 2 shown]
	v_mov_b32_e32 v47, v55
	v_mov_b32_e32 v49, v57
	;; [unrolled: 1-line block ×3, first 2 shown]
.LBB59_47:
	s_or_b32 exec_lo, exec_lo, s2
	s_delay_alu instid0(VALU_DEP_1)
	v_cmp_lt_f32_e32 vcc_lo, v1, v14
	v_dual_mov_b32 v20, v10 :: v_dual_mov_b32 v25, v15
	v_mov_b32_e32 v22, v12
	v_dual_mov_b32 v26, v16 :: v_dual_cndmask_b32 v27, v39, v38
	v_cndmask_b32_e32 v38, v38, v39, vcc_lo
	v_dual_cndmask_b32 v28, v47, v46 :: v_dual_mov_b32 v19, v9
	v_dual_cndmask_b32 v46, v46, v47 :: v_dual_cndmask_b32 v23, v13, v14
	v_dual_cndmask_b32 v24, v14, v1 :: v_dual_mov_b32 v21, v11
	s_mov_b32 s2, exec_lo
	v_cmpx_lt_f32_e32 v9, v10
	s_cbranch_execz .LBB59_49
; %bb.48:
	v_dual_mov_b32 v7, v25 :: v_dual_mov_b32 v8, v26
	v_dual_mov_b32 v1, v20 :: v_dual_mov_b32 v2, v19
	;; [unrolled: 1-line block ×4, first 2 shown]
	s_delay_alu instid0(VALU_DEP_4)
	v_dual_mov_b32 v11, v34 :: v_dual_mov_b32 v26, v8
	v_dual_mov_b32 v12, v42 :: v_dual_mov_b32 v25, v7
	v_swap_b32 v34, v35
	v_swap_b32 v42, v43
	v_dual_mov_b32 v24, v6 :: v_dual_mov_b32 v23, v5
	v_dual_mov_b32 v22, v4 :: v_dual_mov_b32 v21, v3
	;; [unrolled: 1-line block ×3, first 2 shown]
	v_mov_b32_e32 v10, v9
.LBB59_49:
	s_or_b32 exec_lo, exec_lo, s2
	v_mov_b32_e32 v47, v28
	v_mov_b32_e32 v39, v27
	v_dual_mov_b32 v1, v42 :: v_dual_mov_b32 v4, v45
	v_dual_mov_b32 v11, v34 :: v_dual_mov_b32 v14, v37
	;; [unrolled: 1-line block ×3, first 2 shown]
	s_delay_alu instid0(VALU_DEP_4)
	v_dual_mov_b32 v16, v39 :: v_dual_mov_b32 v15, v38
	v_dual_mov_b32 v18, v41 :: v_dual_mov_b32 v17, v40
	;; [unrolled: 1-line block ×5, first 2 shown]
	v_mov_b32_e32 v9, v21
	s_mov_b32 s2, exec_lo
	v_cmpx_lt_f32_e32 v10, v21
	s_cbranch_execz .LBB59_51
; %bb.50:
	v_dual_mov_b32 v1, v42 :: v_dual_mov_b32 v2, v43
	v_dual_mov_b32 v5, v46 :: v_dual_mov_b32 v6, v47
	;; [unrolled: 1-line block ×16, first 2 shown]
	v_mov_b32_e32 v18, v41
	v_mov_b32_e32 v36, v35
	;; [unrolled: 1-line block ×3, first 2 shown]
.LBB59_51:
	s_or_b32 exec_lo, exec_lo, s2
	v_mov_b32_e32 v29, v22
	s_mov_b32 s2, exec_lo
	v_cmpx_lt_f32_e32 v9, v22
; %bb.52:
	v_dual_mov_b32 v21, v22 :: v_dual_mov_b32 v22, v9
	v_dual_mov_b32 v3, v45 :: v_dual_mov_b32 v4, v44
	;; [unrolled: 1-line block ×7, first 2 shown]
	v_mov_b32_e32 v29, v9
; %bb.53:
	s_or_b32 exec_lo, exec_lo, s2
	s_delay_alu instid0(VALU_DEP_1)
	v_cmp_lt_f32_e32 vcc_lo, v29, v23
	v_dual_mov_b32 v28, v20 :: v_dual_mov_b32 v33, v25
	v_mov_b32_e32 v32, v24
	v_dual_mov_b32 v34, v26 :: v_dual_cndmask_b32 v9, v15, v14
	v_cndmask_b32_e32 v14, v14, v15, vcc_lo
	v_dual_cndmask_b32 v10, v5, v4 :: v_dual_cndmask_b32 v31, v23, v29
	v_dual_cndmask_b32 v4, v4, v5 :: v_dual_mov_b32 v27, v19
	v_dual_cndmask_b32 v30, v22, v23 :: v_dual_mov_b32 v29, v21
	s_mov_b32 s2, exec_lo
	v_cmpx_lt_f32_e32 v19, v20
	s_cbranch_execz .LBB59_55
; %bb.54:
	v_dual_mov_b32 v20, v28 :: v_dual_mov_b32 v21, v27
	v_dual_mov_b32 v26, v33 :: v_dual_mov_b32 v27, v34
	v_dual_mov_b32 v22, v29 :: v_dual_mov_b32 v23, v30
	v_dual_mov_b32 v24, v31 :: v_dual_mov_b32 v25, v32
	s_delay_alu instid0(VALU_DEP_3) | instskip(SKIP_2) | instid1(VALU_DEP_4)
	v_dual_mov_b32 v15, v1 :: v_dual_mov_b32 v34, v27
	v_mov_b32_e32 v5, v11
	v_swap_b32 v11, v12
	v_mov_b32_e32 v32, v25
	v_swap_b32 v1, v2
	v_dual_mov_b32 v33, v26 :: v_dual_mov_b32 v30, v23
	v_dual_mov_b32 v31, v24 :: v_dual_mov_b32 v28, v21
	v_mov_b32_e32 v29, v22
	v_dual_mov_b32 v27, v20 :: v_dual_mov_b32 v20, v19
.LBB59_55:
	s_or_b32 exec_lo, exec_lo, s2
	v_mov_b32_e32 v5, v10
	v_mov_b32_e32 v15, v9
	v_mov_b32_e32 v19, v29
	s_mov_b32 s2, exec_lo
	v_cmpx_lt_f32_e32 v20, v29
	s_cbranch_execz .LBB59_57
; %bb.56:
	v_dual_mov_b32 v50, v18 :: v_dual_mov_b32 v49, v17
	v_dual_mov_b32 v42, v8 :: v_dual_mov_b32 v41, v7
	;; [unrolled: 1-line block ×14, first 2 shown]
	v_mov_b32_e32 v50, v18
	v_dual_mov_b32 v28, v29 :: v_dual_mov_b32 v29, v20
	v_dual_mov_b32 v42, v8 :: v_dual_mov_b32 v11, v43
	;; [unrolled: 1-line block ×10, first 2 shown]
.LBB59_57:
	s_or_b32 exec_lo, exec_lo, s2
	s_delay_alu instid0(VALU_DEP_1) | instskip(NEXT) | instid1(VALU_DEP_3)
	v_cmp_lt_f32_e32 vcc_lo, v19, v30
	v_dual_mov_b32 v20, v5 :: v_dual_mov_b32 v21, v6
	s_delay_alu instid0(VALU_DEP_3)
	v_dual_mov_b32 v22, v7 :: v_dual_mov_b32 v23, v8
	v_dual_cndmask_b32 v9, v14, v13 :: v_dual_cndmask_b32 v10, v4, v3
	v_dual_cndmask_b32 v35, v13, v14 :: v_dual_cndmask_b32 v36, v3, v4
	;; [unrolled: 1-line block ×3, first 2 shown]
	v_dual_mov_b32 v4, v15 :: v_dual_mov_b32 v13, v16
	v_dual_mov_b32 v14, v17 :: v_dual_mov_b32 v19, v18
	;; [unrolled: 1-line block ×4, first 2 shown]
	v_mov_b32_e32 v29, v34
	s_mov_b32 s2, exec_lo
	v_cmpx_lt_f32_e32 v27, v28
	s_cbranch_execz .LBB59_59
; %bb.58:
	v_dual_mov_b32 v24, v28 :: v_dual_mov_b32 v19, v18
	v_dual_mov_b32 v4, v11 :: v_dual_mov_b32 v13, v16
	;; [unrolled: 1-line block ×3, first 2 shown]
	v_swap_b32 v11, v12
	v_swap_b32 v1, v2
	v_dual_mov_b32 v28, v27 :: v_dual_mov_b32 v21, v6
	v_dual_mov_b32 v4, v15 :: v_dual_mov_b32 v23, v8
	;; [unrolled: 1-line block ×5, first 2 shown]
	v_mov_b32_e32 v24, v31
	v_mov_b32_e32 v26, v33
.LBB59_59:
	s_or_b32 exec_lo, exec_lo, s2
	s_clause 0x1
	s_load_b32 s8, s[0:1], 0x28
	s_load_b128 s[4:7], s[0:1], 0x10
	v_mov_b32_e32 v6, 0
	s_waitcnt lgkmcnt(0)
	s_cmp_lt_i32 s8, 1
	s_cbranch_scc1 .LBB59_65
; %bb.60:
	v_cmp_lt_f32_e32 vcc_lo, v28, v30
	s_mov_b32 s9, 0x76543210
	s_mov_b32 s10, s8
	v_dual_mov_b32 v7, 0 :: v_dual_mov_b32 v6, 0
	v_cndmask_b32_e32 v18, v37, v30, vcc_lo
	v_dual_cndmask_b32 v5, v36, v2 :: v_dual_cndmask_b32 v2, v2, v36
	v_cndmask_b32_e32 v8, v30, v28, vcc_lo
	v_dual_cndmask_b32 v15, v35, v12 :: v_dual_cndmask_b32 v28, v12, v35
	s_delay_alu instid0(VALU_DEP_4) | instskip(NEXT) | instid1(VALU_DEP_1)
	v_cmp_lt_f32_e64 s2, v27, v18
	v_cndmask_b32_e64 v12, v2, v1, s2
	v_cndmask_b32_e64 v16, v1, v2, s2
	;; [unrolled: 1-line block ×6, first 2 shown]
	v_dual_mov_b32 v28, v0 :: v_dual_mov_b32 v1, 0
	v_mov_b32_e32 v2, 0
.LBB59_61:                              ; =>This Inner Loop Header: Depth=1
	v_cmp_eq_u32_e32 vcc_lo, 1, v7
	v_cmp_eq_u32_e64 s2, 2, v7
	v_dual_cndmask_b32 v30, v18, v17 :: v_dual_cndmask_b32 v31, v16, v12
	v_cndmask_b32_e32 v32, v11, v27, vcc_lo
	v_cmp_eq_u32_e32 vcc_lo, 3, v7
	s_delay_alu instid0(VALU_DEP_3) | instskip(NEXT) | instid1(VALU_DEP_4)
	v_cndmask_b32_e64 v30, v30, v8, s2
	v_cndmask_b32_e64 v31, v31, v5, s2
	s_delay_alu instid0(VALU_DEP_4) | instskip(SKIP_1) | instid1(VALU_DEP_3)
	v_cndmask_b32_e64 v32, v32, v15, s2
	v_cmp_eq_u32_e64 s2, 4, v7
	v_dual_cndmask_b32 v30, v30, v3 :: v_dual_cndmask_b32 v31, v31, v10
	s_delay_alu instid0(VALU_DEP_3) | instskip(SKIP_1) | instid1(VALU_DEP_3)
	v_cndmask_b32_e32 v32, v32, v9, vcc_lo
	v_cmp_eq_u32_e32 vcc_lo, 5, v7
	v_cndmask_b32_e64 v30, v30, v24, s2
	s_delay_alu instid0(VALU_DEP_4) | instskip(NEXT) | instid1(VALU_DEP_4)
	v_cndmask_b32_e64 v31, v31, v20, s2
	v_cndmask_b32_e64 v32, v32, v4, s2
	v_cmp_eq_u32_e64 s2, 6, v7
	s_delay_alu instid0(VALU_DEP_4) | instskip(NEXT) | instid1(VALU_DEP_4)
	v_cndmask_b32_e32 v30, v30, v25, vcc_lo
	v_cndmask_b32_e32 v31, v31, v21, vcc_lo
	s_delay_alu instid0(VALU_DEP_4) | instskip(SKIP_1) | instid1(VALU_DEP_4)
	v_cndmask_b32_e32 v32, v32, v13, vcc_lo
	v_cmp_eq_u32_e32 vcc_lo, 7, v7
	v_cndmask_b32_e64 v30, v30, v26, s2
	s_delay_alu instid0(VALU_DEP_4) | instskip(NEXT) | instid1(VALU_DEP_4)
	v_cndmask_b32_e64 v31, v31, v22, s2
	v_cndmask_b32_e64 v32, v32, v14, s2
	v_cmp_gt_u32_e64 s2, 8, v7
	s_delay_alu instid0(VALU_DEP_3) | instskip(NEXT) | instid1(VALU_DEP_1)
	v_dual_cndmask_b32 v30, v30, v29 :: v_dual_cndmask_b32 v31, v31, v23
	v_cndmask_b32_e64 v30, 0xff800000, v30, s2
	;;#ASMSTART
	v_max_f32 v34, v30, v30 quad_perm:[1,0,3,2] row_mask:0xf bank_mask:0xf bound_ctrl:1
	;;#ASMEND
	;;#ASMSTART
	v_max_f32 v35, v34, v34 quad_perm:[2,3,0,1] row_mask:0xf bank_mask:0xf bound_ctrl:1
	;;#ASMEND
	;;#ASMSTART
	v_max_f32 v34, v35, v35 row_half_mirror row_mask:0xf bank_mask:0xf bound_ctrl:1
	;;#ASMEND
	;;#ASMSTART
	v_max_f32 v35, v34, v34 row_mirror row_mask:0xf bank_mask:0xf bound_ctrl:1
	;;#ASMEND
	v_permlanex16_b32 v34, v35, s9, 0xfedcba98 op_sel:[1,1]
	v_max_f32_e32 v35, v35, v35
	v_cndmask_b32_e64 v33, 0, v31, s2
	s_delay_alu instid0(VALU_DEP_3) | instskip(NEXT) | instid1(VALU_DEP_1)
	v_max_f32_e32 v34, v34, v34
	v_max_f32_e32 v34, v35, v34
	s_delay_alu instid0(VALU_DEP_1) | instskip(SKIP_1) | instid1(VALU_DEP_2)
	v_cmp_eq_f32_e64 s3, v30, v34
	v_cndmask_b32_e32 v30, v32, v19, vcc_lo
	s_ctz_i32_b32 s11, s3
	s_cmp_lg_u32 s3, 0
	s_cselect_b32 s3, s11, 0
	s_add_i32 s10, s10, -1
	v_readlane_b32 s3, v33, s3
	s_delay_alu instid0(VALU_DEP_1)
	v_cmp_eq_u32_e32 vcc_lo, s3, v31
	s_and_b32 vcc_lo, s2, vcc_lo
	s_and_b32 s2, s3, 31
	v_cndmask_b32_e32 v30, 0, v30, vcc_lo
	v_add_co_ci_u32_e32 v7, vcc_lo, 0, v7, vcc_lo
	s_cmp_eq_u32 s10, 0
	s_delay_alu instid0(VALU_DEP_2) | instskip(SKIP_2) | instid1(VALU_DEP_3)
	v_readlane_b32 s11, v30, s2
	v_cmp_eq_u32_e64 s2, 0, v28
	v_add_nc_u32_e32 v28, -1, v28
	v_add_f32_e32 v6, s11, v6
	s_delay_alu instid0(VALU_DEP_3)
	v_cndmask_b32_e64 v2, v2, s11, s2
	v_cndmask_b32_e64 v1, v1, s3, s2
	s_cbranch_scc0 .LBB59_61
; %bb.62:
	s_mov_b32 s2, exec_lo
	v_cmpx_gt_i32_e64 s8, v0
	s_cbranch_execz .LBB59_64
.LBB59_63:
	s_load_b32 s2, s[0:1], 0x30
	v_max_f32_e32 v0, v6, v6
	s_load_b64 s[0:1], s[0:1], 0x20
	s_ashr_i32 s3, s15, 31
	s_delay_alu instid0(VALU_DEP_1) | instskip(SKIP_1) | instid1(VALU_DEP_1)
	v_max_f32_e32 v0, 0x1e3ce508, v0
	s_waitcnt lgkmcnt(0)
	v_div_scale_f32 v3, null, v0, v0, s2
	v_div_scale_f32 v6, vcc_lo, s2, v0, s2
	s_mul_i32 s1, s15, s1
	s_delay_alu instid0(VALU_DEP_2)
	v_rcp_f32_e32 v4, v3
	s_mul_hi_u32 s8, s15, s0
	s_mul_i32 s3, s3, s0
	s_add_i32 s1, s8, s1
	s_mul_i32 s0, s15, s0
	s_add_i32 s1, s1, s3
	s_delay_alu instid0(SALU_CYCLE_1) | instskip(SKIP_2) | instid1(VALU_DEP_1)
	s_lshl_b64 s[0:1], s[0:1], 2
	s_waitcnt_depctr 0xfff
	v_fma_f32 v5, -v3, v4, 1.0
	v_fmac_f32_e32 v4, v5, v4
	s_delay_alu instid0(VALU_DEP_1) | instskip(NEXT) | instid1(VALU_DEP_1)
	v_mul_f32_e32 v5, v6, v4
	v_fma_f32 v7, -v3, v5, v6
	s_delay_alu instid0(VALU_DEP_1) | instskip(NEXT) | instid1(VALU_DEP_1)
	v_fmac_f32_e32 v5, v7, v4
	v_fma_f32 v3, -v3, v5, v6
	s_delay_alu instid0(VALU_DEP_1) | instskip(NEXT) | instid1(VALU_DEP_1)
	v_div_fmas_f32 v3, v3, v4, v5
	v_div_fixup_f32 v0, v3, v0, s2
	s_add_u32 s2, s4, s0
	s_addc_u32 s3, s5, s1
	s_add_u32 s0, s6, s0
	s_addc_u32 s1, s7, s1
	v_mul_f32_e32 v0, v2, v0
	s_clause 0x1
	global_store_b32 v96, v0, s[2:3]
	global_store_b32 v96, v1, s[0:1]
.LBB59_64:
	s_nop 0
	s_sendmsg sendmsg(MSG_DEALLOC_VGPRS)
	s_endpgm
.LBB59_65:
	v_dual_mov_b32 v1, 0 :: v_dual_mov_b32 v2, 0
	s_mov_b32 s2, exec_lo
	v_cmpx_gt_i32_e64 s8, v0
	s_cbranch_execnz .LBB59_63
	s_branch .LBB59_64
	.section	.rodata,"a",@progbits
	.p2align	6, 0x0
	.amdhsa_kernel _ZN5aiter24topk_softplus_kernel_optIf6__halfLi256ELb1ELi0EEEvPKT_PKT0_PfPimiif
		.amdhsa_group_segment_fixed_size 0
		.amdhsa_private_segment_fixed_size 0
		.amdhsa_kernarg_size 52
		.amdhsa_user_sgpr_count 15
		.amdhsa_user_sgpr_dispatch_ptr 0
		.amdhsa_user_sgpr_queue_ptr 0
		.amdhsa_user_sgpr_kernarg_segment_ptr 1
		.amdhsa_user_sgpr_dispatch_id 0
		.amdhsa_user_sgpr_private_segment_size 0
		.amdhsa_wavefront_size32 1
		.amdhsa_uses_dynamic_stack 0
		.amdhsa_enable_private_segment 0
		.amdhsa_system_sgpr_workgroup_id_x 1
		.amdhsa_system_sgpr_workgroup_id_y 0
		.amdhsa_system_sgpr_workgroup_id_z 0
		.amdhsa_system_sgpr_workgroup_info 0
		.amdhsa_system_vgpr_workitem_id 0
		.amdhsa_next_free_vgpr 97
		.amdhsa_next_free_sgpr 16
		.amdhsa_reserve_vcc 1
		.amdhsa_float_round_mode_32 0
		.amdhsa_float_round_mode_16_64 0
		.amdhsa_float_denorm_mode_32 3
		.amdhsa_float_denorm_mode_16_64 3
		.amdhsa_dx10_clamp 1
		.amdhsa_ieee_mode 1
		.amdhsa_fp16_overflow 0
		.amdhsa_workgroup_processor_mode 1
		.amdhsa_memory_ordered 1
		.amdhsa_forward_progress 0
		.amdhsa_shared_vgpr_count 0
		.amdhsa_exception_fp_ieee_invalid_op 0
		.amdhsa_exception_fp_denorm_src 0
		.amdhsa_exception_fp_ieee_div_zero 0
		.amdhsa_exception_fp_ieee_overflow 0
		.amdhsa_exception_fp_ieee_underflow 0
		.amdhsa_exception_fp_ieee_inexact 0
		.amdhsa_exception_int_div_zero 0
	.end_amdhsa_kernel
	.section	.text._ZN5aiter24topk_softplus_kernel_optIf6__halfLi256ELb1ELi0EEEvPKT_PKT0_PfPimiif,"axG",@progbits,_ZN5aiter24topk_softplus_kernel_optIf6__halfLi256ELb1ELi0EEEvPKT_PKT0_PfPimiif,comdat
.Lfunc_end59:
	.size	_ZN5aiter24topk_softplus_kernel_optIf6__halfLi256ELb1ELi0EEEvPKT_PKT0_PfPimiif, .Lfunc_end59-_ZN5aiter24topk_softplus_kernel_optIf6__halfLi256ELb1ELi0EEEvPKT_PKT0_PfPimiif
                                        ; -- End function
	.section	.AMDGPU.csdata,"",@progbits
; Kernel info:
; codeLenInByte = 8580
; NumSgprs: 18
; NumVgprs: 97
; ScratchSize: 0
; MemoryBound: 0
; FloatMode: 240
; IeeeMode: 1
; LDSByteSize: 0 bytes/workgroup (compile time only)
; SGPRBlocks: 2
; VGPRBlocks: 12
; NumSGPRsForWavesPerEU: 18
; NumVGPRsForWavesPerEU: 97
; Occupancy: 12
; WaveLimiterHint : 0
; COMPUTE_PGM_RSRC2:SCRATCH_EN: 0
; COMPUTE_PGM_RSRC2:USER_SGPR: 15
; COMPUTE_PGM_RSRC2:TRAP_HANDLER: 0
; COMPUTE_PGM_RSRC2:TGID_X_EN: 1
; COMPUTE_PGM_RSRC2:TGID_Y_EN: 0
; COMPUTE_PGM_RSRC2:TGID_Z_EN: 0
; COMPUTE_PGM_RSRC2:TIDIG_COMP_CNT: 0
	.section	.text._ZN5aiter24topk_softplus_kernel_optIf6__halfLi256ELb0ELi0EEEvPKT_PKT0_PfPimiif,"axG",@progbits,_ZN5aiter24topk_softplus_kernel_optIf6__halfLi256ELb0ELi0EEEvPKT_PKT0_PfPimiif,comdat
	.protected	_ZN5aiter24topk_softplus_kernel_optIf6__halfLi256ELb0ELi0EEEvPKT_PKT0_PfPimiif ; -- Begin function _ZN5aiter24topk_softplus_kernel_optIf6__halfLi256ELb0ELi0EEEvPKT_PKT0_PfPimiif
	.globl	_ZN5aiter24topk_softplus_kernel_optIf6__halfLi256ELb0ELi0EEEvPKT_PKT0_PfPimiif
	.p2align	8
	.type	_ZN5aiter24topk_softplus_kernel_optIf6__halfLi256ELb0ELi0EEEvPKT_PKT0_PfPimiif,@function
_ZN5aiter24topk_softplus_kernel_optIf6__halfLi256ELb0ELi0EEEvPKT_PKT0_PfPimiif: ; @_ZN5aiter24topk_softplus_kernel_optIf6__halfLi256ELb0ELi0EEEvPKT_PKT0_PfPimiif
; %bb.0:
	s_load_b128 s[4:7], s[0:1], 0x0
	s_lshl_b32 s2, s15, 8
	v_lshlrev_b32_e32 v96, 2, v0
	s_ashr_i32 s3, s2, 31
	s_delay_alu instid0(SALU_CYCLE_1)
	s_lshl_b64 s[2:3], s[2:3], 2
	s_waitcnt lgkmcnt(0)
	s_add_u32 s4, s4, s2
	s_addc_u32 s5, s5, s3
	s_cmp_lg_u64 s[6:7], 0
	global_load_b32 v1, v96, s[4:5]
	s_cselect_b32 s3, -1, 0
	s_waitcnt vmcnt(0)
	v_mul_f32_e32 v2, 0x3fb8aa3b, v1
	s_delay_alu instid0(VALU_DEP_1) | instskip(SKIP_2) | instid1(VALU_DEP_2)
	v_cmp_gt_f32_e32 vcc_lo, 0xc2fc0000, v2
	v_cndmask_b32_e64 v2, 0, 0x42800000, vcc_lo
	v_cndmask_b32_e64 v3, 1.0, 0x1f800000, vcc_lo
	v_fmac_f32_e32 v2, 0x3fb8aa3b, v1
	s_delay_alu instid0(VALU_DEP_1) | instskip(SKIP_2) | instid1(VALU_DEP_1)
	v_exp_f32_e32 v2, v2
	s_waitcnt_depctr 0xfff
	v_fma_f32 v2, v2, v3, 1.0
	v_cmp_gt_f32_e32 vcc_lo, 0x800000, v2
	v_cndmask_b32_e64 v3, 1.0, 0x4f800000, vcc_lo
	s_delay_alu instid0(VALU_DEP_1) | instskip(SKIP_2) | instid1(VALU_DEP_3)
	v_mul_f32_e32 v2, v2, v3
	v_cndmask_b32_e64 v3, 0, 0x42000000, vcc_lo
	v_cmp_lt_f32_e32 vcc_lo, 0x41a00000, v1
	v_log_f32_e32 v2, v2
	s_waitcnt_depctr 0xfff
	v_sub_f32_e32 v2, v2, v3
	s_delay_alu instid0(VALU_DEP_1) | instskip(NEXT) | instid1(VALU_DEP_1)
	v_mul_f32_e32 v2, 0x3f317218, v2
	v_cndmask_b32_e32 v1, v2, v1, vcc_lo
	s_delay_alu instid0(VALU_DEP_1) | instskip(SKIP_1) | instid1(VALU_DEP_2)
	v_mul_f32_e32 v2, 0x4f800000, v1
	v_cmp_gt_f32_e32 vcc_lo, 0xf800000, v1
	v_cndmask_b32_e32 v1, v1, v2, vcc_lo
	s_delay_alu instid0(VALU_DEP_1) | instskip(SKIP_3) | instid1(VALU_DEP_2)
	v_sqrt_f32_e32 v2, v1
	s_waitcnt_depctr 0xfff
	v_add_nc_u32_e32 v3, -1, v2
	v_add_nc_u32_e32 v4, 1, v2
	v_fma_f32 v5, -v3, v2, v1
	s_delay_alu instid0(VALU_DEP_2) | instskip(NEXT) | instid1(VALU_DEP_2)
	v_fma_f32 v6, -v4, v2, v1
	v_cmp_ge_f32_e64 s2, 0, v5
	s_delay_alu instid0(VALU_DEP_1) | instskip(NEXT) | instid1(VALU_DEP_3)
	v_cndmask_b32_e64 v2, v2, v3, s2
	v_cmp_lt_f32_e64 s2, 0, v6
	s_delay_alu instid0(VALU_DEP_1) | instskip(NEXT) | instid1(VALU_DEP_1)
	v_cndmask_b32_e64 v2, v2, v4, s2
	v_mul_f32_e32 v3, 0x37800000, v2
	s_delay_alu instid0(VALU_DEP_1) | instskip(SKIP_1) | instid1(VALU_DEP_2)
	v_cndmask_b32_e32 v2, v2, v3, vcc_lo
	v_cmp_class_f32_e64 vcc_lo, v1, 0x260
	v_dual_cndmask_b32 v56, v2, v1 :: v_dual_lshlrev_b32 v3, 1, v0
	v_add_co_u32 v1, s2, s4, v96
	s_delay_alu instid0(VALU_DEP_1) | instskip(NEXT) | instid1(VALU_DEP_3)
	v_add_co_ci_u32_e64 v2, null, s5, 0, s2
	v_mov_b32_e32 v24, v56
	s_and_b32 vcc_lo, exec_lo, s3
	s_cbranch_vccz .LBB60_2
; %bb.1:
	global_load_u16 v4, v3, s[6:7]
	s_waitcnt vmcnt(0)
	v_cvt_f32_f16_e32 v4, v4
	s_delay_alu instid0(VALU_DEP_1)
	v_add_f32_e32 v24, v56, v4
.LBB60_2:
	global_load_b32 v4, v[1:2], off offset:128
	s_waitcnt vmcnt(0)
	v_mul_f32_e32 v5, 0x3fb8aa3b, v4
	s_delay_alu instid0(VALU_DEP_1) | instskip(SKIP_2) | instid1(VALU_DEP_2)
	v_cmp_gt_f32_e32 vcc_lo, 0xc2fc0000, v5
	v_cndmask_b32_e64 v6, 0, 0x42800000, vcc_lo
	v_cndmask_b32_e64 v5, 1.0, 0x1f800000, vcc_lo
	v_fmac_f32_e32 v6, 0x3fb8aa3b, v4
	s_delay_alu instid0(VALU_DEP_1) | instskip(SKIP_2) | instid1(VALU_DEP_1)
	v_exp_f32_e32 v6, v6
	s_waitcnt_depctr 0xfff
	v_fma_f32 v5, v6, v5, 1.0
	v_cmp_gt_f32_e32 vcc_lo, 0x800000, v5
	v_cndmask_b32_e64 v6, 1.0, 0x4f800000, vcc_lo
	s_delay_alu instid0(VALU_DEP_1) | instskip(SKIP_2) | instid1(VALU_DEP_3)
	v_mul_f32_e32 v5, v5, v6
	v_cndmask_b32_e64 v6, 0, 0x42000000, vcc_lo
	v_cmp_lt_f32_e32 vcc_lo, 0x41a00000, v4
	v_log_f32_e32 v5, v5
	s_waitcnt_depctr 0xfff
	v_sub_f32_e32 v5, v5, v6
	s_delay_alu instid0(VALU_DEP_1) | instskip(NEXT) | instid1(VALU_DEP_1)
	v_mul_f32_e32 v5, 0x3f317218, v5
	v_cndmask_b32_e32 v4, v5, v4, vcc_lo
	s_delay_alu instid0(VALU_DEP_1) | instskip(SKIP_1) | instid1(VALU_DEP_2)
	v_mul_f32_e32 v5, 0x4f800000, v4
	v_cmp_gt_f32_e32 vcc_lo, 0xf800000, v4
	v_cndmask_b32_e32 v5, v4, v5, vcc_lo
	s_delay_alu instid0(VALU_DEP_1) | instskip(SKIP_3) | instid1(VALU_DEP_2)
	v_sqrt_f32_e32 v4, v5
	s_waitcnt_depctr 0xfff
	v_add_nc_u32_e32 v6, -1, v4
	v_add_nc_u32_e32 v7, 1, v4
	v_fma_f32 v8, -v6, v4, v5
	s_delay_alu instid0(VALU_DEP_2) | instskip(NEXT) | instid1(VALU_DEP_2)
	v_fma_f32 v9, -v7, v4, v5
	v_cmp_ge_f32_e64 s2, 0, v8
	s_delay_alu instid0(VALU_DEP_1) | instskip(NEXT) | instid1(VALU_DEP_3)
	v_cndmask_b32_e64 v4, v4, v6, s2
	v_cmp_lt_f32_e64 s2, 0, v9
	s_delay_alu instid0(VALU_DEP_1) | instskip(NEXT) | instid1(VALU_DEP_1)
	v_cndmask_b32_e64 v4, v4, v7, s2
	v_mul_f32_e32 v6, 0x37800000, v4
	s_delay_alu instid0(VALU_DEP_1) | instskip(SKIP_2) | instid1(VALU_DEP_3)
	v_cndmask_b32_e32 v6, v4, v6, vcc_lo
	v_cmp_class_f32_e64 vcc_lo, v5, 0x260
	v_cndmask_b32_e64 v4, 0, 1, s3
	v_cndmask_b32_e32 v9, v6, v5, vcc_lo
	s_and_not1_b32 vcc_lo, exec_lo, s3
	s_delay_alu instid0(VALU_DEP_1)
	v_mov_b32_e32 v25, v9
	s_cbranch_vccnz .LBB60_4
; %bb.3:
	global_load_u16 v5, v3, s[6:7] offset:64
	s_waitcnt vmcnt(0)
	v_cvt_f32_f16_e32 v5, v5
	s_delay_alu instid0(VALU_DEP_1)
	v_add_f32_e32 v25, v9, v5
.LBB60_4:
	global_load_b32 v5, v[1:2], off offset:256
	s_waitcnt vmcnt(0)
	v_mul_f32_e32 v6, 0x3fb8aa3b, v5
	s_delay_alu instid0(VALU_DEP_1) | instskip(SKIP_2) | instid1(VALU_DEP_2)
	v_cmp_gt_f32_e32 vcc_lo, 0xc2fc0000, v6
	v_cndmask_b32_e64 v7, 0, 0x42800000, vcc_lo
	v_cndmask_b32_e64 v6, 1.0, 0x1f800000, vcc_lo
	v_fmac_f32_e32 v7, 0x3fb8aa3b, v5
	s_delay_alu instid0(VALU_DEP_1) | instskip(SKIP_2) | instid1(VALU_DEP_1)
	v_exp_f32_e32 v7, v7
	s_waitcnt_depctr 0xfff
	v_fma_f32 v6, v7, v6, 1.0
	v_cmp_gt_f32_e32 vcc_lo, 0x800000, v6
	v_cndmask_b32_e64 v7, 1.0, 0x4f800000, vcc_lo
	s_delay_alu instid0(VALU_DEP_1) | instskip(SKIP_2) | instid1(VALU_DEP_3)
	v_mul_f32_e32 v6, v6, v7
	v_cndmask_b32_e64 v7, 0, 0x42000000, vcc_lo
	v_cmp_lt_f32_e32 vcc_lo, 0x41a00000, v5
	v_log_f32_e32 v6, v6
	s_waitcnt_depctr 0xfff
	v_sub_f32_e32 v6, v6, v7
	s_delay_alu instid0(VALU_DEP_1) | instskip(NEXT) | instid1(VALU_DEP_1)
	v_mul_f32_e32 v6, 0x3f317218, v6
	v_cndmask_b32_e32 v5, v6, v5, vcc_lo
	s_delay_alu instid0(VALU_DEP_1) | instskip(SKIP_1) | instid1(VALU_DEP_2)
	v_mul_f32_e32 v6, 0x4f800000, v5
	v_cmp_gt_f32_e32 vcc_lo, 0xf800000, v5
	v_cndmask_b32_e32 v5, v5, v6, vcc_lo
	s_delay_alu instid0(VALU_DEP_1) | instskip(SKIP_3) | instid1(VALU_DEP_2)
	v_sqrt_f32_e32 v6, v5
	s_waitcnt_depctr 0xfff
	v_add_nc_u32_e32 v7, -1, v6
	v_add_nc_u32_e32 v8, 1, v6
	v_fma_f32 v10, -v7, v6, v5
	s_delay_alu instid0(VALU_DEP_2) | instskip(NEXT) | instid1(VALU_DEP_2)
	v_fma_f32 v11, -v8, v6, v5
	v_cmp_ge_f32_e64 s2, 0, v10
	s_delay_alu instid0(VALU_DEP_1) | instskip(NEXT) | instid1(VALU_DEP_3)
	v_cndmask_b32_e64 v6, v6, v7, s2
	v_cmp_lt_f32_e64 s2, 0, v11
	s_delay_alu instid0(VALU_DEP_1) | instskip(NEXT) | instid1(VALU_DEP_1)
	v_cndmask_b32_e64 v6, v6, v8, s2
	v_mul_f32_e32 v7, 0x37800000, v6
	s_delay_alu instid0(VALU_DEP_1) | instskip(SKIP_1) | instid1(VALU_DEP_2)
	v_cndmask_b32_e32 v6, v6, v7, vcc_lo
	v_cmp_class_f32_e64 vcc_lo, v5, 0x260
	v_cndmask_b32_e32 v10, v6, v5, vcc_lo
	v_cmp_ne_u32_e32 vcc_lo, 1, v4
	s_delay_alu instid0(VALU_DEP_2)
	v_mov_b32_e32 v26, v10
	s_cbranch_vccnz .LBB60_6
; %bb.5:
	global_load_u16 v5, v3, s[6:7] offset:128
	s_waitcnt vmcnt(0)
	v_cvt_f32_f16_e32 v5, v5
	s_delay_alu instid0(VALU_DEP_1)
	v_add_f32_e32 v26, v10, v5
.LBB60_6:
	global_load_b32 v5, v[1:2], off offset:384
	s_waitcnt vmcnt(0)
	v_mul_f32_e32 v6, 0x3fb8aa3b, v5
	s_delay_alu instid0(VALU_DEP_1) | instskip(SKIP_2) | instid1(VALU_DEP_2)
	v_cmp_gt_f32_e32 vcc_lo, 0xc2fc0000, v6
	v_cndmask_b32_e64 v7, 0, 0x42800000, vcc_lo
	v_cndmask_b32_e64 v6, 1.0, 0x1f800000, vcc_lo
	v_fmac_f32_e32 v7, 0x3fb8aa3b, v5
	s_delay_alu instid0(VALU_DEP_1) | instskip(SKIP_2) | instid1(VALU_DEP_1)
	v_exp_f32_e32 v7, v7
	s_waitcnt_depctr 0xfff
	v_fma_f32 v6, v7, v6, 1.0
	v_cmp_gt_f32_e32 vcc_lo, 0x800000, v6
	v_cndmask_b32_e64 v7, 1.0, 0x4f800000, vcc_lo
	s_delay_alu instid0(VALU_DEP_1) | instskip(SKIP_2) | instid1(VALU_DEP_3)
	v_mul_f32_e32 v6, v6, v7
	v_cndmask_b32_e64 v7, 0, 0x42000000, vcc_lo
	v_cmp_lt_f32_e32 vcc_lo, 0x41a00000, v5
	v_log_f32_e32 v6, v6
	s_waitcnt_depctr 0xfff
	v_sub_f32_e32 v6, v6, v7
	s_delay_alu instid0(VALU_DEP_1) | instskip(NEXT) | instid1(VALU_DEP_1)
	v_mul_f32_e32 v6, 0x3f317218, v6
	v_cndmask_b32_e32 v5, v6, v5, vcc_lo
	s_delay_alu instid0(VALU_DEP_1) | instskip(SKIP_1) | instid1(VALU_DEP_2)
	v_mul_f32_e32 v6, 0x4f800000, v5
	v_cmp_gt_f32_e32 vcc_lo, 0xf800000, v5
	v_cndmask_b32_e32 v5, v5, v6, vcc_lo
	s_delay_alu instid0(VALU_DEP_1) | instskip(SKIP_3) | instid1(VALU_DEP_2)
	v_sqrt_f32_e32 v6, v5
	s_waitcnt_depctr 0xfff
	v_add_nc_u32_e32 v7, -1, v6
	v_add_nc_u32_e32 v8, 1, v6
	v_fma_f32 v11, -v7, v6, v5
	s_delay_alu instid0(VALU_DEP_2) | instskip(NEXT) | instid1(VALU_DEP_2)
	v_fma_f32 v12, -v8, v6, v5
	v_cmp_ge_f32_e64 s2, 0, v11
	s_delay_alu instid0(VALU_DEP_1) | instskip(NEXT) | instid1(VALU_DEP_3)
	v_cndmask_b32_e64 v6, v6, v7, s2
	v_cmp_lt_f32_e64 s2, 0, v12
	s_delay_alu instid0(VALU_DEP_1) | instskip(NEXT) | instid1(VALU_DEP_1)
	v_cndmask_b32_e64 v6, v6, v8, s2
	v_mul_f32_e32 v7, 0x37800000, v6
	s_delay_alu instid0(VALU_DEP_1) | instskip(SKIP_1) | instid1(VALU_DEP_2)
	v_cndmask_b32_e32 v6, v6, v7, vcc_lo
	v_cmp_class_f32_e64 vcc_lo, v5, 0x260
	v_cndmask_b32_e32 v11, v6, v5, vcc_lo
	v_cmp_ne_u32_e32 vcc_lo, 1, v4
	s_delay_alu instid0(VALU_DEP_2)
	;; [unrolled: 58-line block ×5, first 2 shown]
	v_mov_b32_e32 v30, v14
	s_cbranch_vccnz .LBB60_14
; %bb.13:
	global_load_u16 v5, v3, s[6:7] offset:384
	s_waitcnt vmcnt(0)
	v_cvt_f32_f16_e32 v5, v5
	s_delay_alu instid0(VALU_DEP_1)
	v_add_f32_e32 v30, v14, v5
.LBB60_14:
	global_load_b32 v1, v[1:2], off offset:896
	s_waitcnt vmcnt(0)
	v_mul_f32_e32 v2, 0x3fb8aa3b, v1
	s_delay_alu instid0(VALU_DEP_1) | instskip(SKIP_2) | instid1(VALU_DEP_2)
	v_cmp_gt_f32_e32 vcc_lo, 0xc2fc0000, v2
	v_cndmask_b32_e64 v5, 0, 0x42800000, vcc_lo
	v_cndmask_b32_e64 v2, 1.0, 0x1f800000, vcc_lo
	v_fmac_f32_e32 v5, 0x3fb8aa3b, v1
	s_delay_alu instid0(VALU_DEP_1) | instskip(SKIP_2) | instid1(VALU_DEP_1)
	v_exp_f32_e32 v5, v5
	s_waitcnt_depctr 0xfff
	v_fma_f32 v2, v5, v2, 1.0
	v_cmp_gt_f32_e32 vcc_lo, 0x800000, v2
	v_cndmask_b32_e64 v5, 1.0, 0x4f800000, vcc_lo
	s_delay_alu instid0(VALU_DEP_1) | instskip(SKIP_2) | instid1(VALU_DEP_3)
	v_mul_f32_e32 v2, v2, v5
	v_cndmask_b32_e64 v5, 0, 0x42000000, vcc_lo
	v_cmp_lt_f32_e32 vcc_lo, 0x41a00000, v1
	v_log_f32_e32 v2, v2
	s_waitcnt_depctr 0xfff
	v_sub_f32_e32 v2, v2, v5
	s_delay_alu instid0(VALU_DEP_1) | instskip(NEXT) | instid1(VALU_DEP_1)
	v_mul_f32_e32 v2, 0x3f317218, v2
	v_cndmask_b32_e32 v1, v2, v1, vcc_lo
	s_delay_alu instid0(VALU_DEP_1) | instskip(SKIP_1) | instid1(VALU_DEP_2)
	v_mul_f32_e32 v2, 0x4f800000, v1
	v_cmp_gt_f32_e32 vcc_lo, 0xf800000, v1
	v_cndmask_b32_e32 v1, v1, v2, vcc_lo
	s_delay_alu instid0(VALU_DEP_1) | instskip(SKIP_3) | instid1(VALU_DEP_2)
	v_sqrt_f32_e32 v2, v1
	s_waitcnt_depctr 0xfff
	v_add_nc_u32_e32 v5, -1, v2
	v_add_nc_u32_e32 v6, 1, v2
	v_fma_f32 v7, -v5, v2, v1
	s_delay_alu instid0(VALU_DEP_2) | instskip(NEXT) | instid1(VALU_DEP_2)
	v_fma_f32 v8, -v6, v2, v1
	v_cmp_ge_f32_e64 s2, 0, v7
	s_delay_alu instid0(VALU_DEP_1) | instskip(NEXT) | instid1(VALU_DEP_3)
	v_cndmask_b32_e64 v2, v2, v5, s2
	v_cmp_lt_f32_e64 s2, 0, v8
	s_delay_alu instid0(VALU_DEP_1) | instskip(NEXT) | instid1(VALU_DEP_1)
	v_cndmask_b32_e64 v2, v2, v6, s2
	v_mul_f32_e32 v5, 0x37800000, v2
	s_delay_alu instid0(VALU_DEP_1) | instskip(SKIP_1) | instid1(VALU_DEP_2)
	v_cndmask_b32_e32 v2, v2, v5, vcc_lo
	v_cmp_class_f32_e64 vcc_lo, v1, 0x260
	v_cndmask_b32_e32 v15, v2, v1, vcc_lo
	v_cmp_ne_u32_e32 vcc_lo, 1, v4
	s_cbranch_vccnz .LBB60_16
; %bb.15:
	global_load_u16 v1, v3, s[6:7] offset:448
	s_waitcnt vmcnt(0)
	v_cvt_f32_f16_e32 v1, v1
	s_delay_alu instid0(VALU_DEP_1)
	v_add_f32_e32 v31, v15, v1
	s_branch .LBB60_17
.LBB60_16:
	s_delay_alu instid0(VALU_DEP_2)
	v_mov_b32_e32 v31, v15
.LBB60_17:
	v_add_nc_u32_e32 v7, 0xe0, v0
	v_dual_mov_b32 v16, v24 :: v_dual_add_nc_u32 v1, 32, v0
	v_dual_mov_b32 v17, v25 :: v_dual_add_nc_u32 v2, 64, v0
	;; [unrolled: 1-line block ×6, first 2 shown]
	v_dual_mov_b32 v22, v30 :: v_dual_mov_b32 v39, v7
	s_delay_alu instid0(VALU_DEP_2)
	v_dual_mov_b32 v47, v7 :: v_dual_mov_b32 v46, v6
	v_dual_mov_b32 v71, v7 :: v_dual_mov_b32 v70, v6
	;; [unrolled: 1-line block ×16, first 2 shown]
	v_mov_b32_e32 v8, v56
	s_mov_b32 s2, exec_lo
	v_cmpx_lt_f32_e32 v24, v25
	s_xor_b32 s2, exec_lo, s2
	s_cbranch_execz .LBB60_19
; %bb.18:
	v_dual_mov_b32 v38, v6 :: v_dual_mov_b32 v39, v7
	v_dual_mov_b32 v32, v1 :: v_dual_mov_b32 v33, v0
	;; [unrolled: 1-line block ×4, first 2 shown]
	s_delay_alu instid0(VALU_DEP_4)
	v_dual_mov_b32 v47, v39 :: v_dual_mov_b32 v46, v38
	v_dual_mov_b32 v71, v39 :: v_dual_mov_b32 v70, v38
	;; [unrolled: 1-line block ×17, first 2 shown]
	v_mov_b32_e32 v9, v56
	v_mov_b32_e32 v1, v0
.LBB60_19:
	s_or_b32 exec_lo, exec_lo, s2
	v_dual_mov_b32 v63, v15 :: v_dual_mov_b32 v62, v14
	v_dual_mov_b32 v79, v15 :: v_dual_mov_b32 v78, v14
	;; [unrolled: 1-line block ×16, first 2 shown]
	v_mov_b32_e32 v24, v18
	s_mov_b32 s2, exec_lo
	v_cmpx_lt_f32_e32 v25, v18
	s_cbranch_execz .LBB60_21
; %bb.20:
	v_dual_mov_b32 v55, v39 :: v_dual_mov_b32 v54, v38
	v_dual_mov_b32 v51, v35 :: v_dual_mov_b32 v50, v34
	;; [unrolled: 1-line block ×16, first 2 shown]
	v_mov_b32_e32 v83, v11
	v_dual_mov_b32 v85, v93 :: v_dual_mov_b32 v86, v94
	v_dual_mov_b32 v87, v95 :: v_dual_mov_b32 v40, v64
	;; [unrolled: 1-line block ×3, first 2 shown]
	v_mov_b32_e32 v42, v66
	v_dual_mov_b32 v17, v18 :: v_dual_mov_b32 v72, v80
	v_dual_mov_b32 v41, v65 :: v_dual_mov_b32 v44, v68
	;; [unrolled: 1-line block ×10, first 2 shown]
	s_delay_alu instid0(VALU_DEP_2)
	v_dual_mov_b32 v56, v72 :: v_dual_mov_b32 v57, v73
	v_dual_mov_b32 v36, v44 :: v_dual_mov_b32 v37, v45
	;; [unrolled: 1-line block ×11, first 2 shown]
	v_mov_b32_e32 v2, v1
.LBB60_21:
	s_or_b32 exec_lo, exec_lo, s2
	v_mov_b32_e32 v1, v19
	s_mov_b32 s2, exec_lo
	v_cmpx_lt_f32_e32 v24, v19
	s_cbranch_execz .LBB60_23
; %bb.22:
	v_mov_b32_e32 v90, v11
	v_mov_b32_e32 v50, v3
	v_dual_mov_b32 v80, v88 :: v_dual_mov_b32 v81, v89
	v_dual_mov_b32 v71, v55 :: v_dual_mov_b32 v70, v54
	;; [unrolled: 1-line block ×3, first 2 shown]
	s_delay_alu instid0(VALU_DEP_4)
	v_dual_mov_b32 v83, v91 :: v_dual_mov_b32 v66, v50
	v_dual_mov_b32 v65, v49 :: v_dual_mov_b32 v68, v52
	;; [unrolled: 1-line block ×3, first 2 shown]
	v_mov_b32_e32 v67, v2
	v_dual_mov_b32 v82, v90 :: v_dual_mov_b32 v87, v95
	v_dual_mov_b32 v85, v93 :: v_dual_mov_b32 v86, v94
	;; [unrolled: 1-line block ×11, first 2 shown]
	v_mov_b32_e32 v44, v4
	v_dual_mov_b32 v56, v72 :: v_dual_mov_b32 v57, v73
	v_dual_mov_b32 v32, v40 :: v_dual_mov_b32 v35, v43
	;; [unrolled: 1-line block ×3, first 2 shown]
	s_delay_alu instid0(VALU_DEP_4)
	v_dual_mov_b32 v37, v45 :: v_dual_mov_b32 v36, v44
	v_dual_mov_b32 v39, v47 :: v_dual_mov_b32 v38, v46
	;; [unrolled: 1-line block ×3, first 2 shown]
	v_mov_b32_e32 v63, v79
	v_dual_mov_b32 v61, v77 :: v_dual_mov_b32 v62, v78
	v_mov_b32_e32 v39, v7
	v_dual_mov_b32 v18, v19 :: v_dual_mov_b32 v19, v24
	v_dual_mov_b32 v60, v76 :: v_dual_mov_b32 v37, v5
	;; [unrolled: 1-line block ×4, first 2 shown]
	v_mov_b32_e32 v1, v24
	v_mov_b32_e32 v11, v10
	;; [unrolled: 1-line block ×3, first 2 shown]
.LBB60_23:
	s_or_b32 exec_lo, exec_lo, s2
	v_mov_b32_e32 v2, v20
	s_mov_b32 s2, exec_lo
	v_cmpx_lt_f32_e32 v1, v20
	s_cbranch_execz .LBB60_25
; %bb.24:
	v_mov_b32_e32 v91, v12
	v_mov_b32_e32 v51, v4
	;; [unrolled: 1-line block ×4, first 2 shown]
	v_dual_mov_b32 v40, v48 :: v_dual_mov_b32 v41, v49
	v_dual_mov_b32 v42, v50 :: v_dual_mov_b32 v47, v55
	;; [unrolled: 1-line block ×4, first 2 shown]
	v_mov_b32_e32 v44, v3
	v_dual_mov_b32 v76, v11 :: v_dual_mov_b32 v19, v20
	v_dual_mov_b32 v45, v53 :: v_dual_mov_b32 v46, v54
	;; [unrolled: 1-line block ×4, first 2 shown]
	v_mov_b32_e32 v73, v89
	v_mov_b32_e32 v56, v72
	v_dual_mov_b32 v32, v40 :: v_dual_mov_b32 v33, v41
	v_dual_mov_b32 v60, v76 :: v_dual_mov_b32 v61, v77
	;; [unrolled: 1-line block ×9, first 2 shown]
	v_mov_b32_e32 v59, v75
	v_dual_mov_b32 v37, v5 :: v_dual_mov_b32 v38, v6
	v_dual_mov_b32 v39, v7 :: v_dual_mov_b32 v62, v14
	;; [unrolled: 1-line block ×10, first 2 shown]
	v_mov_b32_e32 v4, v3
.LBB60_25:
	s_or_b32 exec_lo, exec_lo, s2
	v_mov_b32_e32 v1, v21
	s_mov_b32 s2, exec_lo
	v_cmpx_lt_f32_e32 v2, v21
	s_cbranch_execz .LBB60_27
; %bb.26:
	v_mov_b32_e32 v68, v5
	v_dual_mov_b32 v20, v21 :: v_dual_mov_b32 v21, v2
	v_mov_b32_e32 v84, v13
	v_dual_mov_b32 v32, v64 :: v_dual_mov_b32 v33, v65
	v_dual_mov_b32 v39, v71 :: v_dual_mov_b32 v56, v80
	;; [unrolled: 1-line block ×7, first 2 shown]
	v_mov_b32_e32 v61, v12
	v_dual_mov_b32 v72, v80 :: v_dual_mov_b32 v73, v81
	v_dual_mov_b32 v40, v64 :: v_dual_mov_b32 v41, v65
	;; [unrolled: 1-line block ×9, first 2 shown]
	v_mov_b32_e32 v45, v69
	v_mov_b32_e32 v1, v2
	;; [unrolled: 1-line block ×3, first 2 shown]
	v_dual_mov_b32 v5, v4 :: v_dual_mov_b32 v78, v86
	v_dual_mov_b32 v79, v87 :: v_dual_mov_b32 v46, v70
	v_mov_b32_e32 v47, v71
.LBB60_27:
	s_or_b32 exec_lo, exec_lo, s2
	v_mov_b32_e32 v2, v22
	s_mov_b32 s2, exec_lo
	v_cmpx_lt_f32_e32 v1, v22
	s_cbranch_execz .LBB60_29
; %bb.28:
	v_dual_mov_b32 v77, v14 :: v_dual_mov_b32 v78, v13
	v_dual_mov_b32 v45, v6 :: v_dual_mov_b32 v46, v5
	v_mov_b32_e32 v79, v15
	v_dual_mov_b32 v21, v22 :: v_dual_mov_b32 v22, v1
	v_dual_mov_b32 v47, v7 :: v_dual_mov_b32 v56, v72
	v_dual_mov_b32 v61, v77 :: v_dual_mov_b32 v32, v40
	v_dual_mov_b32 v57, v73 :: v_dual_mov_b32 v58, v74
	v_dual_mov_b32 v59, v75 :: v_dual_mov_b32 v62, v78
	v_dual_mov_b32 v60, v76 :: v_dual_mov_b32 v63, v79
	v_dual_mov_b32 v34, v42 :: v_dual_mov_b32 v33, v41
	v_dual_mov_b32 v36, v44 :: v_dual_mov_b32 v35, v43
	v_dual_mov_b32 v38, v46 :: v_dual_mov_b32 v37, v45
	v_dual_mov_b32 v39, v47 :: v_dual_mov_b32 v2, v1
.LBB60_29:
	s_or_b32 exec_lo, exec_lo, s2
	s_delay_alu instid0(VALU_DEP_1)
	v_cmp_lt_f32_e32 vcc_lo, v2, v23
	v_mov_b32_e32 v43, v59
	v_cmp_lt_f32_e64 s2, v16, v17
	v_dual_mov_b32 v41, v57 :: v_dual_mov_b32 v42, v58
	v_dual_cndmask_b32 v9, v23, v2 :: v_dual_mov_b32 v44, v60
	v_dual_cndmask_b32 v22, v22, v23 :: v_dual_cndmask_b32 v47, v63, v62
	s_delay_alu instid0(VALU_DEP_2)
	v_dual_mov_b32 v40, v56 :: v_dual_mov_b32 v23, v9
	v_dual_cndmask_b32 v46, v62, v63 :: v_dual_mov_b32 v1, v16
	v_dual_mov_b32 v4, v19 :: v_dual_mov_b32 v45, v61
	v_dual_cndmask_b32 v54, v38, v39 :: v_dual_cndmask_b32 v55, v39, v38
	v_dual_mov_b32 v2, v17 :: v_dual_mov_b32 v3, v18
	v_dual_mov_b32 v6, v21 :: v_dual_mov_b32 v5, v20
	;; [unrolled: 1-line block ×6, first 2 shown]
	s_and_saveexec_b32 s3, s2
	s_delay_alu instid0(SALU_CYCLE_1)
	s_xor_b32 s2, exec_lo, s3
	s_cbranch_execz .LBB60_31
; %bb.30:
	v_dual_mov_b32 v2, v17 :: v_dual_mov_b32 v3, v16
	v_dual_mov_b32 v4, v18 :: v_dual_mov_b32 v5, v19
	;; [unrolled: 1-line block ×4, first 2 shown]
	s_delay_alu instid0(VALU_DEP_4)
	v_dual_mov_b32 v1, v2 :: v_dual_mov_b32 v40, v57
	v_dual_mov_b32 v2, v3 :: v_dual_mov_b32 v41, v56
	v_dual_mov_b32 v3, v4 :: v_dual_mov_b32 v42, v58
	v_dual_mov_b32 v4, v5 :: v_dual_mov_b32 v43, v59
	v_dual_mov_b32 v5, v6 :: v_dual_mov_b32 v44, v60
	v_dual_mov_b32 v6, v7 :: v_dual_mov_b32 v45, v61
	v_dual_mov_b32 v7, v8 :: v_dual_mov_b32 v48, v33
	v_dual_mov_b32 v8, v9 :: v_dual_mov_b32 v49, v32
	v_dual_mov_b32 v50, v34 :: v_dual_mov_b32 v51, v35
	v_dual_mov_b32 v52, v36 :: v_dual_mov_b32 v53, v37
.LBB60_31:
	s_or_b32 exec_lo, exec_lo, s2
	v_dual_mov_b32 v26, v40 :: v_dual_mov_b32 v27, v41
	v_dual_mov_b32 v79, v47 :: v_dual_mov_b32 v78, v46
	;; [unrolled: 1-line block ×22, first 2 shown]
	v_mov_b32_e32 v34, v3
	s_mov_b32 s2, exec_lo
	v_dual_mov_b32 v77, v45 :: v_dual_mov_b32 v76, v44
	v_dual_mov_b32 v69, v53 :: v_dual_mov_b32 v68, v52
	v_cmpx_lt_f32_e32 v17, v3
	s_cbranch_execz .LBB60_33
; %bb.32:
	v_dual_mov_b32 v9, v48 :: v_dual_mov_b32 v10, v49
	v_dual_mov_b32 v15, v54 :: v_dual_mov_b32 v16, v55
	v_mov_b32_e32 v10, v50
	v_dual_mov_b32 v11, v50 :: v_dual_mov_b32 v12, v51
	v_dual_mov_b32 v13, v52 :: v_dual_mov_b32 v14, v53
	;; [unrolled: 1-line block ×3, first 2 shown]
	v_mov_b32_e32 v11, v49
	v_dual_mov_b32 v59, v43 :: v_dual_mov_b32 v58, v42
	v_dual_mov_b32 v57, v41 :: v_dual_mov_b32 v56, v40
	v_dual_mov_b32 v61, v45 :: v_dual_mov_b32 v60, v44
	v_dual_mov_b32 v57, v42 :: v_dual_mov_b32 v58, v41
	v_dual_mov_b32 v71, v16 :: v_dual_mov_b32 v70, v15
	v_dual_mov_b32 v65, v10 :: v_dual_mov_b32 v64, v9
	v_dual_mov_b32 v69, v14 :: v_dual_mov_b32 v68, v13
	v_dual_mov_b32 v79, v63 :: v_dual_mov_b32 v76, v60
	v_dual_mov_b32 v67, v12 :: v_dual_mov_b32 v66, v11
	v_dual_mov_b32 v75, v59 :: v_dual_mov_b32 v72, v56
	v_dual_mov_b32 v67, v51 :: v_dual_mov_b32 v78, v62
	v_dual_mov_b32 v77, v61 :: v_dual_mov_b32 v74, v58
	v_dual_mov_b32 v73, v57 :: v_dual_mov_b32 v18, v64
	v_dual_mov_b32 v75, v43 :: v_dual_mov_b32 v20, v66
	v_mov_b32_e32 v23, v69
	v_dual_mov_b32 v23, v53 :: v_dual_mov_b32 v26, v72
	v_dual_mov_b32 v19, v65 :: v_dual_mov_b32 v22, v68
	;; [unrolled: 1-line block ×12, first 2 shown]
	v_mov_b32_e32 v42, v41
	v_mov_b32_e32 v50, v49
.LBB60_33:
	s_or_b32 exec_lo, exec_lo, s2
	v_mov_b32_e32 v17, v4
	s_mov_b32 s2, exec_lo
	v_cmpx_lt_f32_e32 v34, v4
	s_cbranch_execz .LBB60_35
; %bb.34:
	v_mov_b32_e32 v11, v51
	v_dual_mov_b32 v3, v4 :: v_dual_mov_b32 v4, v34
	v_dual_mov_b32 v58, v43 :: v_dual_mov_b32 v71, v16
	v_mov_b32_e32 v64, v9
	v_dual_mov_b32 v70, v15 :: v_dual_mov_b32 v69, v14
	v_dual_mov_b32 v79, v63 :: v_dual_mov_b32 v76, v60
	;; [unrolled: 1-line block ×5, first 2 shown]
	v_mov_b32_e32 v67, v50
	v_dual_mov_b32 v78, v62 :: v_dual_mov_b32 v77, v61
	v_dual_mov_b32 v74, v58 :: v_dual_mov_b32 v73, v57
	;; [unrolled: 1-line block ×14, first 2 shown]
	v_mov_b32_e32 v33, v47
	v_mov_b32_e32 v17, v34
	;; [unrolled: 1-line block ×4, first 2 shown]
.LBB60_35:
	s_or_b32 exec_lo, exec_lo, s2
	v_mov_b32_e32 v12, v5
	s_mov_b32 s2, exec_lo
	v_cmpx_lt_f32_e32 v17, v5
	s_cbranch_execz .LBB60_37
; %bb.36:
	v_mov_b32_e32 v12, v52
	v_dual_mov_b32 v4, v5 :: v_dual_mov_b32 v59, v44
	v_mov_b32_e32 v5, v17
	v_dual_mov_b32 v25, v16 :: v_dual_mov_b32 v24, v15
	v_dual_mov_b32 v26, v56 :: v_dual_mov_b32 v27, v57
	;; [unrolled: 1-line block ×19, first 2 shown]
	v_mov_b32_e32 v12, v17
	v_mov_b32_e32 v44, v43
	v_dual_mov_b32 v52, v51 :: v_dual_mov_b32 v77, v61
	v_mov_b32_e32 v76, v60
.LBB60_37:
	s_or_b32 exec_lo, exec_lo, s2
	v_mov_b32_e32 v9, v6
	s_mov_b32 s2, exec_lo
	v_cmpx_lt_f32_e32 v12, v6
	s_cbranch_execz .LBB60_39
; %bb.38:
	v_dual_mov_b32 v68, v53 :: v_dual_mov_b32 v69, v52
	v_dual_mov_b32 v70, v54 :: v_dual_mov_b32 v77, v44
	v_dual_mov_b32 v76, v45 :: v_dual_mov_b32 v79, v47
	v_dual_mov_b32 v78, v46 :: v_dual_mov_b32 v71, v55
	v_dual_mov_b32 v26, v72 :: v_dual_mov_b32 v27, v73
	v_dual_mov_b32 v18, v64 :: v_dual_mov_b32 v19, v65
	v_dual_mov_b32 v5, v6 :: v_dual_mov_b32 v6, v12
	v_dual_mov_b32 v28, v74 :: v_dual_mov_b32 v29, v75
	v_dual_mov_b32 v30, v76 :: v_dual_mov_b32 v31, v77
	v_dual_mov_b32 v32, v78 :: v_dual_mov_b32 v33, v79
	v_dual_mov_b32 v20, v66 :: v_dual_mov_b32 v21, v67
	v_dual_mov_b32 v22, v68 :: v_dual_mov_b32 v23, v69
	v_dual_mov_b32 v24, v70 :: v_dual_mov_b32 v25, v71
	v_mov_b32_e32 v9, v12
.LBB60_39:
	s_or_b32 exec_lo, exec_lo, s2
	s_delay_alu instid0(VALU_DEP_1)
	v_cmp_lt_f32_e32 vcc_lo, v9, v7
	v_mov_b32_e32 v11, v3
	v_mov_b32_e32 v13, v5
	s_mov_b32 s2, exec_lo
	v_dual_mov_b32 v10, v2 :: v_dual_cndmask_b32 v17, v32, v31
	v_dual_cndmask_b32 v31, v31, v32 :: v_dual_cndmask_b32 v66, v24, v23
	v_dual_cndmask_b32 v23, v23, v24 :: v_dual_cndmask_b32 v14, v6, v7
	v_dual_cndmask_b32 v15, v7, v9 :: v_dual_mov_b32 v12, v4
	v_dual_mov_b32 v9, v1 :: v_dual_mov_b32 v16, v8
	v_cmpx_lt_f32_e32 v1, v2
	s_cbranch_execz .LBB60_41
; %bb.40:
	s_delay_alu instid0(VALU_DEP_2) | instskip(NEXT) | instid1(VALU_DEP_3)
	v_dual_mov_b32 v2, v10 :: v_dual_mov_b32 v3, v9
	v_dual_mov_b32 v8, v15 :: v_dual_mov_b32 v9, v16
	v_dual_mov_b32 v4, v11 :: v_dual_mov_b32 v5, v12
	v_dual_mov_b32 v6, v13 :: v_dual_mov_b32 v7, v14
	s_delay_alu instid0(VALU_DEP_3) | instskip(NEXT) | instid1(VALU_DEP_4)
	v_mov_b32_e32 v16, v9
	v_dual_mov_b32 v24, v26 :: v_dual_mov_b32 v15, v8
	s_delay_alu instid0(VALU_DEP_4)
	v_dual_mov_b32 v32, v18 :: v_dual_mov_b32 v11, v4
	v_swap_b32 v26, v27
	v_swap_b32 v18, v19
	v_dual_mov_b32 v14, v7 :: v_dual_mov_b32 v13, v6
	v_mov_b32_e32 v12, v5
	v_dual_mov_b32 v10, v3 :: v_dual_mov_b32 v9, v2
	v_mov_b32_e32 v2, v1
.LBB60_41:
	s_or_b32 exec_lo, exec_lo, s2
	v_mov_b32_e32 v24, v66
	v_mov_b32_e32 v32, v17
	;; [unrolled: 1-line block ×4, first 2 shown]
	s_delay_alu instid0(VALU_DEP_4)
	v_dual_mov_b32 v41, v33 :: v_dual_mov_b32 v48, v24
	v_dual_mov_b32 v34, v26 :: v_dual_mov_b32 v65, v33
	;; [unrolled: 1-line block ×15, first 2 shown]
	v_mov_b32_e32 v50, v18
	s_mov_b32 s2, exec_lo
	v_cmpx_lt_f32_e32 v2, v11
	s_cbranch_execz .LBB60_43
; %bb.42:
	v_dual_mov_b32 v57, v25 :: v_dual_mov_b32 v56, v24
	v_dual_mov_b32 v53, v21 :: v_dual_mov_b32 v52, v20
	;; [unrolled: 1-line block ×7, first 2 shown]
	s_delay_alu instid0(VALU_DEP_4)
	v_dual_mov_b32 v42, v50 :: v_dual_mov_b32 v43, v51
	v_dual_mov_b32 v63, v31 :: v_dual_mov_b32 v62, v30
	;; [unrolled: 1-line block ×18, first 2 shown]
	v_mov_b32_e32 v1, v2
.LBB60_43:
	s_or_b32 exec_lo, exec_lo, s2
	v_mov_b32_e32 v2, v12
	s_mov_b32 s2, exec_lo
	s_delay_alu instid0(VALU_DEP_2)
	v_cmpx_lt_f32_e32 v1, v12
	s_cbranch_execz .LBB60_45
; %bb.44:
	v_dual_mov_b32 v52, v21 :: v_dual_mov_b32 v11, v12
	v_mov_b32_e32 v60, v29
	v_dual_mov_b32 v42, v50 :: v_dual_mov_b32 v45, v53
	v_dual_mov_b32 v47, v55 :: v_dual_mov_b32 v34, v58
	s_delay_alu instid0(VALU_DEP_4)
	v_dual_mov_b32 v37, v61 :: v_dual_mov_b32 v44, v52
	v_dual_mov_b32 v49, v57 :: v_dual_mov_b32 v46, v54
	v_mov_b32_e32 v45, v20
	v_dual_mov_b32 v48, v56 :: v_dual_mov_b32 v47, v23
	v_dual_mov_b32 v36, v60 :: v_dual_mov_b32 v39, v63
	;; [unrolled: 1-line block ×9, first 2 shown]
	v_mov_b32_e32 v41, v33
	v_dual_mov_b32 v2, v1 :: v_dual_mov_b32 v21, v20
.LBB60_45:
	s_or_b32 exec_lo, exec_lo, s2
	v_mov_b32_e32 v1, v13
	s_mov_b32 s2, exec_lo
	s_delay_alu instid0(VALU_DEP_2)
	v_cmpx_lt_f32_e32 v2, v13
	s_cbranch_execz .LBB60_47
; %bb.46:
	v_dual_mov_b32 v53, v22 :: v_dual_mov_b32 v54, v21
	v_dual_mov_b32 v55, v23 :: v_dual_mov_b32 v56, v66
	;; [unrolled: 1-line block ×4, first 2 shown]
	v_mov_b32_e32 v57, v25
	v_dual_mov_b32 v65, v33 :: v_dual_mov_b32 v42, v50
	v_mov_b32_e32 v34, v58
	v_dual_mov_b32 v12, v13 :: v_dual_mov_b32 v13, v2
	v_dual_mov_b32 v35, v59 :: v_dual_mov_b32 v36, v60
	v_dual_mov_b32 v37, v61 :: v_dual_mov_b32 v38, v62
	v_dual_mov_b32 v39, v63 :: v_dual_mov_b32 v40, v64
	v_dual_mov_b32 v41, v65 :: v_dual_mov_b32 v44, v52
	v_dual_mov_b32 v43, v51 :: v_dual_mov_b32 v46, v54
	v_dual_mov_b32 v45, v53 :: v_dual_mov_b32 v48, v56
	v_mov_b32_e32 v47, v55
	v_mov_b32_e32 v49, v57
	;; [unrolled: 1-line block ×3, first 2 shown]
.LBB60_47:
	s_or_b32 exec_lo, exec_lo, s2
	s_delay_alu instid0(VALU_DEP_1)
	v_cmp_lt_f32_e32 vcc_lo, v1, v14
	v_dual_mov_b32 v20, v10 :: v_dual_mov_b32 v25, v15
	v_mov_b32_e32 v22, v12
	v_dual_mov_b32 v26, v16 :: v_dual_cndmask_b32 v27, v39, v38
	v_cndmask_b32_e32 v38, v38, v39, vcc_lo
	v_dual_cndmask_b32 v28, v47, v46 :: v_dual_mov_b32 v19, v9
	v_dual_cndmask_b32 v46, v46, v47 :: v_dual_cndmask_b32 v23, v13, v14
	v_dual_cndmask_b32 v24, v14, v1 :: v_dual_mov_b32 v21, v11
	s_mov_b32 s2, exec_lo
	v_cmpx_lt_f32_e32 v9, v10
	s_cbranch_execz .LBB60_49
; %bb.48:
	v_dual_mov_b32 v7, v25 :: v_dual_mov_b32 v8, v26
	v_dual_mov_b32 v1, v20 :: v_dual_mov_b32 v2, v19
	;; [unrolled: 1-line block ×4, first 2 shown]
	s_delay_alu instid0(VALU_DEP_4)
	v_dual_mov_b32 v11, v34 :: v_dual_mov_b32 v26, v8
	v_dual_mov_b32 v12, v42 :: v_dual_mov_b32 v25, v7
	v_swap_b32 v34, v35
	v_swap_b32 v42, v43
	v_dual_mov_b32 v24, v6 :: v_dual_mov_b32 v23, v5
	v_dual_mov_b32 v22, v4 :: v_dual_mov_b32 v21, v3
	;; [unrolled: 1-line block ×3, first 2 shown]
	v_mov_b32_e32 v10, v9
.LBB60_49:
	s_or_b32 exec_lo, exec_lo, s2
	v_mov_b32_e32 v47, v28
	v_mov_b32_e32 v39, v27
	v_dual_mov_b32 v1, v42 :: v_dual_mov_b32 v4, v45
	v_dual_mov_b32 v11, v34 :: v_dual_mov_b32 v14, v37
	v_dual_mov_b32 v12, v35 :: v_dual_mov_b32 v13, v36
	s_delay_alu instid0(VALU_DEP_4)
	v_dual_mov_b32 v16, v39 :: v_dual_mov_b32 v15, v38
	v_dual_mov_b32 v18, v41 :: v_dual_mov_b32 v17, v40
	;; [unrolled: 1-line block ×5, first 2 shown]
	v_mov_b32_e32 v9, v21
	s_mov_b32 s2, exec_lo
	v_cmpx_lt_f32_e32 v10, v21
	s_cbranch_execz .LBB60_51
; %bb.50:
	v_dual_mov_b32 v1, v42 :: v_dual_mov_b32 v2, v43
	v_dual_mov_b32 v5, v46 :: v_dual_mov_b32 v6, v47
	v_dual_mov_b32 v6, v28 :: v_dual_mov_b32 v11, v34
	v_dual_mov_b32 v3, v44 :: v_dual_mov_b32 v4, v45
	v_dual_mov_b32 v7, v48 :: v_dual_mov_b32 v8, v49
	v_dual_mov_b32 v12, v35 :: v_dual_mov_b32 v13, v36
	v_dual_mov_b32 v14, v37 :: v_dual_mov_b32 v15, v38
	v_dual_mov_b32 v16, v39 :: v_dual_mov_b32 v17, v40
	v_dual_mov_b32 v18, v41 :: v_dual_mov_b32 v13, v35
	v_dual_mov_b32 v20, v21 :: v_dual_mov_b32 v21, v10
	v_dual_mov_b32 v2, v44 :: v_dual_mov_b32 v3, v43
	v_dual_mov_b32 v4, v45 :: v_dual_mov_b32 v5, v46
	v_dual_mov_b32 v7, v48 :: v_dual_mov_b32 v8, v49
	v_dual_mov_b32 v12, v36 :: v_dual_mov_b32 v15, v38
	v_dual_mov_b32 v14, v37 :: v_dual_mov_b32 v17, v40
	v_dual_mov_b32 v16, v27 :: v_dual_mov_b32 v9, v10
	v_mov_b32_e32 v18, v41
	v_mov_b32_e32 v36, v35
	;; [unrolled: 1-line block ×3, first 2 shown]
.LBB60_51:
	s_or_b32 exec_lo, exec_lo, s2
	v_mov_b32_e32 v29, v22
	s_mov_b32 s2, exec_lo
	v_cmpx_lt_f32_e32 v9, v22
; %bb.52:
	v_dual_mov_b32 v21, v22 :: v_dual_mov_b32 v22, v9
	v_dual_mov_b32 v3, v45 :: v_dual_mov_b32 v4, v44
	;; [unrolled: 1-line block ×7, first 2 shown]
	v_mov_b32_e32 v29, v9
; %bb.53:
	s_or_b32 exec_lo, exec_lo, s2
	s_delay_alu instid0(VALU_DEP_1)
	v_cmp_lt_f32_e32 vcc_lo, v29, v23
	v_dual_mov_b32 v28, v20 :: v_dual_mov_b32 v33, v25
	v_mov_b32_e32 v32, v24
	v_dual_mov_b32 v34, v26 :: v_dual_cndmask_b32 v9, v15, v14
	v_cndmask_b32_e32 v14, v14, v15, vcc_lo
	v_dual_cndmask_b32 v10, v5, v4 :: v_dual_cndmask_b32 v31, v23, v29
	v_dual_cndmask_b32 v4, v4, v5 :: v_dual_mov_b32 v27, v19
	v_dual_cndmask_b32 v30, v22, v23 :: v_dual_mov_b32 v29, v21
	s_mov_b32 s2, exec_lo
	v_cmpx_lt_f32_e32 v19, v20
	s_cbranch_execz .LBB60_55
; %bb.54:
	v_dual_mov_b32 v20, v28 :: v_dual_mov_b32 v21, v27
	v_dual_mov_b32 v26, v33 :: v_dual_mov_b32 v27, v34
	;; [unrolled: 1-line block ×4, first 2 shown]
	s_delay_alu instid0(VALU_DEP_3) | instskip(SKIP_2) | instid1(VALU_DEP_4)
	v_dual_mov_b32 v15, v1 :: v_dual_mov_b32 v34, v27
	v_mov_b32_e32 v5, v11
	v_swap_b32 v11, v12
	v_mov_b32_e32 v32, v25
	v_swap_b32 v1, v2
	v_dual_mov_b32 v33, v26 :: v_dual_mov_b32 v30, v23
	v_dual_mov_b32 v31, v24 :: v_dual_mov_b32 v28, v21
	v_mov_b32_e32 v29, v22
	v_dual_mov_b32 v27, v20 :: v_dual_mov_b32 v20, v19
.LBB60_55:
	s_or_b32 exec_lo, exec_lo, s2
	v_mov_b32_e32 v5, v10
	v_mov_b32_e32 v15, v9
	;; [unrolled: 1-line block ×3, first 2 shown]
	s_mov_b32 s2, exec_lo
	v_cmpx_lt_f32_e32 v20, v29
	s_cbranch_execz .LBB60_57
; %bb.56:
	v_dual_mov_b32 v50, v18 :: v_dual_mov_b32 v49, v17
	v_dual_mov_b32 v42, v8 :: v_dual_mov_b32 v41, v7
	;; [unrolled: 1-line block ×14, first 2 shown]
	v_mov_b32_e32 v50, v18
	v_dual_mov_b32 v28, v29 :: v_dual_mov_b32 v29, v20
	v_dual_mov_b32 v42, v8 :: v_dual_mov_b32 v11, v43
	;; [unrolled: 1-line block ×10, first 2 shown]
.LBB60_57:
	s_or_b32 exec_lo, exec_lo, s2
	s_delay_alu instid0(VALU_DEP_1) | instskip(NEXT) | instid1(VALU_DEP_3)
	v_cmp_lt_f32_e32 vcc_lo, v19, v30
	v_dual_mov_b32 v20, v5 :: v_dual_mov_b32 v21, v6
	s_delay_alu instid0(VALU_DEP_3)
	v_dual_mov_b32 v22, v7 :: v_dual_mov_b32 v23, v8
	v_dual_cndmask_b32 v9, v14, v13 :: v_dual_cndmask_b32 v10, v4, v3
	v_dual_cndmask_b32 v35, v13, v14 :: v_dual_cndmask_b32 v36, v3, v4
	;; [unrolled: 1-line block ×3, first 2 shown]
	v_dual_mov_b32 v4, v15 :: v_dual_mov_b32 v13, v16
	v_dual_mov_b32 v14, v17 :: v_dual_mov_b32 v19, v18
	;; [unrolled: 1-line block ×4, first 2 shown]
	v_mov_b32_e32 v29, v34
	s_mov_b32 s2, exec_lo
	v_cmpx_lt_f32_e32 v27, v28
	s_cbranch_execz .LBB60_59
; %bb.58:
	v_dual_mov_b32 v24, v28 :: v_dual_mov_b32 v19, v18
	v_dual_mov_b32 v4, v11 :: v_dual_mov_b32 v13, v16
	v_dual_mov_b32 v20, v1 :: v_dual_mov_b32 v37, v27
	v_swap_b32 v11, v12
	v_swap_b32 v1, v2
	v_dual_mov_b32 v28, v27 :: v_dual_mov_b32 v21, v6
	v_dual_mov_b32 v4, v15 :: v_dual_mov_b32 v23, v8
	;; [unrolled: 1-line block ×5, first 2 shown]
	v_mov_b32_e32 v24, v31
	v_mov_b32_e32 v26, v33
.LBB60_59:
	s_or_b32 exec_lo, exec_lo, s2
	s_clause 0x1
	s_load_b32 s8, s[0:1], 0x28
	s_load_b128 s[4:7], s[0:1], 0x10
	s_waitcnt lgkmcnt(0)
	s_cmp_lt_i32 s8, 1
	s_cbranch_scc1 .LBB60_65
; %bb.60:
	v_cmp_lt_f32_e32 vcc_lo, v28, v30
	v_mov_b32_e32 v7, 0
	s_mov_b32 s9, 0x76543210
	s_mov_b32 s10, s8
	v_mov_b32_e32 v6, 0
	v_dual_cndmask_b32 v8, v35, v12 :: v_dual_cndmask_b32 v17, v37, v30
	v_cndmask_b32_e32 v5, v36, v2, vcc_lo
	v_cndmask_b32_e32 v15, v2, v36, vcc_lo
	;; [unrolled: 1-line block ×4, first 2 shown]
	v_cmp_lt_f32_e64 s2, v27, v17
	s_delay_alu instid0(VALU_DEP_1)
	v_cndmask_b32_e64 v12, v15, v1, s2
	v_cndmask_b32_e64 v15, v1, v15, s2
	;; [unrolled: 1-line block ×6, first 2 shown]
	v_mov_b32_e32 v27, v0
	v_mov_b32_e32 v1, 0
.LBB60_61:                              ; =>This Inner Loop Header: Depth=1
	v_cmp_eq_u32_e32 vcc_lo, 1, v7
	v_cmp_eq_u32_e64 s2, 2, v7
	v_cmp_gt_u32_e64 s3, 8, v7
	v_dual_cndmask_b32 v28, v17, v16 :: v_dual_cndmask_b32 v31, v11, v18
	v_cndmask_b32_e32 v30, v15, v12, vcc_lo
	v_cmp_eq_u32_e32 vcc_lo, 3, v7
	s_delay_alu instid0(VALU_DEP_3) | instskip(NEXT) | instid1(VALU_DEP_4)
	v_cndmask_b32_e64 v28, v28, v2, s2
	v_cndmask_b32_e64 v31, v31, v8, s2
	s_delay_alu instid0(VALU_DEP_4) | instskip(SKIP_1) | instid1(VALU_DEP_3)
	v_cndmask_b32_e64 v30, v30, v5, s2
	v_cmp_eq_u32_e64 s2, 4, v7
	v_dual_cndmask_b32 v28, v28, v3 :: v_dual_cndmask_b32 v31, v31, v9
	s_delay_alu instid0(VALU_DEP_1) | instskip(NEXT) | instid1(VALU_DEP_2)
	v_cndmask_b32_e64 v28, v28, v24, s2
	v_cndmask_b32_e64 v31, v31, v4, s2
	v_cndmask_b32_e32 v30, v30, v10, vcc_lo
	v_cmp_eq_u32_e32 vcc_lo, 5, v7
	s_delay_alu instid0(VALU_DEP_3) | instskip(SKIP_1) | instid1(VALU_DEP_4)
	v_cndmask_b32_e32 v31, v31, v13, vcc_lo
	v_cndmask_b32_e32 v28, v28, v25, vcc_lo
	v_cndmask_b32_e64 v30, v30, v20, s2
	v_cmp_eq_u32_e64 s2, 6, v7
	s_delay_alu instid0(VALU_DEP_2) | instskip(NEXT) | instid1(VALU_DEP_2)
	v_cndmask_b32_e32 v30, v30, v21, vcc_lo
	v_cndmask_b32_e64 v28, v28, v26, s2
	v_cmp_eq_u32_e32 vcc_lo, 7, v7
	v_cndmask_b32_e64 v31, v31, v14, s2
	s_delay_alu instid0(VALU_DEP_4) | instskip(NEXT) | instid1(VALU_DEP_4)
	v_cndmask_b32_e64 v30, v30, v22, s2
	v_cndmask_b32_e32 v28, v28, v29, vcc_lo
	s_delay_alu instid0(VALU_DEP_2) | instskip(NEXT) | instid1(VALU_DEP_2)
	v_cndmask_b32_e32 v30, v30, v23, vcc_lo
	v_cndmask_b32_e64 v28, 0xff800000, v28, s3
	;;#ASMSTART
	v_max_f32 v32, v28, v28 quad_perm:[1,0,3,2] row_mask:0xf bank_mask:0xf bound_ctrl:1
	;;#ASMEND
	;;#ASMSTART
	v_max_f32 v33, v32, v32 quad_perm:[2,3,0,1] row_mask:0xf bank_mask:0xf bound_ctrl:1
	;;#ASMEND
	;;#ASMSTART
	v_max_f32 v32, v33, v33 row_half_mirror row_mask:0xf bank_mask:0xf bound_ctrl:1
	;;#ASMEND
	;;#ASMSTART
	v_max_f32 v33, v32, v32 row_mirror row_mask:0xf bank_mask:0xf bound_ctrl:1
	;;#ASMEND
	v_permlanex16_b32 v32, v33, s9, 0xfedcba98 op_sel:[1,1]
	s_delay_alu instid0(VALU_DEP_1) | instskip(NEXT) | instid1(VALU_DEP_1)
	v_dual_max_f32 v33, v33, v33 :: v_dual_max_f32 v32, v32, v32
	v_max_f32_e32 v32, v33, v32
	s_delay_alu instid0(VALU_DEP_1) | instskip(SKIP_1) | instid1(VALU_DEP_2)
	v_cmp_eq_f32_e64 s2, v28, v32
	v_cndmask_b32_e64 v28, 0, v30, s3
	s_ctz_i32_b32 s11, s2
	s_cmp_lg_u32 s2, 0
	s_cselect_b32 s2, s11, 0
	s_add_i32 s10, s10, -1
	v_readlane_b32 s11, v28, s2
	v_cndmask_b32_e32 v28, v31, v19, vcc_lo
	s_delay_alu instid0(VALU_DEP_2)
	v_cmp_eq_u32_e32 vcc_lo, s11, v30
	s_and_b32 s2, s11, 31
	s_and_b32 vcc_lo, s3, vcc_lo
	s_cmp_eq_u32 s10, 0
	v_cndmask_b32_e32 v28, 0, v28, vcc_lo
	v_add_co_ci_u32_e32 v7, vcc_lo, 0, v7, vcc_lo
	s_delay_alu instid0(VALU_DEP_2) | instskip(SKIP_2) | instid1(VALU_DEP_2)
	v_readlane_b32 s3, v28, s2
	v_cmp_eq_u32_e64 s2, 0, v27
	v_add_nc_u32_e32 v27, -1, v27
	v_cndmask_b32_e64 v6, v6, s3, s2
	v_cndmask_b32_e64 v1, v1, s11, s2
	s_cbranch_scc0 .LBB60_61
; %bb.62:
	s_mov_b32 s2, exec_lo
	v_cmpx_gt_i32_e64 s8, v0
	s_cbranch_execz .LBB60_64
.LBB60_63:
	s_clause 0x1
	s_load_b64 s[2:3], s[0:1], 0x20
	s_load_b32 s8, s[0:1], 0x30
	s_ashr_i32 s0, s15, 31
	s_waitcnt lgkmcnt(0)
	s_mul_i32 s1, s15, s3
	s_mul_hi_u32 s3, s15, s2
	s_mul_i32 s0, s0, s2
	s_add_i32 s1, s3, s1
	v_mul_f32_e32 v0, s8, v6
	s_add_i32 s1, s1, s0
	s_mul_i32 s0, s15, s2
	s_delay_alu instid0(SALU_CYCLE_1) | instskip(NEXT) | instid1(SALU_CYCLE_1)
	s_lshl_b64 s[0:1], s[0:1], 2
	s_add_u32 s2, s4, s0
	s_addc_u32 s3, s5, s1
	s_add_u32 s0, s6, s0
	s_addc_u32 s1, s7, s1
	s_clause 0x1
	global_store_b32 v96, v0, s[2:3]
	global_store_b32 v96, v1, s[0:1]
.LBB60_64:
	s_nop 0
	s_sendmsg sendmsg(MSG_DEALLOC_VGPRS)
	s_endpgm
.LBB60_65:
	v_dual_mov_b32 v1, 0 :: v_dual_mov_b32 v6, 0
	s_mov_b32 s2, exec_lo
	v_cmpx_gt_i32_e64 s8, v0
	s_cbranch_execnz .LBB60_63
	s_branch .LBB60_64
	.section	.rodata,"a",@progbits
	.p2align	6, 0x0
	.amdhsa_kernel _ZN5aiter24topk_softplus_kernel_optIf6__halfLi256ELb0ELi0EEEvPKT_PKT0_PfPimiif
		.amdhsa_group_segment_fixed_size 0
		.amdhsa_private_segment_fixed_size 0
		.amdhsa_kernarg_size 52
		.amdhsa_user_sgpr_count 15
		.amdhsa_user_sgpr_dispatch_ptr 0
		.amdhsa_user_sgpr_queue_ptr 0
		.amdhsa_user_sgpr_kernarg_segment_ptr 1
		.amdhsa_user_sgpr_dispatch_id 0
		.amdhsa_user_sgpr_private_segment_size 0
		.amdhsa_wavefront_size32 1
		.amdhsa_uses_dynamic_stack 0
		.amdhsa_enable_private_segment 0
		.amdhsa_system_sgpr_workgroup_id_x 1
		.amdhsa_system_sgpr_workgroup_id_y 0
		.amdhsa_system_sgpr_workgroup_id_z 0
		.amdhsa_system_sgpr_workgroup_info 0
		.amdhsa_system_vgpr_workitem_id 0
		.amdhsa_next_free_vgpr 97
		.amdhsa_next_free_sgpr 16
		.amdhsa_reserve_vcc 1
		.amdhsa_float_round_mode_32 0
		.amdhsa_float_round_mode_16_64 0
		.amdhsa_float_denorm_mode_32 3
		.amdhsa_float_denorm_mode_16_64 3
		.amdhsa_dx10_clamp 1
		.amdhsa_ieee_mode 1
		.amdhsa_fp16_overflow 0
		.amdhsa_workgroup_processor_mode 1
		.amdhsa_memory_ordered 1
		.amdhsa_forward_progress 0
		.amdhsa_shared_vgpr_count 0
		.amdhsa_exception_fp_ieee_invalid_op 0
		.amdhsa_exception_fp_denorm_src 0
		.amdhsa_exception_fp_ieee_div_zero 0
		.amdhsa_exception_fp_ieee_overflow 0
		.amdhsa_exception_fp_ieee_underflow 0
		.amdhsa_exception_fp_ieee_inexact 0
		.amdhsa_exception_int_div_zero 0
	.end_amdhsa_kernel
	.section	.text._ZN5aiter24topk_softplus_kernel_optIf6__halfLi256ELb0ELi0EEEvPKT_PKT0_PfPimiif,"axG",@progbits,_ZN5aiter24topk_softplus_kernel_optIf6__halfLi256ELb0ELi0EEEvPKT_PKT0_PfPimiif,comdat
.Lfunc_end60:
	.size	_ZN5aiter24topk_softplus_kernel_optIf6__halfLi256ELb0ELi0EEEvPKT_PKT0_PfPimiif, .Lfunc_end60-_ZN5aiter24topk_softplus_kernel_optIf6__halfLi256ELb0ELi0EEEvPKT_PKT0_PfPimiif
                                        ; -- End function
	.section	.AMDGPU.csdata,"",@progbits
; Kernel info:
; codeLenInByte = 8456
; NumSgprs: 18
; NumVgprs: 97
; ScratchSize: 0
; MemoryBound: 0
; FloatMode: 240
; IeeeMode: 1
; LDSByteSize: 0 bytes/workgroup (compile time only)
; SGPRBlocks: 2
; VGPRBlocks: 12
; NumSGPRsForWavesPerEU: 18
; NumVGPRsForWavesPerEU: 97
; Occupancy: 12
; WaveLimiterHint : 0
; COMPUTE_PGM_RSRC2:SCRATCH_EN: 0
; COMPUTE_PGM_RSRC2:USER_SGPR: 15
; COMPUTE_PGM_RSRC2:TRAP_HANDLER: 0
; COMPUTE_PGM_RSRC2:TGID_X_EN: 1
; COMPUTE_PGM_RSRC2:TGID_Y_EN: 0
; COMPUTE_PGM_RSRC2:TGID_Z_EN: 0
; COMPUTE_PGM_RSRC2:TIDIG_COMP_CNT: 0
	.section	.text._ZN5aiter24topk_softplus_kernel_optIf6__halfLi384ELb1ELi0EEEvPKT_PKT0_PfPimiif,"axG",@progbits,_ZN5aiter24topk_softplus_kernel_optIf6__halfLi384ELb1ELi0EEEvPKT_PKT0_PfPimiif,comdat
	.protected	_ZN5aiter24topk_softplus_kernel_optIf6__halfLi384ELb1ELi0EEEvPKT_PKT0_PfPimiif ; -- Begin function _ZN5aiter24topk_softplus_kernel_optIf6__halfLi384ELb1ELi0EEEvPKT_PKT0_PfPimiif
	.globl	_ZN5aiter24topk_softplus_kernel_optIf6__halfLi384ELb1ELi0EEEvPKT_PKT0_PfPimiif
	.p2align	8
	.type	_ZN5aiter24topk_softplus_kernel_optIf6__halfLi384ELb1ELi0EEEvPKT_PKT0_PfPimiif,@function
_ZN5aiter24topk_softplus_kernel_optIf6__halfLi384ELb1ELi0EEEvPKT_PKT0_PfPimiif: ; @_ZN5aiter24topk_softplus_kernel_optIf6__halfLi384ELb1ELi0EEEvPKT_PKT0_PfPimiif
; %bb.0:
	s_load_b128 s[4:7], s[0:1], 0x0
	s_mul_i32 s2, s15, 0x180
	v_lshlrev_b32_e32 v183, 2, v0
	s_ashr_i32 s3, s2, 31
	s_delay_alu instid0(SALU_CYCLE_1)
	s_lshl_b64 s[2:3], s[2:3], 2
	s_waitcnt lgkmcnt(0)
	s_add_u32 s4, s4, s2
	s_addc_u32 s5, s5, s3
	s_cmp_lg_u64 s[6:7], 0
	global_load_b32 v1, v183, s[4:5]
	s_cselect_b32 s3, -1, 0
	s_waitcnt vmcnt(0)
	v_mul_f32_e32 v2, 0x3fb8aa3b, v1
	s_delay_alu instid0(VALU_DEP_1) | instskip(SKIP_2) | instid1(VALU_DEP_2)
	v_cmp_gt_f32_e32 vcc_lo, 0xc2fc0000, v2
	v_cndmask_b32_e64 v2, 0, 0x42800000, vcc_lo
	v_cndmask_b32_e64 v3, 1.0, 0x1f800000, vcc_lo
	v_fmac_f32_e32 v2, 0x3fb8aa3b, v1
	s_delay_alu instid0(VALU_DEP_1) | instskip(SKIP_2) | instid1(VALU_DEP_1)
	v_exp_f32_e32 v2, v2
	s_waitcnt_depctr 0xfff
	v_fma_f32 v2, v2, v3, 1.0
	v_cmp_gt_f32_e32 vcc_lo, 0x800000, v2
	v_cndmask_b32_e64 v3, 1.0, 0x4f800000, vcc_lo
	s_delay_alu instid0(VALU_DEP_1) | instskip(SKIP_2) | instid1(VALU_DEP_3)
	v_mul_f32_e32 v2, v2, v3
	v_cndmask_b32_e64 v3, 0, 0x42000000, vcc_lo
	v_cmp_lt_f32_e32 vcc_lo, 0x41a00000, v1
	v_log_f32_e32 v2, v2
	s_waitcnt_depctr 0xfff
	v_sub_f32_e32 v2, v2, v3
	s_delay_alu instid0(VALU_DEP_1) | instskip(NEXT) | instid1(VALU_DEP_1)
	v_mul_f32_e32 v2, 0x3f317218, v2
	v_cndmask_b32_e32 v1, v2, v1, vcc_lo
	s_delay_alu instid0(VALU_DEP_1) | instskip(SKIP_1) | instid1(VALU_DEP_2)
	v_mul_f32_e32 v2, 0x4f800000, v1
	v_cmp_gt_f32_e32 vcc_lo, 0xf800000, v1
	v_cndmask_b32_e32 v1, v1, v2, vcc_lo
	s_delay_alu instid0(VALU_DEP_1) | instskip(SKIP_3) | instid1(VALU_DEP_2)
	v_sqrt_f32_e32 v2, v1
	s_waitcnt_depctr 0xfff
	v_add_nc_u32_e32 v3, -1, v2
	v_add_nc_u32_e32 v4, 1, v2
	v_fma_f32 v5, -v3, v2, v1
	s_delay_alu instid0(VALU_DEP_2) | instskip(NEXT) | instid1(VALU_DEP_2)
	v_fma_f32 v6, -v4, v2, v1
	v_cmp_ge_f32_e64 s2, 0, v5
	s_delay_alu instid0(VALU_DEP_1) | instskip(NEXT) | instid1(VALU_DEP_3)
	v_cndmask_b32_e64 v2, v2, v3, s2
	v_cmp_lt_f32_e64 s2, 0, v6
	s_delay_alu instid0(VALU_DEP_1) | instskip(SKIP_1) | instid1(VALU_DEP_1)
	v_cndmask_b32_e64 v2, v2, v4, s2
	v_add_co_u32 v12, s2, s4, v183
	v_add_co_ci_u32_e64 v13, null, s5, 0, s2
	s_delay_alu instid0(VALU_DEP_3) | instskip(NEXT) | instid1(VALU_DEP_1)
	v_mul_f32_e32 v3, 0x37800000, v2
	v_cndmask_b32_e32 v2, v2, v3, vcc_lo
	v_cmp_class_f32_e64 vcc_lo, v1, 0x260
	s_delay_alu instid0(VALU_DEP_2) | instskip(SKIP_2) | instid1(VALU_DEP_2)
	v_cndmask_b32_e32 v49, v2, v1, vcc_lo
	v_lshlrev_b32_e32 v1, 1, v0
	s_and_b32 vcc_lo, exec_lo, s3
	v_mov_b32_e32 v37, v49
	s_cbranch_vccz .LBB61_2
; %bb.1:
	global_load_u16 v2, v1, s[6:7]
	s_waitcnt vmcnt(0)
	v_cvt_f32_f16_e32 v2, v2
	s_delay_alu instid0(VALU_DEP_1)
	v_add_f32_e32 v37, v49, v2
.LBB61_2:
	global_load_b32 v2, v[12:13], off offset:128
	v_cndmask_b32_e64 v14, 0, 1, s3
	s_waitcnt vmcnt(0)
	v_mul_f32_e32 v3, 0x3fb8aa3b, v2
	s_delay_alu instid0(VALU_DEP_1) | instskip(SKIP_2) | instid1(VALU_DEP_2)
	v_cmp_gt_f32_e32 vcc_lo, 0xc2fc0000, v3
	v_cndmask_b32_e64 v4, 0, 0x42800000, vcc_lo
	v_cndmask_b32_e64 v3, 1.0, 0x1f800000, vcc_lo
	v_fmac_f32_e32 v4, 0x3fb8aa3b, v2
	s_delay_alu instid0(VALU_DEP_1) | instskip(SKIP_2) | instid1(VALU_DEP_1)
	v_exp_f32_e32 v4, v4
	s_waitcnt_depctr 0xfff
	v_fma_f32 v3, v4, v3, 1.0
	v_cmp_gt_f32_e32 vcc_lo, 0x800000, v3
	v_cndmask_b32_e64 v4, 1.0, 0x4f800000, vcc_lo
	s_delay_alu instid0(VALU_DEP_1) | instskip(SKIP_2) | instid1(VALU_DEP_3)
	v_mul_f32_e32 v3, v3, v4
	v_cndmask_b32_e64 v4, 0, 0x42000000, vcc_lo
	v_cmp_lt_f32_e32 vcc_lo, 0x41a00000, v2
	v_log_f32_e32 v3, v3
	s_waitcnt_depctr 0xfff
	v_sub_f32_e32 v3, v3, v4
	s_delay_alu instid0(VALU_DEP_1) | instskip(NEXT) | instid1(VALU_DEP_1)
	v_mul_f32_e32 v3, 0x3f317218, v3
	v_cndmask_b32_e32 v2, v3, v2, vcc_lo
	s_delay_alu instid0(VALU_DEP_1) | instskip(SKIP_1) | instid1(VALU_DEP_2)
	v_mul_f32_e32 v3, 0x4f800000, v2
	v_cmp_gt_f32_e32 vcc_lo, 0xf800000, v2
	v_cndmask_b32_e32 v2, v2, v3, vcc_lo
	s_delay_alu instid0(VALU_DEP_1) | instskip(SKIP_3) | instid1(VALU_DEP_2)
	v_sqrt_f32_e32 v3, v2
	s_waitcnt_depctr 0xfff
	v_add_nc_u32_e32 v4, -1, v3
	v_add_nc_u32_e32 v5, 1, v3
	v_fma_f32 v6, -v4, v3, v2
	s_delay_alu instid0(VALU_DEP_2) | instskip(NEXT) | instid1(VALU_DEP_2)
	v_fma_f32 v7, -v5, v3, v2
	v_cmp_ge_f32_e64 s2, 0, v6
	s_delay_alu instid0(VALU_DEP_1) | instskip(NEXT) | instid1(VALU_DEP_3)
	v_cndmask_b32_e64 v3, v3, v4, s2
	v_cmp_lt_f32_e64 s2, 0, v7
	s_delay_alu instid0(VALU_DEP_1) | instskip(NEXT) | instid1(VALU_DEP_1)
	v_cndmask_b32_e64 v3, v3, v5, s2
	v_mul_f32_e32 v4, 0x37800000, v3
	s_delay_alu instid0(VALU_DEP_1) | instskip(SKIP_1) | instid1(VALU_DEP_2)
	v_cndmask_b32_e32 v3, v3, v4, vcc_lo
	v_cmp_class_f32_e64 vcc_lo, v2, 0x260
	v_cndmask_b32_e32 v2, v3, v2, vcc_lo
	s_and_not1_b32 vcc_lo, exec_lo, s3
	s_delay_alu instid0(VALU_DEP_1)
	v_mov_b32_e32 v38, v2
	s_cbranch_vccnz .LBB61_4
; %bb.3:
	global_load_u16 v3, v1, s[6:7] offset:64
	s_waitcnt vmcnt(0)
	v_cvt_f32_f16_e32 v3, v3
	s_delay_alu instid0(VALU_DEP_1)
	v_add_f32_e32 v38, v2, v3
.LBB61_4:
	global_load_b32 v3, v[12:13], off offset:256
	s_waitcnt vmcnt(0)
	v_mul_f32_e32 v4, 0x3fb8aa3b, v3
	s_delay_alu instid0(VALU_DEP_1) | instskip(SKIP_2) | instid1(VALU_DEP_2)
	v_cmp_gt_f32_e32 vcc_lo, 0xc2fc0000, v4
	v_cndmask_b32_e64 v5, 0, 0x42800000, vcc_lo
	v_cndmask_b32_e64 v4, 1.0, 0x1f800000, vcc_lo
	v_fmac_f32_e32 v5, 0x3fb8aa3b, v3
	s_delay_alu instid0(VALU_DEP_1) | instskip(SKIP_2) | instid1(VALU_DEP_1)
	v_exp_f32_e32 v5, v5
	s_waitcnt_depctr 0xfff
	v_fma_f32 v4, v5, v4, 1.0
	v_cmp_gt_f32_e32 vcc_lo, 0x800000, v4
	v_cndmask_b32_e64 v5, 1.0, 0x4f800000, vcc_lo
	s_delay_alu instid0(VALU_DEP_1) | instskip(SKIP_2) | instid1(VALU_DEP_3)
	v_mul_f32_e32 v4, v4, v5
	v_cndmask_b32_e64 v5, 0, 0x42000000, vcc_lo
	v_cmp_lt_f32_e32 vcc_lo, 0x41a00000, v3
	v_log_f32_e32 v4, v4
	s_waitcnt_depctr 0xfff
	v_sub_f32_e32 v4, v4, v5
	s_delay_alu instid0(VALU_DEP_1) | instskip(NEXT) | instid1(VALU_DEP_1)
	v_mul_f32_e32 v4, 0x3f317218, v4
	v_cndmask_b32_e32 v3, v4, v3, vcc_lo
	s_delay_alu instid0(VALU_DEP_1) | instskip(SKIP_1) | instid1(VALU_DEP_2)
	v_mul_f32_e32 v4, 0x4f800000, v3
	v_cmp_gt_f32_e32 vcc_lo, 0xf800000, v3
	v_cndmask_b32_e32 v3, v3, v4, vcc_lo
	s_delay_alu instid0(VALU_DEP_1) | instskip(SKIP_3) | instid1(VALU_DEP_2)
	v_sqrt_f32_e32 v4, v3
	s_waitcnt_depctr 0xfff
	v_add_nc_u32_e32 v5, -1, v4
	v_add_nc_u32_e32 v6, 1, v4
	v_fma_f32 v7, -v5, v4, v3
	s_delay_alu instid0(VALU_DEP_2) | instskip(NEXT) | instid1(VALU_DEP_2)
	v_fma_f32 v8, -v6, v4, v3
	v_cmp_ge_f32_e64 s2, 0, v7
	s_delay_alu instid0(VALU_DEP_1) | instskip(NEXT) | instid1(VALU_DEP_3)
	v_cndmask_b32_e64 v4, v4, v5, s2
	v_cmp_lt_f32_e64 s2, 0, v8
	s_delay_alu instid0(VALU_DEP_1) | instskip(NEXT) | instid1(VALU_DEP_1)
	v_cndmask_b32_e64 v4, v4, v6, s2
	v_mul_f32_e32 v5, 0x37800000, v4
	s_delay_alu instid0(VALU_DEP_1) | instskip(SKIP_1) | instid1(VALU_DEP_2)
	v_cndmask_b32_e32 v4, v4, v5, vcc_lo
	v_cmp_class_f32_e64 vcc_lo, v3, 0x260
	v_cndmask_b32_e32 v3, v4, v3, vcc_lo
	v_cmp_ne_u32_e32 vcc_lo, 1, v14
	s_delay_alu instid0(VALU_DEP_2)
	v_mov_b32_e32 v39, v3
	s_cbranch_vccnz .LBB61_6
; %bb.5:
	global_load_u16 v4, v1, s[6:7] offset:128
	s_waitcnt vmcnt(0)
	v_cvt_f32_f16_e32 v4, v4
	s_delay_alu instid0(VALU_DEP_1)
	v_add_f32_e32 v39, v3, v4
.LBB61_6:
	global_load_b32 v4, v[12:13], off offset:384
	s_waitcnt vmcnt(0)
	v_mul_f32_e32 v5, 0x3fb8aa3b, v4
	s_delay_alu instid0(VALU_DEP_1) | instskip(SKIP_2) | instid1(VALU_DEP_2)
	v_cmp_gt_f32_e32 vcc_lo, 0xc2fc0000, v5
	v_cndmask_b32_e64 v6, 0, 0x42800000, vcc_lo
	v_cndmask_b32_e64 v5, 1.0, 0x1f800000, vcc_lo
	v_fmac_f32_e32 v6, 0x3fb8aa3b, v4
	s_delay_alu instid0(VALU_DEP_1) | instskip(SKIP_2) | instid1(VALU_DEP_1)
	v_exp_f32_e32 v6, v6
	s_waitcnt_depctr 0xfff
	v_fma_f32 v5, v6, v5, 1.0
	v_cmp_gt_f32_e32 vcc_lo, 0x800000, v5
	v_cndmask_b32_e64 v6, 1.0, 0x4f800000, vcc_lo
	s_delay_alu instid0(VALU_DEP_1) | instskip(SKIP_2) | instid1(VALU_DEP_3)
	v_mul_f32_e32 v5, v5, v6
	v_cndmask_b32_e64 v6, 0, 0x42000000, vcc_lo
	v_cmp_lt_f32_e32 vcc_lo, 0x41a00000, v4
	v_log_f32_e32 v5, v5
	s_waitcnt_depctr 0xfff
	v_sub_f32_e32 v5, v5, v6
	s_delay_alu instid0(VALU_DEP_1) | instskip(NEXT) | instid1(VALU_DEP_1)
	v_mul_f32_e32 v5, 0x3f317218, v5
	v_cndmask_b32_e32 v4, v5, v4, vcc_lo
	s_delay_alu instid0(VALU_DEP_1) | instskip(SKIP_1) | instid1(VALU_DEP_2)
	v_mul_f32_e32 v5, 0x4f800000, v4
	v_cmp_gt_f32_e32 vcc_lo, 0xf800000, v4
	v_cndmask_b32_e32 v4, v4, v5, vcc_lo
	s_delay_alu instid0(VALU_DEP_1) | instskip(SKIP_3) | instid1(VALU_DEP_2)
	v_sqrt_f32_e32 v5, v4
	s_waitcnt_depctr 0xfff
	v_add_nc_u32_e32 v6, -1, v5
	v_add_nc_u32_e32 v7, 1, v5
	v_fma_f32 v8, -v6, v5, v4
	s_delay_alu instid0(VALU_DEP_2) | instskip(NEXT) | instid1(VALU_DEP_2)
	v_fma_f32 v9, -v7, v5, v4
	v_cmp_ge_f32_e64 s2, 0, v8
	s_delay_alu instid0(VALU_DEP_1) | instskip(NEXT) | instid1(VALU_DEP_3)
	v_cndmask_b32_e64 v5, v5, v6, s2
	v_cmp_lt_f32_e64 s2, 0, v9
	s_delay_alu instid0(VALU_DEP_1) | instskip(NEXT) | instid1(VALU_DEP_1)
	v_cndmask_b32_e64 v5, v5, v7, s2
	v_mul_f32_e32 v6, 0x37800000, v5
	s_delay_alu instid0(VALU_DEP_1) | instskip(SKIP_1) | instid1(VALU_DEP_2)
	v_cndmask_b32_e32 v5, v5, v6, vcc_lo
	v_cmp_class_f32_e64 vcc_lo, v4, 0x260
	v_cndmask_b32_e32 v4, v5, v4, vcc_lo
	v_cmp_ne_u32_e32 vcc_lo, 1, v14
	s_delay_alu instid0(VALU_DEP_2)
	;; [unrolled: 58-line block ×9, first 2 shown]
	v_mov_b32_e32 v47, v11
	s_cbranch_vccnz .LBB61_22
; %bb.21:
	global_load_u16 v15, v1, s[6:7] offset:640
	s_waitcnt vmcnt(0)
	v_cvt_f32_f16_e32 v15, v15
	s_delay_alu instid0(VALU_DEP_1)
	v_add_f32_e32 v47, v11, v15
.LBB61_22:
	global_load_b32 v12, v[12:13], off offset:1408
	s_waitcnt vmcnt(0)
	v_mul_f32_e32 v13, 0x3fb8aa3b, v12
	s_delay_alu instid0(VALU_DEP_1) | instskip(SKIP_2) | instid1(VALU_DEP_2)
	v_cmp_gt_f32_e32 vcc_lo, 0xc2fc0000, v13
	v_cndmask_b32_e64 v15, 0, 0x42800000, vcc_lo
	v_cndmask_b32_e64 v13, 1.0, 0x1f800000, vcc_lo
	v_fmac_f32_e32 v15, 0x3fb8aa3b, v12
	s_delay_alu instid0(VALU_DEP_1) | instskip(SKIP_2) | instid1(VALU_DEP_1)
	v_exp_f32_e32 v15, v15
	s_waitcnt_depctr 0xfff
	v_fma_f32 v13, v15, v13, 1.0
	v_cmp_gt_f32_e32 vcc_lo, 0x800000, v13
	v_cndmask_b32_e64 v15, 1.0, 0x4f800000, vcc_lo
	s_delay_alu instid0(VALU_DEP_1) | instskip(SKIP_2) | instid1(VALU_DEP_3)
	v_mul_f32_e32 v13, v13, v15
	v_cndmask_b32_e64 v15, 0, 0x42000000, vcc_lo
	v_cmp_lt_f32_e32 vcc_lo, 0x41a00000, v12
	v_log_f32_e32 v13, v13
	s_waitcnt_depctr 0xfff
	v_sub_f32_e32 v13, v13, v15
	s_delay_alu instid0(VALU_DEP_1) | instskip(NEXT) | instid1(VALU_DEP_1)
	v_mul_f32_e32 v13, 0x3f317218, v13
	v_cndmask_b32_e32 v12, v13, v12, vcc_lo
	s_delay_alu instid0(VALU_DEP_1) | instskip(SKIP_1) | instid1(VALU_DEP_2)
	v_mul_f32_e32 v13, 0x4f800000, v12
	v_cmp_gt_f32_e32 vcc_lo, 0xf800000, v12
	v_cndmask_b32_e32 v12, v12, v13, vcc_lo
	s_delay_alu instid0(VALU_DEP_1) | instskip(SKIP_3) | instid1(VALU_DEP_2)
	v_sqrt_f32_e32 v13, v12
	s_waitcnt_depctr 0xfff
	v_add_nc_u32_e32 v15, -1, v13
	v_add_nc_u32_e32 v16, 1, v13
	v_fma_f32 v17, -v15, v13, v12
	s_delay_alu instid0(VALU_DEP_2) | instskip(NEXT) | instid1(VALU_DEP_2)
	v_fma_f32 v18, -v16, v13, v12
	v_cmp_ge_f32_e64 s2, 0, v17
	s_delay_alu instid0(VALU_DEP_1) | instskip(NEXT) | instid1(VALU_DEP_3)
	v_cndmask_b32_e64 v13, v13, v15, s2
	v_cmp_lt_f32_e64 s2, 0, v18
	s_delay_alu instid0(VALU_DEP_1) | instskip(NEXT) | instid1(VALU_DEP_1)
	v_cndmask_b32_e64 v13, v13, v16, s2
	v_mul_f32_e32 v15, 0x37800000, v13
	s_delay_alu instid0(VALU_DEP_1) | instskip(SKIP_1) | instid1(VALU_DEP_2)
	v_cndmask_b32_e32 v13, v13, v15, vcc_lo
	v_cmp_class_f32_e64 vcc_lo, v12, 0x260
	v_cndmask_b32_e32 v12, v13, v12, vcc_lo
	v_cmp_ne_u32_e32 vcc_lo, 1, v14
	s_cbranch_vccnz .LBB61_24
; %bb.23:
	global_load_u16 v1, v1, s[6:7] offset:704
	s_waitcnt vmcnt(0)
	v_cvt_f32_f16_e32 v1, v1
	s_delay_alu instid0(VALU_DEP_1)
	v_add_f32_e32 v48, v12, v1
	s_branch .LBB61_25
.LBB61_24:
	s_delay_alu instid0(VALU_DEP_2)
	v_mov_b32_e32 v48, v12
.LBB61_25:
	v_dual_mov_b32 v13, v37 :: v_dual_add_nc_u32 v26, 32, v0
	v_dual_mov_b32 v14, v38 :: v_dual_add_nc_u32 v27, 64, v0
	;; [unrolled: 1-line block ×11, first 2 shown]
	v_dual_mov_b32 v24, v48 :: v_dual_mov_b32 v1, v49
	v_mov_b32_e32 v25, v0
	s_mov_b32 s2, exec_lo
	v_cmpx_lt_f32_e32 v37, v38
	s_xor_b32 s2, exec_lo, s2
; %bb.26:
	v_dual_mov_b32 v13, v38 :: v_dual_mov_b32 v14, v37
	v_dual_mov_b32 v15, v39 :: v_dual_mov_b32 v16, v40
	;; [unrolled: 1-line block ×8, first 2 shown]
	v_mov_b32_e32 v26, v0
; %bb.27:
	s_or_b32 exec_lo, exec_lo, s2
	v_dual_mov_b32 v37, v15 :: v_dual_mov_b32 v86, v12
	v_dual_mov_b32 v75, v1 :: v_dual_mov_b32 v146, v12
	v_dual_mov_b32 v135, v1 :: v_dual_mov_b32 v122, v12
	v_dual_mov_b32 v111, v1 :: v_dual_mov_b32 v62, v12
	v_dual_mov_b32 v51, v1 :: v_dual_mov_b32 v134, v12
	v_dual_mov_b32 v123, v1 :: v_dual_mov_b32 v74, v36
	v_dual_mov_b32 v63, v25 :: v_dual_mov_b32 v98, v36
	v_dual_mov_b32 v87, v25 :: v_dual_mov_b32 v50, v36
	v_dual_mov_b32 v39, v25 :: v_dual_mov_b32 v110, v36
	v_dual_mov_b32 v99, v25 :: v_dual_mov_b32 v158, v36
	v_dual_mov_b32 v147, v25 :: v_dual_mov_b32 v170, v36
	v_dual_mov_b32 v85, v11 :: v_dual_mov_b32 v84, v10
	v_dual_mov_b32 v83, v9 :: v_dual_mov_b32 v82, v8
	v_dual_mov_b32 v81, v7 :: v_dual_mov_b32 v80, v6
	v_dual_mov_b32 v79, v5 :: v_dual_mov_b32 v78, v4
	v_dual_mov_b32 v77, v3 :: v_dual_mov_b32 v76, v2
	v_dual_mov_b32 v145, v11 :: v_dual_mov_b32 v144, v10
	v_dual_mov_b32 v143, v9 :: v_dual_mov_b32 v142, v8
	v_dual_mov_b32 v141, v7 :: v_dual_mov_b32 v140, v6
	v_dual_mov_b32 v139, v5 :: v_dual_mov_b32 v138, v4
	v_dual_mov_b32 v137, v3 :: v_dual_mov_b32 v136, v2
	v_dual_mov_b32 v121, v11 :: v_dual_mov_b32 v120, v10
	v_dual_mov_b32 v119, v9 :: v_dual_mov_b32 v118, v8
	v_dual_mov_b32 v117, v7 :: v_dual_mov_b32 v116, v6
	v_dual_mov_b32 v115, v5 :: v_dual_mov_b32 v114, v4
	v_dual_mov_b32 v113, v3 :: v_dual_mov_b32 v112, v2
	v_dual_mov_b32 v61, v11 :: v_dual_mov_b32 v60, v10
	v_dual_mov_b32 v59, v9 :: v_dual_mov_b32 v58, v8
	v_dual_mov_b32 v57, v7 :: v_dual_mov_b32 v56, v6
	v_dual_mov_b32 v55, v5 :: v_dual_mov_b32 v54, v4
	v_dual_mov_b32 v53, v3 :: v_dual_mov_b32 v52, v2
	v_dual_mov_b32 v133, v11 :: v_dual_mov_b32 v132, v10
	v_dual_mov_b32 v131, v9 :: v_dual_mov_b32 v130, v8
	v_dual_mov_b32 v129, v7 :: v_dual_mov_b32 v128, v6
	v_dual_mov_b32 v127, v5 :: v_dual_mov_b32 v126, v4
	v_dual_mov_b32 v125, v3 :: v_dual_mov_b32 v124, v2
	s_clause 0x8
	scratch_store_b128 off, v[1:4], off
	scratch_store_b128 off, v[5:8], off offset:16
	scratch_store_b128 off, v[9:12], off offset:32
	;; [unrolled: 1-line block ×8, first 2 shown]
	v_dual_mov_b32 v73, v35 :: v_dual_mov_b32 v72, v34
	v_dual_mov_b32 v71, v33 :: v_dual_mov_b32 v70, v32
	;; [unrolled: 1-line block ×30, first 2 shown]
	v_mov_b32_e32 v159, v25
	s_clause 0x2
	scratch_store_b128 off, v[25:28], off offset:144
	scratch_store_b128 off, v[29:32], off offset:160
	;; [unrolled: 1-line block ×3, first 2 shown]
	s_mov_b32 s2, exec_lo
	v_dual_mov_b32 v182, v36 :: v_dual_mov_b32 v181, v35
	v_dual_mov_b32 v180, v34 :: v_dual_mov_b32 v179, v33
	v_dual_mov_b32 v178, v32 :: v_dual_mov_b32 v177, v31
	v_dual_mov_b32 v176, v30 :: v_dual_mov_b32 v175, v29
	v_dual_mov_b32 v174, v28 :: v_dual_mov_b32 v173, v27
	v_dual_mov_b32 v172, v26 :: v_dual_mov_b32 v171, v25
	v_cmpx_lt_f32_e32 v38, v15
	s_cbranch_execz .LBB61_29
; %bb.28:
	v_dual_mov_b32 v37, v38 :: v_dual_mov_b32 v182, v36
	v_dual_mov_b32 v173, v27 :: v_dual_mov_b32 v172, v26
	;; [unrolled: 1-line block ×14, first 2 shown]
	v_mov_b32_e32 v125, v2
	v_dual_mov_b32 v159, v171 :: v_dual_mov_b32 v162, v174
	v_dual_mov_b32 v161, v173 :: v_dual_mov_b32 v164, v176
	;; [unrolled: 1-line block ×6, first 2 shown]
	v_mov_b32_e32 v162, v28
	s_clause 0x2
	scratch_store_b128 off, v[123:126], off offset:96
	scratch_store_b128 off, v[127:130], off offset:112
	;; [unrolled: 1-line block ×3, first 2 shown]
	v_dual_mov_b32 v14, v15 :: v_dual_mov_b32 v15, v38
	v_dual_mov_b32 v43, v164 :: v_dual_mov_b32 v44, v165
	;; [unrolled: 1-line block ×7, first 2 shown]
	s_clause 0x2
	scratch_store_b128 off, v[38:41], off offset:144
	scratch_store_b128 off, v[42:45], off offset:160
	;; [unrolled: 1-line block ×3, first 2 shown]
	v_mov_b32_e32 v163, v29
	v_mov_b32_e32 v27, v26
	v_dual_mov_b32 v43, v128 :: v_dual_mov_b32 v44, v129
	v_dual_mov_b32 v47, v132 :: v_dual_mov_b32 v38, v123
	;; [unrolled: 1-line block ×5, first 2 shown]
	v_mov_b32_e32 v41, v126
	v_dual_mov_b32 v147, v159 :: v_dual_mov_b32 v154, v166
	v_mov_b32_e32 v148, v160
	v_mov_b32_e32 v150, v162
	s_clause 0x2
	scratch_store_b128 off, v[38:41], off offset:48
	scratch_store_b128 off, v[42:45], off offset:64
	;; [unrolled: 1-line block ×3, first 2 shown]
	v_dual_mov_b32 v127, v5 :: v_dual_mov_b32 v152, v164
	v_dual_mov_b32 v153, v165 :: v_dual_mov_b32 v152, v30
	;; [unrolled: 1-line block ×7, first 2 shown]
	v_mov_b32_e32 v41, v126
	v_dual_mov_b32 v128, v6 :: v_dual_mov_b32 v99, v147
	v_dual_mov_b32 v105, v153 :: v_dual_mov_b32 v106, v154
	v_dual_mov_b32 v109, v157 :: v_dual_mov_b32 v110, v158
	v_mov_b32_e32 v105, v31
	v_dual_mov_b32 v103, v151 :: v_dual_mov_b32 v104, v152
	v_dual_mov_b32 v107, v155 :: v_dual_mov_b32 v108, v156
	;; [unrolled: 1-line block ×6, first 2 shown]
	v_mov_b32_e32 v60, v132
	v_dual_mov_b32 v52, v124 :: v_dual_mov_b32 v55, v127
	v_dual_mov_b32 v58, v130 :: v_dual_mov_b32 v61, v133
	v_mov_b32_e32 v57, v7
	v_dual_mov_b32 v53, v125 :: v_dual_mov_b32 v56, v128
	s_clause 0x2
	scratch_store_b128 off, v[38:41], off
	scratch_store_b128 off, v[42:45], off offset:16
	scratch_store_b128 off, v[46:49], off offset:32
	v_dual_mov_b32 v39, v99 :: v_dual_mov_b32 v44, v104
	v_dual_mov_b32 v45, v105 :: v_dual_mov_b32 v50, v110
	;; [unrolled: 1-line block ×6, first 2 shown]
	v_mov_b32_e32 v122, v62
	v_dual_mov_b32 v46, v32 :: v_dual_mov_b32 v111, v51
	v_dual_mov_b32 v121, v61 :: v_dual_mov_b32 v120, v60
	v_dual_mov_b32 v119, v59 :: v_dual_mov_b32 v118, v58
	v_dual_mov_b32 v117, v57 :: v_dual_mov_b32 v116, v56
	v_dual_mov_b32 v115, v55 :: v_dual_mov_b32 v114, v54
	v_dual_mov_b32 v113, v53 :: v_dual_mov_b32 v112, v52
	v_mov_b32_e32 v118, v8
	v_dual_mov_b32 v98, v50 :: v_dual_mov_b32 v97, v49
	v_dual_mov_b32 v96, v48 :: v_dual_mov_b32 v95, v47
	;; [unrolled: 1-line block ×7, first 2 shown]
	v_mov_b32_e32 v135, v111
	v_dual_mov_b32 v3, v2 :: v_dual_mov_b32 v144, v120
	v_dual_mov_b32 v145, v121 :: v_dual_mov_b32 v142, v118
	v_dual_mov_b32 v143, v119 :: v_dual_mov_b32 v140, v116
	v_dual_mov_b32 v141, v117 :: v_dual_mov_b32 v138, v114
	v_dual_mov_b32 v139, v115 :: v_dual_mov_b32 v136, v112
	v_mov_b32_e32 v137, v113
	v_mov_b32_e32 v143, v9
	v_dual_mov_b32 v63, v87 :: v_dual_mov_b32 v70, v94
	v_mov_b32_e32 v64, v88
	v_mov_b32_e32 v66, v90
	v_dual_mov_b32 v68, v92 :: v_dual_mov_b32 v75, v135
	v_dual_mov_b32 v80, v140 :: v_dual_mov_b32 v65, v89
	;; [unrolled: 1-line block ×13, first 2 shown]
.LBB61_29:
	s_or_b32 exec_lo, exec_lo, s2
	v_mov_b32_e32 v1, v16
	s_mov_b32 s2, exec_lo
	v_cmpx_lt_f32_e32 v37, v16
	s_cbranch_execz .LBB61_31
; %bb.30:
	s_clause 0x2
	scratch_load_b128 v[38:41], off, off offset:96
	scratch_load_b128 v[42:45], off, off offset:112
	scratch_load_b128 v[46:49], off, off offset:128
	v_mov_b32_e32 v173, v28
	v_dual_mov_b32 v15, v16 :: v_dual_mov_b32 v16, v37
	v_dual_mov_b32 v1, v37 :: v_dual_mov_b32 v28, v27
	s_waitcnt vmcnt(2)
	v_dual_mov_b32 v124, v39 :: v_dual_mov_b32 v123, v38
	s_waitcnt vmcnt(0)
	v_dual_mov_b32 v134, v49 :: v_dual_mov_b32 v125, v4
	v_dual_mov_b32 v159, v171 :: v_dual_mov_b32 v160, v172
	v_mov_b32_e32 v162, v174
	v_dual_mov_b32 v38, v123 :: v_dual_mov_b32 v39, v124
	v_dual_mov_b32 v161, v173 :: v_dual_mov_b32 v164, v176
	;; [unrolled: 1-line block ×10, first 2 shown]
	v_mov_b32_e32 v126, v41
	s_clause 0x2
	scratch_store_b128 off, v[38:41], off offset:96
	scratch_store_b128 off, v[42:45], off offset:112
	;; [unrolled: 1-line block ×3, first 2 shown]
	v_dual_mov_b32 v43, v164 :: v_dual_mov_b32 v38, v159
	v_dual_mov_b32 v41, v162 :: v_dual_mov_b32 v126, v3
	v_dual_mov_b32 v45, v166 :: v_dual_mov_b32 v44, v165
	v_dual_mov_b32 v47, v168 :: v_dual_mov_b32 v46, v167
	v_dual_mov_b32 v49, v170 :: v_dual_mov_b32 v48, v169
	v_dual_mov_b32 v39, v160 :: v_dual_mov_b32 v40, v161
	v_dual_mov_b32 v163, v29 :: v_dual_mov_b32 v4, v3
	s_clause 0x2
	scratch_store_b128 off, v[38:41], off offset:144
	scratch_store_b128 off, v[42:45], off offset:160
	scratch_store_b128 off, v[46:49], off offset:176
	v_dual_mov_b32 v43, v128 :: v_dual_mov_b32 v46, v131
	v_dual_mov_b32 v49, v134 :: v_dual_mov_b32 v38, v123
	;; [unrolled: 1-line block ×5, first 2 shown]
	v_mov_b32_e32 v41, v126
	v_dual_mov_b32 v147, v159 :: v_dual_mov_b32 v152, v164
	v_dual_mov_b32 v148, v160 :: v_dual_mov_b32 v127, v5
	;; [unrolled: 1-line block ×7, first 2 shown]
	s_clause 0x2
	scratch_store_b128 off, v[38:41], off offset:48
	scratch_store_b128 off, v[42:45], off offset:64
	;; [unrolled: 1-line block ×3, first 2 shown]
	v_dual_mov_b32 v38, v123 :: v_dual_mov_b32 v39, v124
	v_dual_mov_b32 v40, v125 :: v_dual_mov_b32 v41, v126
	v_mov_b32_e32 v42, v127
	v_dual_mov_b32 v128, v6 :: v_dual_mov_b32 v99, v147
	v_dual_mov_b32 v106, v154 :: v_dual_mov_b32 v107, v155
	;; [unrolled: 1-line block ×3, first 2 shown]
	v_mov_b32_e32 v52, v124
	v_dual_mov_b32 v100, v148 :: v_dual_mov_b32 v101, v149
	v_dual_mov_b32 v102, v150 :: v_dual_mov_b32 v103, v151
	;; [unrolled: 1-line block ×6, first 2 shown]
	v_mov_b32_e32 v105, v31
	v_dual_mov_b32 v57, v129 :: v_dual_mov_b32 v58, v130
	v_dual_mov_b32 v53, v125 :: v_dual_mov_b32 v54, v126
	;; [unrolled: 1-line block ×3, first 2 shown]
	v_mov_b32_e32 v57, v7
	s_clause 0x2
	scratch_store_b128 off, v[38:41], off
	scratch_store_b128 off, v[42:45], off offset:16
	scratch_store_b128 off, v[46:49], off offset:32
	v_dual_mov_b32 v39, v99 :: v_dual_mov_b32 v42, v102
	v_dual_mov_b32 v47, v107 :: v_dual_mov_b32 v50, v110
	;; [unrolled: 1-line block ×9, first 2 shown]
	v_mov_b32_e32 v46, v32
	v_dual_mov_b32 v118, v58 :: v_dual_mov_b32 v117, v57
	v_dual_mov_b32 v116, v56 :: v_dual_mov_b32 v115, v55
	;; [unrolled: 1-line block ×3, first 2 shown]
	v_mov_b32_e32 v118, v8
	v_dual_mov_b32 v98, v50 :: v_dual_mov_b32 v95, v47
	v_dual_mov_b32 v97, v49 :: v_dual_mov_b32 v90, v42
	;; [unrolled: 1-line block ×9, first 2 shown]
	v_mov_b32_e32 v89, v41
	v_dual_mov_b32 v143, v9 :: v_dual_mov_b32 v142, v118
	v_dual_mov_b32 v141, v117 :: v_dual_mov_b32 v140, v116
	;; [unrolled: 1-line block ×3, first 2 shown]
	v_mov_b32_e32 v137, v113
	v_dual_mov_b32 v63, v87 :: v_dual_mov_b32 v66, v90
	v_dual_mov_b32 v64, v88 :: v_dual_mov_b32 v75, v135
	;; [unrolled: 1-line block ×13, first 2 shown]
	v_mov_b32_e32 v82, v142
	v_dual_mov_b32 v84, v10 :: v_dual_mov_b32 v85, v11
	v_mov_b32_e32 v86, v12
.LBB61_31:
	s_or_b32 exec_lo, exec_lo, s2
	v_mov_b32_e32 v2, v17
	s_mov_b32 s2, exec_lo
	v_cmpx_lt_f32_e32 v1, v17
	s_cbranch_execz .LBB61_33
; %bb.32:
	s_clause 0x2
	scratch_load_b128 v[37:40], off, off offset:96
	scratch_load_b128 v[41:44], off, off offset:112
	;; [unrolled: 1-line block ×3, first 2 shown]
	v_mov_b32_e32 v174, v29
	v_dual_mov_b32 v2, v1 :: v_dual_mov_b32 v29, v28
	v_mov_b32_e32 v16, v17
	s_waitcnt vmcnt(0)
	v_dual_mov_b32 v74, v48 :: v_dual_mov_b32 v71, v45
	v_dual_mov_b32 v68, v42 :: v_dual_mov_b32 v65, v39
	;; [unrolled: 1-line block ×18, first 2 shown]
	v_mov_b32_e32 v125, v65
	v_mov_b32_e32 v127, v4
	v_dual_mov_b32 v147, v159 :: v_dual_mov_b32 v148, v160
	v_dual_mov_b32 v153, v165 :: v_dual_mov_b32 v156, v168
	;; [unrolled: 1-line block ×3, first 2 shown]
	v_mov_b32_e32 v157, v169
	v_dual_mov_b32 v151, v163 :: v_dual_mov_b32 v154, v166
	v_dual_mov_b32 v149, v161 :: v_dual_mov_b32 v152, v164
	;; [unrolled: 1-line block ×4, first 2 shown]
	v_mov_b32_e32 v38, v124
	v_dual_mov_b32 v152, v30 :: v_dual_mov_b32 v45, v131
	v_dual_mov_b32 v46, v132 :: v_dual_mov_b32 v47, v133
	;; [unrolled: 1-line block ×13, first 2 shown]
	s_clause 0x2
	scratch_store_b128 off, v[37:40], off
	scratch_store_b128 off, v[41:44], off offset:16
	scratch_store_b128 off, v[45:48], off offset:32
	v_dual_mov_b32 v57, v129 :: v_dual_mov_b32 v60, v132
	v_dual_mov_b32 v55, v127 :: v_dual_mov_b32 v58, v130
	v_mov_b32_e32 v61, v133
	v_mov_b32_e32 v57, v7
	v_dual_mov_b32 v39, v99 :: v_dual_mov_b32 v44, v104
	v_dual_mov_b32 v17, v1 :: v_dual_mov_b32 v52, v124
	;; [unrolled: 1-line block ×8, first 2 shown]
	v_mov_b32_e32 v122, v62
	v_dual_mov_b32 v46, v32 :: v_dual_mov_b32 v119, v59
	v_dual_mov_b32 v118, v58 :: v_dual_mov_b32 v111, v51
	;; [unrolled: 1-line block ×6, first 2 shown]
	v_mov_b32_e32 v112, v52
	v_dual_mov_b32 v98, v50 :: v_dual_mov_b32 v97, v49
	v_dual_mov_b32 v96, v48 :: v_dual_mov_b32 v95, v47
	;; [unrolled: 1-line block ×8, first 2 shown]
	v_mov_b32_e32 v135, v111
	v_dual_mov_b32 v145, v121 :: v_dual_mov_b32 v144, v120
	v_dual_mov_b32 v141, v117 :: v_dual_mov_b32 v140, v116
	v_mov_b32_e32 v143, v9
	v_dual_mov_b32 v139, v115 :: v_dual_mov_b32 v138, v114
	v_dual_mov_b32 v137, v113 :: v_dual_mov_b32 v136, v112
	s_clause 0x5
	scratch_store_b128 off, v[63:66], off offset:48
	scratch_store_b128 off, v[67:70], off offset:64
	;; [unrolled: 1-line block ×6, first 2 shown]
	v_dual_mov_b32 v63, v87 :: v_dual_mov_b32 v68, v92
	v_mov_b32_e32 v64, v88
	v_dual_mov_b32 v66, v90 :: v_dual_mov_b32 v75, v135
	v_dual_mov_b32 v78, v138 :: v_dual_mov_b32 v67, v91
	;; [unrolled: 1-line block ×14, first 2 shown]
.LBB61_33:
	s_or_b32 exec_lo, exec_lo, s2
	v_mov_b32_e32 v1, v18
	s_mov_b32 s2, exec_lo
	v_cmpx_lt_f32_e32 v2, v18
	s_cbranch_execz .LBB61_35
; %bb.34:
	s_clause 0x2
	scratch_load_b128 v[37:40], off, off offset:144
	scratch_load_b128 v[41:44], off, off offset:160
	scratch_load_b128 v[45:48], off, off offset:176
	s_waitcnt vmcnt(0)
	v_dual_mov_b32 v17, v18 :: v_dual_mov_b32 v170, v48
	v_dual_mov_b32 v169, v47 :: v_dual_mov_b32 v162, v40
	;; [unrolled: 1-line block ×6, first 2 shown]
	s_clause 0x2
	scratch_load_b128 v[37:40], off, off offset:48
	scratch_load_b128 v[41:44], off, off offset:64
	;; [unrolled: 1-line block ×3, first 2 shown]
	v_dual_mov_b32 v163, v30 :: v_dual_mov_b32 v30, v29
	s_waitcnt vmcnt(0)
	v_mov_b32_e32 v74, v48
	v_dual_mov_b32 v66, v40 :: v_dual_mov_b32 v63, v37
	v_dual_mov_b32 v73, v47 :: v_dual_mov_b32 v64, v38
	;; [unrolled: 1-line block ×5, first 2 shown]
	v_mov_b32_e32 v69, v43
	v_dual_mov_b32 v67, v6 :: v_dual_mov_b32 v148, v160
	v_dual_mov_b32 v134, v74 :: v_dual_mov_b32 v133, v73
	;; [unrolled: 1-line block ×12, first 2 shown]
	v_mov_b32_e32 v128, v5
	v_dual_mov_b32 v152, v29 :: v_dual_mov_b32 v51, v123
	v_dual_mov_b32 v99, v147 :: v_dual_mov_b32 v108, v156
	;; [unrolled: 1-line block ×13, first 2 shown]
	v_mov_b32_e32 v57, v7
	v_dual_mov_b32 v39, v99 :: v_dual_mov_b32 v40, v100
	v_dual_mov_b32 v49, v109 :: v_dual_mov_b32 v50, v110
	s_delay_alu instid0(VALU_DEP_4)
	v_dual_mov_b32 v122, v62 :: v_dual_mov_b32 v121, v61
	v_dual_mov_b32 v43, v103 :: v_dual_mov_b32 v44, v104
	;; [unrolled: 1-line block ×10, first 2 shown]
	v_mov_b32_e32 v46, v32
	v_mov_b32_e32 v118, v8
	v_dual_mov_b32 v98, v50 :: v_dual_mov_b32 v93, v45
	v_dual_mov_b32 v97, v49 :: v_dual_mov_b32 v146, v122
	;; [unrolled: 1-line block ×13, first 2 shown]
	v_mov_b32_e32 v137, v113
	s_clause 0x2
	scratch_store_b128 off, v[63:66], off
	scratch_store_b128 off, v[67:70], off offset:16
	scratch_store_b128 off, v[71:74], off offset:32
	v_dual_mov_b32 v63, v87 :: v_dual_mov_b32 v66, v90
	v_dual_mov_b32 v75, v135 :: v_dual_mov_b32 v78, v138
	v_dual_mov_b32 v69, v93 :: v_dual_mov_b32 v72, v96
	v_dual_mov_b32 v71, v95 :: v_dual_mov_b32 v74, v98
	v_dual_mov_b32 v73, v97 :: v_dual_mov_b32 v76, v136
	v_dual_mov_b32 v81, v141 :: v_dual_mov_b32 v84, v144
	v_dual_mov_b32 v83, v143 :: v_dual_mov_b32 v86, v146
	v_dual_mov_b32 v85, v145 :: v_dual_mov_b32 v72, v34
	v_dual_mov_b32 v1, v2 :: v_dual_mov_b32 v64, v88
	v_dual_mov_b32 v65, v89 :: v_dual_mov_b32 v68, v92
	v_dual_mov_b32 v67, v91 :: v_dual_mov_b32 v70, v94
	v_dual_mov_b32 v77, v137 :: v_dual_mov_b32 v80, v140
	v_dual_mov_b32 v79, v139 :: v_dual_mov_b32 v82, v142
	v_dual_mov_b32 v73, v35 :: v_dual_mov_b32 v74, v36
	v_dual_mov_b32 v84, v10 :: v_dual_mov_b32 v85, v11
	v_mov_b32_e32 v86, v12
	v_mov_b32_e32 v6, v5
.LBB61_35:
	s_or_b32 exec_lo, exec_lo, s2
	v_mov_b32_e32 v2, v19
	s_mov_b32 s2, exec_lo
	v_cmpx_lt_f32_e32 v1, v19
	s_cbranch_execz .LBB61_37
; %bb.36:
	s_clause 0x2
	scratch_load_b128 v[37:40], off, off
	scratch_load_b128 v[41:44], off, off offset:16
	scratch_load_b128 v[45:48], off, off offset:32
	v_mov_b32_e32 v164, v31
	v_dual_mov_b32 v2, v1 :: v_dual_mov_b32 v31, v30
	v_mov_b32_e32 v18, v19
	s_waitcnt vmcnt(0)
	v_dual_mov_b32 v134, v48 :: v_dual_mov_b32 v133, v47
	v_dual_mov_b32 v130, v44 :: v_dual_mov_b32 v127, v41
	v_dual_mov_b32 v124, v38 :: v_dual_mov_b32 v123, v37
	v_dual_mov_b32 v132, v46 :: v_dual_mov_b32 v129, v43
	v_dual_mov_b32 v131, v45 :: v_dual_mov_b32 v128, v7
	v_dual_mov_b32 v126, v40 :: v_dual_mov_b32 v125, v39
	v_dual_mov_b32 v99, v159 :: v_dual_mov_b32 v100, v160
	v_dual_mov_b32 v101, v161 :: v_dual_mov_b32 v110, v170
	v_dual_mov_b32 v51, v123 :: v_dual_mov_b32 v104, v164
	v_dual_mov_b32 v105, v165 :: v_dual_mov_b32 v56, v128
	v_dual_mov_b32 v57, v129 :: v_dual_mov_b32 v102, v162
	v_dual_mov_b32 v103, v163 :: v_dual_mov_b32 v106, v166
	v_dual_mov_b32 v107, v167 :: v_dual_mov_b32 v108, v168
	v_dual_mov_b32 v109, v169 :: v_dual_mov_b32 v52, v124
	v_dual_mov_b32 v53, v125 :: v_dual_mov_b32 v54, v126
	v_dual_mov_b32 v55, v127 :: v_dual_mov_b32 v58, v130
	v_dual_mov_b32 v59, v131 :: v_dual_mov_b32 v60, v132
	v_mov_b32_e32 v61, v133
	v_mov_b32_e32 v57, v6
	;; [unrolled: 1-line block ×3, first 2 shown]
	v_dual_mov_b32 v62, v134 :: v_dual_mov_b32 v39, v99
	v_dual_mov_b32 v147, v159 :: v_dual_mov_b32 v148, v160
	s_delay_alu instid0(VALU_DEP_2)
	v_dual_mov_b32 v149, v161 :: v_dual_mov_b32 v122, v62
	v_dual_mov_b32 v120, v60 :: v_dual_mov_b32 v49, v109
	v_mov_b32_e32 v50, v110
	v_dual_mov_b32 v40, v100 :: v_dual_mov_b32 v119, v59
	v_dual_mov_b32 v118, v58 :: v_dual_mov_b32 v115, v55
	;; [unrolled: 1-line block ×6, first 2 shown]
	v_mov_b32_e32 v121, v61
	v_dual_mov_b32 v117, v57 :: v_dual_mov_b32 v116, v56
	v_dual_mov_b32 v113, v53 :: v_dual_mov_b32 v112, v52
	;; [unrolled: 1-line block ×3, first 2 shown]
	v_mov_b32_e32 v46, v32
	v_mov_b32_e32 v118, v8
	v_dual_mov_b32 v98, v50 :: v_dual_mov_b32 v95, v47
	v_dual_mov_b32 v97, v49 :: v_dual_mov_b32 v146, v122
	v_dual_mov_b32 v143, v119 :: v_dual_mov_b32 v138, v114
	v_dual_mov_b32 v135, v111 :: v_dual_mov_b32 v90, v42
	v_mov_b32_e32 v87, v39
	v_dual_mov_b32 v143, v9 :: v_dual_mov_b32 v96, v48
	v_dual_mov_b32 v93, v45 :: v_dual_mov_b32 v88, v40
	;; [unrolled: 1-line block ×8, first 2 shown]
	v_mov_b32_e32 v137, v113
	v_dual_mov_b32 v75, v135 :: v_dual_mov_b32 v78, v138
	v_dual_mov_b32 v63, v87 :: v_dual_mov_b32 v66, v90
	;; [unrolled: 1-line block ×14, first 2 shown]
	v_mov_b32_e32 v74, v36
	v_dual_mov_b32 v84, v10 :: v_dual_mov_b32 v85, v11
	v_dual_mov_b32 v150, v162 :: v_dual_mov_b32 v151, v163
	;; [unrolled: 1-line block ×5, first 2 shown]
	v_mov_b32_e32 v158, v170
	v_mov_b32_e32 v7, v6
.LBB61_37:
	s_or_b32 exec_lo, exec_lo, s2
	v_mov_b32_e32 v1, v20
	s_mov_b32 s2, exec_lo
	v_cmpx_lt_f32_e32 v2, v20
	s_cbranch_execz .LBB61_39
; %bb.38:
	v_mov_b32_e32 v129, v8
	v_mov_b32_e32 v153, v32
	v_dual_mov_b32 v111, v123 :: v_dual_mov_b32 v114, v126
	v_dual_mov_b32 v39, v147 :: v_dual_mov_b32 v40, v148
	;; [unrolled: 1-line block ×10, first 2 shown]
	v_mov_b32_e32 v120, v132
	v_dual_mov_b32 v116, v128 :: v_dual_mov_b32 v121, v133
	v_mov_b32_e32 v46, v31
	v_dual_mov_b32 v119, v131 :: v_dual_mov_b32 v98, v50
	v_dual_mov_b32 v118, v7 :: v_dual_mov_b32 v97, v49
	;; [unrolled: 1-line block ×13, first 2 shown]
	v_mov_b32_e32 v95, v33
	v_dual_mov_b32 v19, v20 :: v_dual_mov_b32 v20, v2
	v_mov_b32_e32 v143, v9
	v_dual_mov_b32 v63, v87 :: v_dual_mov_b32 v68, v92
	v_dual_mov_b32 v64, v88 :: v_dual_mov_b32 v75, v135
	v_dual_mov_b32 v80, v140 :: v_dual_mov_b32 v67, v91
	v_dual_mov_b32 v72, v96 :: v_dual_mov_b32 v69, v93
	v_dual_mov_b32 v74, v98 :: v_dual_mov_b32 v73, v97
	v_dual_mov_b32 v78, v138 :: v_dual_mov_b32 v79, v139
	v_dual_mov_b32 v84, v144 :: v_dual_mov_b32 v81, v141
	v_dual_mov_b32 v86, v146 :: v_dual_mov_b32 v85, v145
	v_dual_mov_b32 v74, v36 :: v_dual_mov_b32 v51, v123
	v_dual_mov_b32 v52, v124 :: v_dual_mov_b32 v99, v147
	v_dual_mov_b32 v100, v148 :: v_dual_mov_b32 v65, v89
	v_mov_b32_e32 v70, v94
	v_dual_mov_b32 v66, v90 :: v_dual_mov_b32 v71, v95
	v_dual_mov_b32 v76, v136 :: v_dual_mov_b32 v77, v137
	;; [unrolled: 1-line block ×15, first 2 shown]
	v_mov_b32_e32 v110, v158
	v_dual_mov_b32 v1, v2 :: v_dual_mov_b32 v8, v7
	v_mov_b32_e32 v32, v31
.LBB61_39:
	s_or_b32 exec_lo, exec_lo, s2
	v_mov_b32_e32 v2, v21
	s_mov_b32 s2, exec_lo
	v_cmpx_lt_f32_e32 v1, v21
	s_cbranch_execz .LBB61_41
; %bb.40:
	v_mov_b32_e32 v58, v9
	v_mov_b32_e32 v106, v33
	v_dual_mov_b32 v146, v62 :: v_dual_mov_b32 v143, v59
	v_mov_b32_e32 v87, v99
	s_delay_alu instid0(VALU_DEP_3)
	v_dual_mov_b32 v141, v57 :: v_dual_mov_b32 v94, v106
	v_dual_mov_b32 v95, v107 :: v_dual_mov_b32 v140, v56
	;; [unrolled: 1-line block ×6, first 2 shown]
	v_mov_b32_e32 v95, v32
	v_dual_mov_b32 v143, v8 :: v_dual_mov_b32 v20, v21
	v_dual_mov_b32 v88, v100 :: v_dual_mov_b32 v89, v101
	;; [unrolled: 1-line block ×7, first 2 shown]
	s_delay_alu instid0(VALU_DEP_2)
	v_dual_mov_b32 v75, v135 :: v_dual_mov_b32 v76, v136
	v_dual_mov_b32 v122, v62 :: v_dual_mov_b32 v117, v57
	;; [unrolled: 1-line block ×25, first 2 shown]
	v_mov_b32_e32 v48, v108
	v_dual_mov_b32 v50, v110 :: v_dual_mov_b32 v9, v8
	v_dual_mov_b32 v2, v1 :: v_dual_mov_b32 v33, v32
.LBB61_41:
	s_or_b32 exec_lo, exec_lo, s2
	v_mov_b32_e32 v3, v22
	s_mov_b32 s2, exec_lo
	s_delay_alu instid0(VALU_DEP_2)
	v_cmpx_lt_f32_e32 v2, v22
	s_cbranch_execz .LBB61_43
; %bb.42:
	v_mov_b32_e32 v47, v34
	v_mov_b32_e32 v74, v50
	v_dual_mov_b32 v21, v22 :: v_dual_mov_b32 v72, v48
	v_dual_mov_b32 v72, v33 :: v_dual_mov_b32 v119, v10
	;; [unrolled: 1-line block ×3, first 2 shown]
	v_mov_b32_e32 v78, v114
	v_dual_mov_b32 v22, v2 :: v_dual_mov_b32 v73, v49
	v_dual_mov_b32 v81, v117 :: v_dual_mov_b32 v84, v120
	;; [unrolled: 1-line block ×7, first 2 shown]
	v_mov_b32_e32 v69, v45
	v_dual_mov_b32 v67, v43 :: v_dual_mov_b32 v66, v42
	v_dual_mov_b32 v65, v41 :: v_dual_mov_b32 v64, v40
	;; [unrolled: 1-line block ×18, first 2 shown]
	v_mov_b32_e32 v34, v33
.LBB61_43:
	s_or_b32 exec_lo, exec_lo, s2
	v_mov_b32_e32 v1, v23
	s_mov_b32 s2, exec_lo
	v_cmpx_lt_f32_e32 v3, v23
	s_cbranch_execz .LBB61_45
; %bb.44:
	v_dual_mov_b32 v144, v11 :: v_dual_mov_b32 v145, v10
	v_dual_mov_b32 v96, v35 :: v_dual_mov_b32 v97, v34
	v_mov_b32_e32 v146, v12
	v_mov_b32_e32 v22, v23
	v_dual_mov_b32 v23, v3 :: v_dual_mov_b32 v98, v36
	v_dual_mov_b32 v75, v135 :: v_dual_mov_b32 v84, v144
	;; [unrolled: 1-line block ×3, first 2 shown]
	v_mov_b32_e32 v79, v139
	v_dual_mov_b32 v77, v137 :: v_dual_mov_b32 v78, v138
	v_dual_mov_b32 v81, v141 :: v_dual_mov_b32 v80, v140
	;; [unrolled: 1-line block ×10, first 2 shown]
.LBB61_45:
	s_or_b32 exec_lo, exec_lo, s2
	s_delay_alu instid0(VALU_DEP_1)
	v_cmp_lt_f32_e32 vcc_lo, v1, v24
	v_mov_b32_e32 v42, v78
	v_cmp_lt_f32_e64 s2, v13, v14
	v_dual_mov_b32 v40, v76 :: v_dual_mov_b32 v41, v77
	v_dual_cndmask_b32 v12, v24, v1 :: v_dual_mov_b32 v43, v79
	v_dual_cndmask_b32 v23, v23, v24 :: v_dual_cndmask_b32 v50, v86, v85
	s_delay_alu instid0(VALU_DEP_2) | instskip(SKIP_2) | instid1(VALU_DEP_3)
	v_dual_mov_b32 v39, v75 :: v_dual_mov_b32 v24, v12
	v_dual_cndmask_b32 v49, v85, v86 :: v_dual_mov_b32 v44, v80
	v_dual_cndmask_b32 v61, v73, v74 :: v_dual_cndmask_b32 v62, v74, v73
	v_dual_mov_b32 v38, v24 :: v_dual_mov_b32 v35, v21
	v_dual_mov_b32 v37, v23 :: v_dual_mov_b32 v36, v22
	;; [unrolled: 1-line block ×13, first 2 shown]
	s_and_saveexec_b32 s3, s2
	s_delay_alu instid0(SALU_CYCLE_1)
	s_xor_b32 s2, exec_lo, s3
	s_cbranch_execz .LBB61_47
; %bb.46:
	v_dual_mov_b32 v1, v14 :: v_dual_mov_b32 v2, v13
	v_dual_mov_b32 v3, v15 :: v_dual_mov_b32 v4, v16
	;; [unrolled: 1-line block ×6, first 2 shown]
	s_delay_alu instid0(VALU_DEP_2) | instskip(NEXT) | instid1(VALU_DEP_2)
	v_dual_mov_b32 v38, v12 :: v_dual_mov_b32 v35, v9
	v_dual_mov_b32 v36, v10 :: v_dual_mov_b32 v37, v11
	;; [unrolled: 1-line block ×16, first 2 shown]
.LBB61_47:
	s_or_b32 exec_lo, exec_lo, s2
	v_dual_mov_b32 v13, v29 :: v_dual_mov_b32 v122, v50
	v_dual_mov_b32 v15, v39 :: v_dual_mov_b32 v16, v40
	;; [unrolled: 1-line block ×30, first 2 shown]
	v_mov_b32_e32 v135, v39
	s_clause 0x2
	scratch_store_b128 off, v[39:42], off offset:48
	scratch_store_b128 off, v[43:46], off offset:64
	;; [unrolled: 1-line block ×3, first 2 shown]
	v_dual_mov_b32 v1, v51 :: v_dual_mov_b32 v4, v54
	v_dual_mov_b32 v11, v61 :: v_dual_mov_b32 v74, v62
	;; [unrolled: 1-line block ×34, first 2 shown]
	v_mov_b32_e32 v159, v51
	s_mov_b32 s2, exec_lo
	v_dual_mov_b32 v73, v61 :: v_dual_mov_b32 v72, v60
	v_mov_b32_e32 v2, v52
	s_clause 0x2
	scratch_store_b128 off, v[51:54], off
	scratch_store_b128 off, v[55:58], off offset:16
	scratch_store_b128 off, v[59:62], off offset:32
	v_dual_mov_b32 v182, v50 :: v_dual_mov_b32 v181, v49
	v_dual_mov_b32 v180, v48 :: v_dual_mov_b32 v179, v47
	;; [unrolled: 1-line block ×6, first 2 shown]
	v_cmpx_lt_f32_e32 v14, v29
	s_cbranch_execz .LBB61_49
; %bb.48:
	v_dual_mov_b32 v170, v62 :: v_dual_mov_b32 v169, v61
	v_dual_mov_b32 v162, v54 :: v_dual_mov_b32 v161, v53
	;; [unrolled: 1-line block ×7, first 2 shown]
	s_clause 0x2
	scratch_store_b128 off, v[159:162], off
	scratch_store_b128 off, v[163:166], off offset:16
	scratch_store_b128 off, v[167:170], off offset:32
	v_dual_mov_b32 v182, v50 :: v_dual_mov_b32 v181, v49
	v_dual_mov_b32 v172, v40 :: v_dual_mov_b32 v171, v39
	;; [unrolled: 1-line block ×8, first 2 shown]
	s_delay_alu instid0(VALU_DEP_3)
	v_dual_mov_b32 v140, v176 :: v_dual_mov_b32 v141, v177
	v_dual_mov_b32 v138, v174 :: v_dual_mov_b32 v139, v175
	;; [unrolled: 1-line block ×3, first 2 shown]
	v_mov_b32_e32 v146, v182
	v_dual_mov_b32 v136, v172 :: v_dual_mov_b32 v137, v173
	v_mov_b32_e32 v138, v42
	v_dual_mov_b32 v142, v178 :: v_dual_mov_b32 v143, v179
	v_mov_b32_e32 v53, v52
	v_mov_b32_e32 v139, v43
	;; [unrolled: 1-line block ×3, first 2 shown]
	v_dual_mov_b32 v147, v159 :: v_dual_mov_b32 v148, v160
	v_mov_b32_e32 v151, v163
	v_dual_mov_b32 v149, v161 :: v_dual_mov_b32 v150, v162
	v_dual_mov_b32 v153, v165 :: v_dual_mov_b32 v152, v164
	;; [unrolled: 1-line block ×16, first 2 shown]
	v_mov_b32_e32 v122, v146
	v_dual_mov_b32 v114, v138 :: v_dual_mov_b32 v117, v141
	v_dual_mov_b32 v116, v140 :: v_dual_mov_b32 v119, v143
	;; [unrolled: 1-line block ×14, first 2 shown]
	v_mov_b32_e32 v82, v118
	v_dual_mov_b32 v76, v112 :: v_dual_mov_b32 v81, v117
	v_dual_mov_b32 v80, v116 :: v_dual_mov_b32 v85, v121
	;; [unrolled: 1-line block ×6, first 2 shown]
	v_mov_b32_e32 v81, v45
	v_dual_mov_b32 v65, v89 :: v_dual_mov_b32 v72, v96
	v_mov_b32_e32 v29, v14
	s_delay_alu instid0(VALU_DEP_3)
	v_dual_mov_b32 v110, v86 :: v_dual_mov_b32 v105, v81
	v_dual_mov_b32 v70, v94 :: v_dual_mov_b32 v73, v97
	;; [unrolled: 1-line block ×11, first 2 shown]
	v_mov_b32_e32 v106, v46
	s_clause 0x2
	scratch_store_b128 off, v[1:4], off offset:48
	scratch_store_b128 off, v[5:8], off offset:64
	;; [unrolled: 1-line block ×3, first 2 shown]
	v_dual_mov_b32 v100, v76 :: v_dual_mov_b32 v1, v63
	v_dual_mov_b32 v10, v72 :: v_dual_mov_b32 v3, v65
	;; [unrolled: 1-line block ×16, first 2 shown]
	v_mov_b32_e32 v26, v50
.LBB61_49:
	s_or_b32 exec_lo, exec_lo, s2
	v_mov_b32_e32 v14, v30
	s_mov_b32 s2, exec_lo
	v_cmpx_lt_f32_e32 v13, v30
	s_cbranch_execz .LBB61_51
; %bb.50:
	s_clause 0x2
	scratch_load_b128 v[1:4], off, off
	scratch_load_b128 v[5:8], off, off offset:16
	scratch_load_b128 v[9:12], off, off offset:32
	v_mov_b32_e32 v161, v54
	v_dual_mov_b32 v29, v30 :: v_dual_mov_b32 v30, v13
	v_mov_b32_e32 v54, v53
	s_waitcnt vmcnt(0)
	v_dual_mov_b32 v170, v12 :: v_dual_mov_b32 v169, v11
	v_mov_b32_e32 v162, v4
	v_dual_mov_b32 v162, v53 :: v_dual_mov_b32 v173, v42
	v_dual_mov_b32 v160, v2 :: v_dual_mov_b32 v135, v171
	;; [unrolled: 1-line block ×4, first 2 shown]
	v_mov_b32_e32 v165, v7
	s_delay_alu instid0(VALU_DEP_3)
	v_dual_mov_b32 v1, v159 :: v_dual_mov_b32 v2, v160
	v_dual_mov_b32 v136, v172 :: v_dual_mov_b32 v3, v161
	v_mov_b32_e32 v138, v174
	v_dual_mov_b32 v164, v6 :: v_dual_mov_b32 v163, v5
	s_clause 0x2
	scratch_store_b128 off, v[1:4], off
	scratch_store_b128 off, v[5:8], off offset:16
	scratch_store_b128 off, v[9:12], off offset:32
	v_dual_mov_b32 v137, v173 :: v_dual_mov_b32 v140, v176
	v_dual_mov_b32 v138, v41 :: v_dual_mov_b32 v147, v159
	;; [unrolled: 1-line block ×12, first 2 shown]
	v_mov_b32_e32 v139, v43
	v_dual_mov_b32 v123, v147 :: v_dual_mov_b32 v126, v150
	v_dual_mov_b32 v124, v148 :: v_dual_mov_b32 v111, v135
	v_dual_mov_b32 v112, v136 :: v_dual_mov_b32 v125, v149
	s_delay_alu instid0(VALU_DEP_4)
	v_dual_mov_b32 v128, v152 :: v_dual_mov_b32 v115, v139
	v_dual_mov_b32 v116, v140 :: v_dual_mov_b32 v121, v145
	;; [unrolled: 1-line block ×6, first 2 shown]
	v_mov_b32_e32 v128, v56
	v_dual_mov_b32 v116, v44 :: v_dual_mov_b32 v87, v123
	v_dual_mov_b32 v113, v137 :: v_dual_mov_b32 v114, v138
	;; [unrolled: 1-line block ×17, first 2 shown]
	v_mov_b32_e32 v81, v45
	v_dual_mov_b32 v7, v141 :: v_dual_mov_b32 v8, v142
	v_dual_mov_b32 v9, v143 :: v_dual_mov_b32 v10, v144
	;; [unrolled: 1-line block ×5, first 2 shown]
	v_mov_b32_e32 v64, v88
	v_dual_mov_b32 v110, v86 :: v_dual_mov_b32 v109, v85
	v_dual_mov_b32 v65, v89 :: v_dual_mov_b32 v68, v92
	;; [unrolled: 1-line block ×10, first 2 shown]
	v_mov_b32_e32 v102, v78
	v_dual_mov_b32 v42, v41 :: v_dual_mov_b32 v103, v79
	v_mov_b32_e32 v100, v76
	v_mov_b32_e32 v106, v46
	s_clause 0x2
	scratch_store_b128 off, v[1:4], off offset:48
	scratch_store_b128 off, v[5:8], off offset:64
	;; [unrolled: 1-line block ×3, first 2 shown]
	v_mov_b32_e32 v1, v63
	v_mov_b32_e32 v5, v67
	v_dual_mov_b32 v3, v65 :: v_dual_mov_b32 v12, v74
	v_dual_mov_b32 v15, v99 :: v_dual_mov_b32 v4, v66
	;; [unrolled: 1-line block ×14, first 2 shown]
	v_mov_b32_e32 v24, v48
	v_mov_b32_e32 v26, v50
.LBB61_51:
	s_or_b32 exec_lo, exec_lo, s2
	v_mov_b32_e32 v13, v31
	s_mov_b32 s2, exec_lo
	v_cmpx_lt_f32_e32 v14, v31
	s_cbranch_execz .LBB61_53
; %bb.52:
	s_clause 0x2
	scratch_load_b128 v[1:4], off, off
	scratch_load_b128 v[5:8], off, off offset:16
	scratch_load_b128 v[9:12], off, off offset:32
	v_dual_mov_b32 v30, v31 :: v_dual_mov_b32 v31, v14
	v_dual_mov_b32 v13, v14 :: v_dual_mov_b32 v162, v55
	v_mov_b32_e32 v55, v54
	s_waitcnt vmcnt(2)
	v_dual_mov_b32 v161, v3 :: v_dual_mov_b32 v160, v2
	s_waitcnt vmcnt(0)
	v_dual_mov_b32 v159, v1 :: v_dual_mov_b32 v170, v12
	v_dual_mov_b32 v169, v11 :: v_dual_mov_b32 v168, v10
	;; [unrolled: 1-line block ×8, first 2 shown]
	s_delay_alu instid0(VALU_DEP_4)
	v_dual_mov_b32 v151, v163 :: v_dual_mov_b32 v156, v168
	v_dual_mov_b32 v157, v169 :: v_dual_mov_b32 v136, v172
	;; [unrolled: 1-line block ×8, first 2 shown]
	v_mov_b32_e32 v145, v181
	v_mov_b32_e32 v139, v42
	;; [unrolled: 1-line block ×3, first 2 shown]
	v_dual_mov_b32 v146, v182 :: v_dual_mov_b32 v123, v147
	v_dual_mov_b32 v111, v135 :: v_dual_mov_b32 v112, v136
	;; [unrolled: 1-line block ×3, first 2 shown]
	s_delay_alu instid0(VALU_DEP_4)
	v_dual_mov_b32 v124, v148 :: v_dual_mov_b32 v127, v151
	v_dual_mov_b32 v128, v152 :: v_dual_mov_b32 v131, v155
	;; [unrolled: 1-line block ×9, first 2 shown]
	v_mov_b32_e32 v120, v144
	v_dual_mov_b32 v116, v44 :: v_dual_mov_b32 v87, v123
	v_mov_b32_e32 v114, v138
	v_dual_mov_b32 v98, v134 :: v_dual_mov_b32 v75, v111
	v_dual_mov_b32 v88, v124 :: v_dual_mov_b32 v89, v125
	;; [unrolled: 1-line block ×3, first 2 shown]
	v_mov_b32_e32 v86, v122
	v_dual_mov_b32 v90, v126 :: v_dual_mov_b32 v91, v127
	v_dual_mov_b32 v92, v128 :: v_dual_mov_b32 v93, v129
	;; [unrolled: 1-line block ×8, first 2 shown]
	v_mov_b32_e32 v79, v115
	v_mov_b32_e32 v81, v45
	v_dual_mov_b32 v63, v87 :: v_dual_mov_b32 v66, v90
	v_dual_mov_b32 v64, v88 :: v_dual_mov_b32 v73, v97
	;; [unrolled: 1-line block ×9, first 2 shown]
	v_mov_b32_e32 v108, v84
	v_dual_mov_b32 v106, v46 :: v_dual_mov_b32 v1, v63
	v_dual_mov_b32 v105, v81 :: v_dual_mov_b32 v104, v80
	;; [unrolled: 1-line block ×19, first 2 shown]
	v_mov_b32_e32 v26, v50
	v_mov_b32_e32 v43, v42
	s_clause 0x2
	scratch_store_b128 off, v[171:174], off offset:48
	scratch_store_b128 off, v[175:178], off offset:64
	;; [unrolled: 1-line block ×3, first 2 shown]
.LBB61_53:
	s_or_b32 exec_lo, exec_lo, s2
	v_mov_b32_e32 v14, v32
	s_mov_b32 s2, exec_lo
	v_cmpx_lt_f32_e32 v13, v32
	s_cbranch_execz .LBB61_55
; %bb.54:
	s_clause 0x2
	scratch_load_b128 v[1:4], off, off offset:48
	scratch_load_b128 v[5:8], off, off offset:64
	;; [unrolled: 1-line block ×3, first 2 shown]
	v_dual_mov_b32 v163, v56 :: v_dual_mov_b32 v14, v13
	v_dual_mov_b32 v56, v55 :: v_dual_mov_b32 v31, v32
	s_waitcnt vmcnt(2)
	v_dual_mov_b32 v138, v4 :: v_dual_mov_b32 v137, v3
	s_waitcnt vmcnt(0)
	v_dual_mov_b32 v146, v12 :: v_dual_mov_b32 v145, v11
	v_dual_mov_b32 v136, v2 :: v_dual_mov_b32 v135, v1
	;; [unrolled: 1-line block ×17, first 2 shown]
	v_mov_b32_e32 v120, v144
	v_mov_b32_e32 v116, v43
	v_dual_mov_b32 v87, v123 :: v_dual_mov_b32 v88, v124
	v_dual_mov_b32 v89, v125 :: v_dual_mov_b32 v98, v134
	;; [unrolled: 1-line block ×12, first 2 shown]
	v_mov_b32_e32 v79, v115
	v_mov_b32_e32 v81, v45
	v_dual_mov_b32 v63, v87 :: v_dual_mov_b32 v66, v90
	v_dual_mov_b32 v64, v88 :: v_dual_mov_b32 v73, v97
	;; [unrolled: 1-line block ×8, first 2 shown]
	v_mov_b32_e32 v70, v58
	v_dual_mov_b32 v106, v46 :: v_dual_mov_b32 v65, v89
	v_dual_mov_b32 v68, v92 :: v_dual_mov_b32 v105, v81
	;; [unrolled: 1-line block ×4, first 2 shown]
	v_mov_b32_e32 v100, v76
	v_dual_mov_b32 v32, v13 :: v_dual_mov_b32 v1, v63
	v_dual_mov_b32 v12, v74 :: v_dual_mov_b32 v15, v99
	v_mov_b32_e32 v26, v110
	v_dual_mov_b32 v8, v70 :: v_dual_mov_b32 v9, v71
	v_dual_mov_b32 v10, v72 :: v_dual_mov_b32 v11, v73
	;; [unrolled: 1-line block ×20, first 2 shown]
	v_mov_b32_e32 v44, v43
.LBB61_55:
	s_or_b32 exec_lo, exec_lo, s2
	v_mov_b32_e32 v13, v33
	s_mov_b32 s2, exec_lo
	v_cmpx_lt_f32_e32 v14, v33
	s_cbranch_execz .LBB61_57
; %bb.56:
	v_mov_b32_e32 v140, v45
	v_dual_mov_b32 v152, v57 :: v_dual_mov_b32 v75, v135
	v_dual_mov_b32 v87, v147 :: v_dual_mov_b32 v90, v150
	;; [unrolled: 1-line block ×3, first 2 shown]
	s_delay_alu instid0(VALU_DEP_3)
	v_dual_mov_b32 v92, v152 :: v_dual_mov_b32 v93, v153
	v_dual_mov_b32 v76, v136 :: v_dual_mov_b32 v79, v139
	;; [unrolled: 1-line block ×6, first 2 shown]
	v_mov_b32_e32 v93, v56
	v_dual_mov_b32 v84, v144 :: v_dual_mov_b32 v63, v87
	v_dual_mov_b32 v78, v138 :: v_dual_mov_b32 v81, v141
	;; [unrolled: 1-line block ×5, first 2 shown]
	s_delay_alu instid0(VALU_DEP_3) | instskip(SKIP_1) | instid1(VALU_DEP_4)
	v_dual_mov_b32 v110, v86 :: v_dual_mov_b32 v109, v85
	v_dual_mov_b32 v100, v76 :: v_dual_mov_b32 v99, v75
	;; [unrolled: 1-line block ×11, first 2 shown]
	v_mov_b32_e32 v106, v46
	v_dual_mov_b32 v70, v58 :: v_dual_mov_b32 v15, v99
	v_dual_mov_b32 v1, v63 :: v_dual_mov_b32 v24, v108
	;; [unrolled: 1-line block ×3, first 2 shown]
	s_delay_alu instid0(VALU_DEP_3)
	v_dual_mov_b32 v8, v70 :: v_dual_mov_b32 v9, v71
	v_dual_mov_b32 v10, v72 :: v_dual_mov_b32 v11, v73
	;; [unrolled: 1-line block ×26, first 2 shown]
	v_mov_b32_e32 v13, v14
	v_dual_mov_b32 v134, v158 :: v_dual_mov_b32 v45, v44
	v_mov_b32_e32 v57, v56
.LBB61_57:
	s_or_b32 exec_lo, exec_lo, s2
	v_mov_b32_e32 v14, v34
	s_mov_b32 s2, exec_lo
	v_cmpx_lt_f32_e32 v13, v34
	s_cbranch_execz .LBB61_59
; %bb.58:
	v_mov_b32_e32 v129, v58
	v_dual_mov_b32 v63, v123 :: v_dual_mov_b32 v70, v130
	v_dual_mov_b32 v70, v57 :: v_dual_mov_b32 v71, v131
	;; [unrolled: 1-line block ×22, first 2 shown]
	v_mov_b32_e32 v34, v13
	v_dual_mov_b32 v3, v65 :: v_dual_mov_b32 v4, v66
	v_dual_mov_b32 v5, v67 :: v_dual_mov_b32 v6, v68
	;; [unrolled: 1-line block ×20, first 2 shown]
	v_mov_b32_e32 v14, v13
	v_mov_b32_e32 v46, v45
	;; [unrolled: 1-line block ×3, first 2 shown]
.LBB61_59:
	s_or_b32 exec_lo, exec_lo, s2
	v_mov_b32_e32 v13, v35
	s_mov_b32 s2, exec_lo
	v_cmpx_lt_f32_e32 v14, v35
	s_cbranch_execz .LBB61_61
; %bb.60:
	v_mov_b32_e32 v94, v59
	v_dual_mov_b32 v34, v35 :: v_dual_mov_b32 v35, v14
	v_mov_b32_e32 v82, v47
	v_dual_mov_b32 v1, v87 :: v_dual_mov_b32 v2, v88
	v_dual_mov_b32 v10, v96 :: v_dual_mov_b32 v7, v93
	;; [unrolled: 1-line block ×13, first 2 shown]
	v_mov_b32_e32 v5, v91
	v_mov_b32_e32 v9, v58
	v_dual_mov_b32 v12, v62 :: v_dual_mov_b32 v17, v77
	v_dual_mov_b32 v16, v76 :: v_dual_mov_b32 v19, v79
	;; [unrolled: 1-line block ×14, first 2 shown]
	v_mov_b32_e32 v47, v46
	v_mov_b32_e32 v59, v58
	;; [unrolled: 1-line block ×3, first 2 shown]
.LBB61_61:
	s_or_b32 exec_lo, exec_lo, s2
	v_mov_b32_e32 v39, v36
	s_mov_b32 s2, exec_lo
	v_cmpx_lt_f32_e32 v13, v36
	s_cbranch_execz .LBB61_63
; %bb.62:
	v_dual_mov_b32 v71, v60 :: v_dual_mov_b32 v72, v59
	v_dual_mov_b32 v73, v61 :: v_dual_mov_b32 v108, v47
	;; [unrolled: 1-line block ×17, first 2 shown]
	v_mov_b32_e32 v39, v13
.LBB61_63:
	s_or_b32 exec_lo, exec_lo, s2
	s_delay_alu instid0(VALU_DEP_1)
	v_cmp_lt_f32_e32 vcc_lo, v39, v37
	v_dual_mov_b32 v40, v28 :: v_dual_mov_b32 v43, v31
	v_dual_mov_b32 v42, v30 :: v_dual_mov_b32 v45, v33
	v_dual_cndmask_b32 v13, v25, v24 :: v_dual_cndmask_b32 v24, v24, v25
	v_dual_cndmask_b32 v14, v11, v10 :: v_dual_cndmask_b32 v49, v37, v39
	v_dual_cndmask_b32 v10, v10, v11 :: v_dual_mov_b32 v39, v27
	v_dual_cndmask_b32 v48, v36, v37 :: v_dual_mov_b32 v41, v29
	v_dual_mov_b32 v44, v32 :: v_dual_mov_b32 v47, v35
	v_mov_b32_e32 v46, v34
	v_mov_b32_e32 v50, v38
	s_mov_b32 s2, exec_lo
	v_cmpx_lt_f32_e32 v27, v28
	s_cbranch_execz .LBB61_65
; %bb.64:
	v_dual_mov_b32 v28, v40 :: v_dual_mov_b32 v29, v39
	v_dual_mov_b32 v38, v49 :: v_dual_mov_b32 v39, v50
	;; [unrolled: 1-line block ×7, first 2 shown]
	v_mov_b32_e32 v11, v15
	v_swap_b32 v15, v16
	s_delay_alu instid0(VALU_DEP_4)
	v_mov_b32_e32 v48, v37
	v_swap_b32 v1, v2
	v_dual_mov_b32 v49, v38 :: v_dual_mov_b32 v46, v35
	v_dual_mov_b32 v47, v36 :: v_dual_mov_b32 v44, v33
	;; [unrolled: 1-line block ×4, first 2 shown]
	v_mov_b32_e32 v41, v30
	v_dual_mov_b32 v39, v28 :: v_dual_mov_b32 v28, v27
.LBB61_65:
	s_or_b32 exec_lo, exec_lo, s2
	v_mov_b32_e32 v11, v14
	v_dual_mov_b32 v25, v13 :: v_dual_mov_b32 v62, v12
	v_dual_mov_b32 v74, v26 :: v_dual_mov_b32 v63, v15
	v_mov_b32_e32 v86, v26
	v_dual_mov_b32 v72, v24 :: v_dual_mov_b32 v75, v15
	v_dual_mov_b32 v110, v26 :: v_dual_mov_b32 v53, v3
	;; [unrolled: 1-line block ×61, first 2 shown]
	v_mov_b32_e32 v149, v3
	v_mov_b32_e32 v147, v1
	;; [unrolled: 1-line block ×3, first 2 shown]
	s_mov_b32 s2, exec_lo
	v_dual_mov_b32 v85, v25 :: v_dual_mov_b32 v84, v24
	v_dual_mov_b32 v83, v23 :: v_dual_mov_b32 v82, v22
	s_clause 0x2
	scratch_store_b128 off, v[1:4], off
	scratch_store_b128 off, v[5:8], off offset:16
	scratch_store_b128 off, v[9:12], off offset:32
	v_cmpx_lt_f32_e32 v28, v41
	s_cbranch_execz .LBB61_67
; %bb.66:
	v_dual_mov_b32 v158, v12 :: v_dual_mov_b32 v157, v11
	v_dual_mov_b32 v150, v4 :: v_dual_mov_b32 v149, v3
	;; [unrolled: 1-line block ×7, first 2 shown]
	s_clause 0x2
	scratch_store_b128 off, v[147:150], off
	scratch_store_b128 off, v[151:154], off offset:16
	scratch_store_b128 off, v[155:158], off offset:32
	v_dual_mov_b32 v182, v26 :: v_dual_mov_b32 v181, v25
	v_dual_mov_b32 v172, v16 :: v_dual_mov_b32 v171, v15
	;; [unrolled: 1-line block ×8, first 2 shown]
	s_delay_alu instid0(VALU_DEP_4) | instskip(SKIP_1) | instid1(VALU_DEP_4)
	v_dual_mov_b32 v160, v172 :: v_dual_mov_b32 v161, v173
	v_dual_mov_b32 v162, v174 :: v_dual_mov_b32 v163, v175
	;; [unrolled: 1-line block ×4, first 2 shown]
	v_mov_b32_e32 v170, v182
	v_dual_mov_b32 v166, v178 :: v_dual_mov_b32 v167, v179
	v_mov_b32_e32 v162, v18
	v_dual_mov_b32 v40, v41 :: v_dual_mov_b32 v41, v28
	v_mov_b32_e32 v3, v2
	v_mov_b32_e32 v17, v16
	;; [unrolled: 1-line block ×3, first 2 shown]
	v_dual_mov_b32 v137, v149 :: v_dual_mov_b32 v144, v156
	v_dual_mov_b32 v123, v159 :: v_dual_mov_b32 v136, v148
	;; [unrolled: 1-line block ×12, first 2 shown]
	v_mov_b32_e32 v133, v169
	v_dual_mov_b32 v111, v135 :: v_dual_mov_b32 v112, v136
	v_dual_mov_b32 v99, v123 :: v_dual_mov_b32 v100, v124
	;; [unrolled: 1-line block ×12, first 2 shown]
	v_mov_b32_e32 v104, v20
	v_dual_mov_b32 v116, v6 :: v_dual_mov_b32 v75, v99
	v_mov_b32_e32 v87, v111
	v_dual_mov_b32 v93, v117 :: v_dual_mov_b32 v78, v102
	s_delay_alu instid0(VALU_DEP_3)
	v_dual_mov_b32 v81, v105 :: v_dual_mov_b32 v92, v116
	v_dual_mov_b32 v90, v114 :: v_dual_mov_b32 v91, v115
	;; [unrolled: 1-line block ×11, first 2 shown]
	v_mov_b32_e32 v51, v87
	v_dual_mov_b32 v63, v75 :: v_dual_mov_b32 v66, v78
	v_dual_mov_b32 v55, v91 :: v_dual_mov_b32 v58, v94
	;; [unrolled: 1-line block ×13, first 2 shown]
	v_mov_b32_e32 v60, v10
	v_dual_mov_b32 v61, v14 :: v_dual_mov_b32 v62, v12
	v_dual_mov_b32 v70, v22 :: v_dual_mov_b32 v71, v23
	;; [unrolled: 1-line block ×3, first 2 shown]
	v_mov_b32_e32 v74, v26
.LBB61_67:
	s_or_b32 exec_lo, exec_lo, s2
	v_mov_b32_e32 v1, v42
	v_cmp_lt_f32_e32 vcc_lo, v11, v42
	s_mov_b32 s2, exec_lo
	s_clause 0x2
	scratch_load_b128 v[27:30], off, off
	scratch_load_b128 v[31:34], off, off offset:16
	scratch_load_b128 v[35:38], off, off offset:32
	s_and_b32 s3, s2, vcc_lo
	s_delay_alu instid0(SALU_CYCLE_1)
	s_mov_b32 exec_lo, s3
	s_cbranch_execz .LBB61_69
; %bb.68:
	v_mov_b32_e32 v173, v18
	s_waitcnt vmcnt(2)
	v_mov_b32_e32 v29, v4
	v_dual_mov_b32 v159, v171 :: v_dual_mov_b32 v162, v174
	s_waitcnt vmcnt(0)
	v_dual_mov_b32 v158, v38 :: v_dual_mov_b32 v157, v37
	v_dual_mov_b32 v156, v36 :: v_dual_mov_b32 v147, v27
	;; [unrolled: 1-line block ×6, first 2 shown]
	v_mov_b32_e32 v168, v180
	v_dual_mov_b32 v164, v176 :: v_dual_mov_b32 v165, v177
	v_dual_mov_b32 v170, v182 :: v_dual_mov_b32 v155, v35
	;; [unrolled: 1-line block ×4, first 2 shown]
	v_mov_b32_e32 v162, v17
	v_dual_mov_b32 v169, v181 :: v_dual_mov_b32 v150, v3
	v_dual_mov_b32 v123, v159 :: v_dual_mov_b32 v124, v160
	;; [unrolled: 1-line block ×3, first 2 shown]
	s_delay_alu instid0(VALU_DEP_3)
	v_dual_mov_b32 v137, v149 :: v_dual_mov_b32 v138, v150
	v_dual_mov_b32 v139, v151 :: v_dual_mov_b32 v140, v152
	;; [unrolled: 1-line block ×10, first 2 shown]
	v_mov_b32_e32 v127, v19
	v_mov_b32_e32 v139, v5
	v_dual_mov_b32 v99, v123 :: v_dual_mov_b32 v100, v124
	v_dual_mov_b32 v111, v135 :: v_dual_mov_b32 v114, v138
	;; [unrolled: 1-line block ×4, first 2 shown]
	v_mov_b32_e32 v120, v144
	v_dual_mov_b32 v104, v128 :: v_dual_mov_b32 v105, v129
	v_dual_mov_b32 v110, v134 :: v_dual_mov_b32 v115, v139
	;; [unrolled: 1-line block ×22, first 2 shown]
	v_mov_b32_e32 v93, v7
	v_dual_mov_b32 v63, v75 :: v_dual_mov_b32 v68, v80
	v_dual_mov_b32 v64, v76 :: v_dual_mov_b32 v51, v87
	v_dual_mov_b32 v54, v90 :: v_dual_mov_b32 v55, v91
	s_delay_alu instid0(VALU_DEP_4)
	v_dual_mov_b32 v58, v94 :: v_dual_mov_b32 v57, v93
	v_dual_mov_b32 v60, v96 :: v_dual_mov_b32 v59, v95
	;; [unrolled: 1-line block ×8, first 2 shown]
	v_mov_b32_e32 v60, v10
	v_dual_mov_b32 v52, v88 :: v_dual_mov_b32 v53, v89
	v_dual_mov_b32 v56, v92 :: v_dual_mov_b32 v59, v9
	;; [unrolled: 1-line block ×3, first 2 shown]
	v_mov_b32_e32 v72, v24
	v_dual_mov_b32 v70, v22 :: v_dual_mov_b32 v71, v23
	v_dual_mov_b32 v73, v13 :: v_dual_mov_b32 v74, v26
	;; [unrolled: 1-line block ×3, first 2 shown]
	v_mov_b32_e32 v4, v3
.LBB61_69:
	s_or_b32 exec_lo, exec_lo, s2
	v_mov_b32_e32 v2, v43
	s_mov_b32 s2, exec_lo
	v_cmpx_lt_f32_e32 v1, v43
	s_cbranch_execz .LBB61_71
; %bb.70:
	v_mov_b32_e32 v174, v19
	s_waitcnt vmcnt(2)
	v_dual_mov_b32 v30, v5 :: v_dual_mov_b32 v123, v171
	s_waitcnt vmcnt(0)
	v_dual_mov_b32 v146, v38 :: v_dual_mov_b32 v143, v35
	v_dual_mov_b32 v145, v37 :: v_dual_mov_b32 v142, v34
	s_delay_alu instid0(VALU_DEP_3)
	v_dual_mov_b32 v139, v31 :: v_dual_mov_b32 v138, v30
	v_dual_mov_b32 v135, v27 :: v_dual_mov_b32 v124, v172
	v_dual_mov_b32 v127, v175 :: v_dual_mov_b32 v140, v32
	v_dual_mov_b32 v137, v29 :: v_dual_mov_b32 v128, v176
	v_dual_mov_b32 v131, v179 :: v_dual_mov_b32 v132, v180
	v_mov_b32_e32 v127, v18
	v_dual_mov_b32 v134, v182 :: v_dual_mov_b32 v139, v4
	v_dual_mov_b32 v144, v36 :: v_dual_mov_b32 v141, v33
	;; [unrolled: 1-line block ×5, first 2 shown]
	s_delay_alu instid0(VALU_DEP_3)
	v_dual_mov_b32 v111, v135 :: v_dual_mov_b32 v112, v136
	v_dual_mov_b32 v99, v123 :: v_dual_mov_b32 v100, v124
	;; [unrolled: 1-line block ×12, first 2 shown]
	v_mov_b32_e32 v104, v20
	v_dual_mov_b32 v116, v6 :: v_dual_mov_b32 v75, v99
	v_mov_b32_e32 v87, v111
	v_dual_mov_b32 v93, v117 :: v_dual_mov_b32 v78, v102
	s_delay_alu instid0(VALU_DEP_3)
	v_dual_mov_b32 v81, v105 :: v_dual_mov_b32 v92, v116
	v_dual_mov_b32 v80, v104 :: v_dual_mov_b32 v83, v107
	;; [unrolled: 1-line block ×11, first 2 shown]
	v_mov_b32_e32 v63, v75
	s_delay_alu instid0(VALU_DEP_4)
	v_dual_mov_b32 v51, v87 :: v_dual_mov_b32 v52, v88
	v_dual_mov_b32 v71, v83 :: v_dual_mov_b32 v72, v84
	;; [unrolled: 1-line block ×14, first 2 shown]
	v_mov_b32_e32 v68, v80
	v_dual_mov_b32 v58, v8 :: v_dual_mov_b32 v59, v9
	v_dual_mov_b32 v60, v10 :: v_dual_mov_b32 v71, v23
	;; [unrolled: 1-line block ×16, first 2 shown]
	v_mov_b32_e32 v2, v1
.LBB61_71:
	s_or_b32 exec_lo, exec_lo, s2
	v_mov_b32_e32 v1, v44
	s_mov_b32 s2, exec_lo
	s_delay_alu instid0(VALU_DEP_2)
	v_cmpx_lt_f32_e32 v2, v44
	s_cbranch_execz .LBB61_73
; %bb.72:
	v_mov_b32_e32 v163, v20
	v_mov_b32_e32 v151, v6
	v_dual_mov_b32 v99, v159 :: v_dual_mov_b32 v100, v160
	v_dual_mov_b32 v111, v147 :: v_dual_mov_b32 v112, v148
	;; [unrolled: 1-line block ×10, first 2 shown]
	v_mov_b32_e32 v108, v168
	v_dual_mov_b32 v104, v164 :: v_dual_mov_b32 v107, v167
	v_mov_b32_e32 v116, v5
	v_dual_mov_b32 v109, v169 :: v_dual_mov_b32 v104, v19
	v_dual_mov_b32 v87, v111 :: v_dual_mov_b32 v88, v112
	;; [unrolled: 1-line block ×13, first 2 shown]
	v_mov_b32_e32 v93, v7
	v_dual_mov_b32 v43, v44 :: v_dual_mov_b32 v44, v2
	v_mov_b32_e32 v81, v21
	v_dual_mov_b32 v51, v87 :: v_dual_mov_b32 v56, v92
	v_dual_mov_b32 v52, v88 :: v_dual_mov_b32 v63, v75
	;; [unrolled: 1-line block ×14, first 2 shown]
	v_mov_b32_e32 v136, v148
	v_dual_mov_b32 v54, v90 :: v_dual_mov_b32 v59, v9
	v_dual_mov_b32 v62, v12 :: v_dual_mov_b32 v61, v14
	v_mov_b32_e32 v72, v24
	v_dual_mov_b32 v70, v22 :: v_dual_mov_b32 v71, v23
	v_dual_mov_b32 v73, v13 :: v_dual_mov_b32 v74, v26
	;; [unrolled: 1-line block ×13, first 2 shown]
	v_mov_b32_e32 v6, v5
.LBB61_73:
	s_or_b32 exec_lo, exec_lo, s2
	v_mov_b32_e32 v2, v45
	s_mov_b32 s2, exec_lo
	v_cmpx_lt_f32_e32 v1, v45
	s_cbranch_execz .LBB61_75
; %bb.74:
	v_mov_b32_e32 v140, v7
	v_dual_mov_b32 v128, v21 :: v_dual_mov_b32 v87, v135
	v_mov_b32_e32 v93, v141
	v_mov_b32_e32 v93, v6
	v_mov_b32_e32 v94, v142
	v_dual_mov_b32 v92, v140 :: v_dual_mov_b32 v95, v143
	v_dual_mov_b32 v96, v144 :: v_dual_mov_b32 v97, v145
	;; [unrolled: 1-line block ×42, first 2 shown]
	v_mov_b32_e32 v2, v1
.LBB61_75:
	s_or_b32 exec_lo, exec_lo, s2
	v_mov_b32_e32 v1, v46
	s_mov_b32 s2, exec_lo
	s_delay_alu instid0(VALU_DEP_2)
	v_cmpx_lt_f32_e32 v2, v46
	s_cbranch_execz .LBB61_77
; %bb.76:
	v_mov_b32_e32 v117, v8
	v_mov_b32_e32 v45, v46
	;; [unrolled: 1-line block ×4, first 2 shown]
	v_dual_mov_b32 v51, v111 :: v_dual_mov_b32 v54, v114
	v_dual_mov_b32 v56, v116 :: v_dual_mov_b32 v63, v99
	v_dual_mov_b32 v66, v102 :: v_dual_mov_b32 v53, v113
	v_dual_mov_b32 v58, v118 :: v_dual_mov_b32 v55, v115
	v_dual_mov_b32 v60, v120 :: v_dual_mov_b32 v57, v117
	v_dual_mov_b32 v62, v122 :: v_dual_mov_b32 v59, v119
	v_dual_mov_b32 v60, v10 :: v_dual_mov_b32 v61, v121
	v_mov_b32_e32 v58, v7
	v_dual_mov_b32 v67, v103 :: v_dual_mov_b32 v70, v106
	v_dual_mov_b32 v69, v105 :: v_dual_mov_b32 v72, v108
	v_dual_mov_b32 v71, v107 :: v_dual_mov_b32 v74, v110
	v_dual_mov_b32 v73, v109 :: v_dual_mov_b32 v72, v24
	v_dual_mov_b32 v75, v99 :: v_dual_mov_b32 v76, v100
	v_dual_mov_b32 v87, v111 :: v_dual_mov_b32 v88, v112
	v_dual_mov_b32 v52, v112 :: v_dual_mov_b32 v59, v9
	v_dual_mov_b32 v62, v12 :: v_dual_mov_b32 v61, v14
	v_dual_mov_b32 v64, v100 :: v_dual_mov_b32 v65, v101
	v_mov_b32_e32 v68, v104
	v_dual_mov_b32 v70, v21 :: v_dual_mov_b32 v71, v23
	v_dual_mov_b32 v73, v13 :: v_dual_mov_b32 v74, v26
	;; [unrolled: 10-line block ×3, first 2 shown]
	v_dual_mov_b32 v95, v119 :: v_dual_mov_b32 v96, v120
	v_dual_mov_b32 v97, v121 :: v_dual_mov_b32 v98, v122
.LBB61_77:
	s_or_b32 exec_lo, exec_lo, s2
	v_mov_b32_e32 v2, v47
	s_mov_b32 s2, exec_lo
	v_cmpx_lt_f32_e32 v1, v47
	s_cbranch_execz .LBB61_79
; %bb.78:
	v_dual_mov_b32 v83, v22 :: v_dual_mov_b32 v84, v24
	v_dual_mov_b32 v94, v9 :: v_dual_mov_b32 v95, v8
	;; [unrolled: 1-line block ×4, first 2 shown]
	v_mov_b32_e32 v86, v26
	v_dual_mov_b32 v46, v47 :: v_dual_mov_b32 v47, v1
	v_dual_mov_b32 v98, v12 :: v_dual_mov_b32 v63, v75
	;; [unrolled: 1-line block ×13, first 2 shown]
	v_mov_b32_e32 v62, v98
	v_mov_b32_e32 v2, v1
.LBB61_79:
	s_or_b32 exec_lo, exec_lo, s2
	s_delay_alu instid0(VALU_DEP_1)
	v_cmp_lt_f32_e32 vcc_lo, v2, v48
	v_dual_mov_b32 v1, v39 :: v_dual_mov_b32 v6, v44
	v_dual_mov_b32 v3, v41 :: v_dual_mov_b32 v8, v46
	s_waitcnt vmcnt(0)
	v_dual_cndmask_b32 v37, v72, v71 :: v_dual_mov_b32 v4, v42
	v_dual_cndmask_b32 v71, v71, v72 :: v_dual_cndmask_b32 v38, v60, v59
	v_dual_cndmask_b32 v59, v59, v60 :: v_dual_cndmask_b32 v10, v48, v2
	v_dual_cndmask_b32 v9, v47, v48 :: v_dual_mov_b32 v2, v40
	v_dual_mov_b32 v5, v43 :: v_dual_mov_b32 v12, v50
	v_mov_b32_e32 v7, v45
	v_mov_b32_e32 v11, v49
	s_mov_b32 s2, exec_lo
	v_cmpx_lt_f32_e32 v39, v40
	s_cbranch_execz .LBB61_81
; %bb.80:
	v_dual_mov_b32 v13, v2 :: v_dual_mov_b32 v14, v1
	v_dual_mov_b32 v15, v3 :: v_dual_mov_b32 v16, v4
	;; [unrolled: 1-line block ×6, first 2 shown]
	v_mov_b32_e32 v25, v63
	v_dual_mov_b32 v26, v51 :: v_dual_mov_b32 v1, v13
	v_swap_b32 v63, v64
	v_swap_b32 v51, v52
	v_dual_mov_b32 v2, v14 :: v_dual_mov_b32 v3, v15
	v_dual_mov_b32 v4, v16 :: v_dual_mov_b32 v5, v17
	;; [unrolled: 1-line block ×5, first 2 shown]
	v_mov_b32_e32 v12, v24
	v_mov_b32_e32 v40, v39
.LBB61_81:
	s_or_b32 exec_lo, exec_lo, s2
	v_mov_b32_e32 v60, v38
	v_dual_mov_b32 v72, v37 :: v_dual_mov_b32 v13, v51
	v_dual_mov_b32 v25, v63 :: v_dual_mov_b32 v98, v74
	;; [unrolled: 1-line block ×60, first 2 shown]
	s_mov_b32 s2, exec_lo
	v_dual_mov_b32 v96, v72 :: v_dual_mov_b32 v93, v69
	v_cmpx_lt_f32_e32 v40, v3
	s_cbranch_execz .LBB61_83
; %bb.82:
	v_dual_mov_b32 v134, v62 :: v_dual_mov_b32 v133, v61
	v_dual_mov_b32 v124, v52 :: v_dual_mov_b32 v123, v51
	v_mov_b32_e32 v124, v53
	v_dual_mov_b32 v128, v56 :: v_dual_mov_b32 v127, v55
	v_dual_mov_b32 v132, v60 :: v_dual_mov_b32 v131, v59
	;; [unrolled: 1-line block ×11, first 2 shown]
	v_mov_b32_e32 v141, v69
	v_dual_mov_b32 v136, v65 :: v_dual_mov_b32 v137, v64
	v_dual_mov_b32 v160, v124 :: v_dual_mov_b32 v159, v123
	v_dual_mov_b32 v164, v128 :: v_dual_mov_b32 v163, v127
	v_dual_mov_b32 v168, v132 :: v_dual_mov_b32 v167, v131
	v_dual_mov_b32 v158, v146 :: v_dual_mov_b32 v155, v143
	v_dual_mov_b32 v162, v126 :: v_dual_mov_b32 v161, v125
	v_dual_mov_b32 v150, v138 :: v_dual_mov_b32 v147, v135
	v_dual_mov_b32 v152, v140 :: v_dual_mov_b32 v149, v137
	v_dual_mov_b32 v166, v130 :: v_dual_mov_b32 v165, v129
	v_dual_mov_b32 v162, v54 :: v_dual_mov_b32 v157, v145
	v_dual_mov_b32 v156, v144 :: v_dual_mov_b32 v153, v141
	v_dual_mov_b32 v154, v142 :: v_dual_mov_b32 v151, v139
	v_dual_mov_b32 v148, v136 :: v_dual_mov_b32 v111, v159
	v_dual_mov_b32 v150, v66 :: v_dual_mov_b32 v113, v161
	v_dual_mov_b32 v112, v160 :: v_dual_mov_b32 v115, v163
	v_dual_mov_b32 v116, v164 :: v_dual_mov_b32 v119, v167
	v_dual_mov_b32 v120, v168 :: v_dual_mov_b32 v115, v55
	v_dual_mov_b32 v122, v170 :: v_dual_mov_b32 v99, v147
	v_dual_mov_b32 v104, v152 :: v_dual_mov_b32 v105, v153
	v_dual_mov_b32 v114, v162 :: v_dual_mov_b32 v117, v165
	v_dual_mov_b32 v118, v166 :: v_dual_mov_b32 v121, v169
	v_dual_mov_b32 v102, v150 :: v_dual_mov_b32 v103, v151
	v_dual_mov_b32 v106, v154 :: v_dual_mov_b32 v107, v155
	v_dual_mov_b32 v108, v156 :: v_dual_mov_b32 v109, v157
	v_dual_mov_b32 v110, v158 :: v_dual_mov_b32 v103, v67
	v_dual_mov_b32 v100, v148 :: v_dual_mov_b32 v101, v149
	v_dual_mov_b32 v75, v111 :: v_dual_mov_b32 v76, v112
	v_dual_mov_b32 v79, v115 :: v_dual_mov_b32 v80, v116
	v_dual_mov_b32 v83, v119 :: v_dual_mov_b32 v84, v120
	v_dual_mov_b32 v80, v56 :: v_dual_mov_b32 v87, v99
	v_dual_mov_b32 v77, v113 :: v_dual_mov_b32 v78, v114
	v_dual_mov_b32 v92, v104 :: v_dual_mov_b32 v93, v105
	v_dual_mov_b32 v81, v117 :: v_dual_mov_b32 v82, v118
	v_dual_mov_b32 v85, v121 :: v_dual_mov_b32 v86, v122
	v_dual_mov_b32 v90, v102 :: v_dual_mov_b32 v91, v103
	v_dual_mov_b32 v94, v106 :: v_dual_mov_b32 v95, v107
	v_dual_mov_b32 v96, v108 :: v_dual_mov_b32 v97, v109
	v_dual_mov_b32 v98, v110 :: v_dual_mov_b32 v13, v75
	v_dual_mov_b32 v92, v68 :: v_dual_mov_b32 v15, v77
	v_dual_mov_b32 v88, v100 :: v_dual_mov_b32 v89, v101
	v_mov_b32_e32 v22, v84
	v_dual_mov_b32 v22, v38 :: v_dual_mov_b32 v25, v87
	v_dual_mov_b32 v16, v78 :: v_dual_mov_b32 v19, v81
	;; [unrolled: 1-line block ×16, first 2 shown]
	v_mov_b32_e32 v35, v73
	v_dual_mov_b32 v34, v37 :: v_dual_mov_b32 v39, v40
	v_dual_mov_b32 v36, v74 :: v_dual_mov_b32 v65, v64
	v_mov_b32_e32 v53, v52
.LBB61_83:
	s_or_b32 exec_lo, exec_lo, s2
	v_mov_b32_e32 v40, v4
	s_mov_b32 s2, exec_lo
	v_cmpx_lt_f32_e32 v39, v4
	s_cbranch_execz .LBB61_85
; %bb.84:
	v_mov_b32_e32 v137, v66
	v_mov_b32_e32 v125, v54
	;; [unrolled: 1-line block ×4, first 2 shown]
	v_dual_mov_b32 v170, v134 :: v_dual_mov_b32 v169, v133
	v_dual_mov_b32 v168, v132 :: v_dual_mov_b32 v159, v123
	;; [unrolled: 1-line block ×9, first 2 shown]
	v_mov_b32_e32 v157, v145
	v_dual_mov_b32 v155, v143 :: v_dual_mov_b32 v152, v140
	v_mov_b32_e32 v162, v53
	v_mov_b32_e32 v149, v137
	v_dual_mov_b32 v150, v65 :: v_dual_mov_b32 v111, v159
	v_dual_mov_b32 v112, v160 :: v_dual_mov_b32 v99, v147
	;; [unrolled: 1-line block ×13, first 2 shown]
	v_mov_b32_e32 v115, v55
	v_dual_mov_b32 v87, v99 :: v_dual_mov_b32 v88, v100
	v_dual_mov_b32 v75, v111 :: v_dual_mov_b32 v78, v114
	;; [unrolled: 1-line block ×3, first 2 shown]
	s_delay_alu instid0(VALU_DEP_4)
	v_dual_mov_b32 v80, v116 :: v_dual_mov_b32 v79, v115
	v_dual_mov_b32 v82, v118 :: v_dual_mov_b32 v81, v117
	;; [unrolled: 1-line block ×6, first 2 shown]
	v_mov_b32_e32 v96, v108
	v_dual_mov_b32 v92, v104 :: v_dual_mov_b32 v93, v105
	v_dual_mov_b32 v98, v110 :: v_dual_mov_b32 v95, v107
	v_dual_mov_b32 v80, v56 :: v_dual_mov_b32 v97, v109
	v_dual_mov_b32 v92, v68 :: v_dual_mov_b32 v13, v75
	v_dual_mov_b32 v14, v76 :: v_dual_mov_b32 v25, v87
	v_dual_mov_b32 v26, v88 :: v_dual_mov_b32 v19, v81
	v_dual_mov_b32 v20, v82 :: v_dual_mov_b32 v21, v83
	v_dual_mov_b32 v22, v84 :: v_dual_mov_b32 v23, v85
	v_dual_mov_b32 v24, v86 :: v_dual_mov_b32 v31, v93
	v_dual_mov_b32 v32, v94 :: v_dual_mov_b32 v33, v95
	v_dual_mov_b32 v34, v96 :: v_dual_mov_b32 v35, v97
	v_dual_mov_b32 v36, v98 :: v_dual_mov_b32 v3, v4
	v_dual_mov_b32 v4, v39 :: v_dual_mov_b32 v15, v77
	v_dual_mov_b32 v16, v78 :: v_dual_mov_b32 v17, v79
	v_dual_mov_b32 v18, v80 :: v_dual_mov_b32 v27, v89
	v_dual_mov_b32 v28, v90 :: v_dual_mov_b32 v29, v91
	v_dual_mov_b32 v30, v92 :: v_dual_mov_b32 v19, v57
	v_dual_mov_b32 v20, v58 :: v_dual_mov_b32 v21, v59
	v_dual_mov_b32 v22, v38 :: v_dual_mov_b32 v23, v61
	v_dual_mov_b32 v24, v62 :: v_dual_mov_b32 v31, v69
	v_dual_mov_b32 v32, v70 :: v_dual_mov_b32 v33, v71
	v_mov_b32_e32 v34, v37
	v_dual_mov_b32 v35, v73 :: v_dual_mov_b32 v36, v74
	v_mov_b32_e32 v40, v39
	v_mov_b32_e32 v66, v65
	v_mov_b32_e32 v54, v53
.LBB61_85:
	s_or_b32 exec_lo, exec_lo, s2
	v_mov_b32_e32 v39, v5
	s_mov_b32 s2, exec_lo
	v_cmpx_lt_f32_e32 v40, v5
	s_cbranch_execz .LBB61_87
; %bb.86:
	v_mov_b32_e32 v126, v55
	v_mov_b32_e32 v111, v123
	;; [unrolled: 1-line block ×3, first 2 shown]
	v_dual_mov_b32 v115, v54 :: v_dual_mov_b32 v116, v128
	v_dual_mov_b32 v138, v67 :: v_dual_mov_b32 v113, v125
	v_mov_b32_e32 v112, v124
	v_dual_mov_b32 v118, v130 :: v_dual_mov_b32 v119, v131
	v_dual_mov_b32 v120, v132 :: v_dual_mov_b32 v121, v133
	;; [unrolled: 1-line block ×24, first 2 shown]
	v_mov_b32_e32 v22, v84
	v_dual_mov_b32 v22, v38 :: v_dual_mov_b32 v25, v87
	v_dual_mov_b32 v16, v78 :: v_dual_mov_b32 v19, v81
	;; [unrolled: 1-line block ×18, first 2 shown]
	v_mov_b32_e32 v35, v73
	v_dual_mov_b32 v34, v37 :: v_dual_mov_b32 v155, v143
	v_dual_mov_b32 v36, v74 :: v_dual_mov_b32 v157, v145
	;; [unrolled: 1-line block ×12, first 2 shown]
	v_mov_b32_e32 v55, v54
.LBB61_87:
	s_or_b32 exec_lo, exec_lo, s2
	v_mov_b32_e32 v40, v6
	s_mov_b32 s2, exec_lo
	v_cmpx_lt_f32_e32 v39, v6
	s_cbranch_execz .LBB61_89
; %bb.88:
	v_mov_b32_e32 v163, v56
	v_dual_mov_b32 v75, v159 :: v_dual_mov_b32 v80, v164
	v_dual_mov_b32 v80, v55 :: v_dual_mov_b32 v81, v165
	;; [unrolled: 1-line block ×7, first 2 shown]
	v_mov_b32_e32 v85, v169
	v_dual_mov_b32 v89, v149 :: v_dual_mov_b32 v92, v152
	v_dual_mov_b32 v91, v151 :: v_dual_mov_b32 v94, v154
	;; [unrolled: 1-line block ×6, first 2 shown]
	v_mov_b32_e32 v88, v148
	v_mov_b32_e32 v6, v39
	s_delay_alu instid0(VALU_DEP_3) | instskip(NEXT) | instid1(VALU_DEP_3)
	v_dual_mov_b32 v13, v75 :: v_dual_mov_b32 v14, v76
	v_dual_mov_b32 v25, v87 :: v_dual_mov_b32 v26, v88
	;; [unrolled: 1-line block ×30, first 2 shown]
	v_mov_b32_e32 v40, v39
	v_mov_b32_e32 v68, v67
	;; [unrolled: 1-line block ×3, first 2 shown]
.LBB61_89:
	s_or_b32 exec_lo, exec_lo, s2
	v_mov_b32_e32 v39, v7
	s_mov_b32 s2, exec_lo
	v_cmpx_lt_f32_e32 v40, v7
	s_cbranch_execz .LBB61_91
; %bb.90:
	v_mov_b32_e32 v116, v57
	v_dual_mov_b32 v6, v7 :: v_dual_mov_b32 v7, v40
	v_dual_mov_b32 v104, v69 :: v_dual_mov_b32 v13, v111
	v_mov_b32_e32 v22, v120
	v_dual_mov_b32 v22, v38 :: v_dual_mov_b32 v25, v99
	v_mov_b32_e32 v34, v108
	v_dual_mov_b32 v34, v37 :: v_dual_mov_b32 v87, v99
	v_dual_mov_b32 v16, v114 :: v_dual_mov_b32 v19, v117
	;; [unrolled: 1-line block ×12, first 2 shown]
	v_mov_b32_e32 v23, v61
	v_dual_mov_b32 v21, v59 :: v_dual_mov_b32 v24, v62
	v_dual_mov_b32 v27, v101 :: v_dual_mov_b32 v26, v100
	;; [unrolled: 1-line block ×3, first 2 shown]
	v_mov_b32_e32 v35, v73
	v_dual_mov_b32 v33, v71 :: v_dual_mov_b32 v36, v74
	v_dual_mov_b32 v89, v101 :: v_dual_mov_b32 v88, v100
	;; [unrolled: 1-line block ×9, first 2 shown]
	v_mov_b32_e32 v39, v40
	v_mov_b32_e32 v69, v68
	v_dual_mov_b32 v57, v56 :: v_dual_mov_b32 v94, v106
	v_dual_mov_b32 v97, v109 :: v_dual_mov_b32 v82, v118
	;; [unrolled: 1-line block ×3, first 2 shown]
.LBB61_91:
	s_or_b32 exec_lo, exec_lo, s2
	v_mov_b32_e32 v40, v8
	s_mov_b32 s2, exec_lo
	v_cmpx_lt_f32_e32 v39, v8
	s_cbranch_execz .LBB61_93
; %bb.92:
	v_dual_mov_b32 v81, v58 :: v_dual_mov_b32 v82, v57
	v_dual_mov_b32 v83, v59 :: v_dual_mov_b32 v84, v38
	v_dual_mov_b32 v85, v61 :: v_dual_mov_b32 v98, v74
	v_dual_mov_b32 v93, v70 :: v_dual_mov_b32 v94, v69
	v_dual_mov_b32 v95, v71 :: v_dual_mov_b32 v96, v37
	v_dual_mov_b32 v97, v73 :: v_dual_mov_b32 v86, v62
	v_dual_mov_b32 v25, v87 :: v_dual_mov_b32 v26, v88
	v_dual_mov_b32 v13, v75 :: v_dual_mov_b32 v14, v76
	v_dual_mov_b32 v7, v8 :: v_dual_mov_b32 v8, v39
	v_dual_mov_b32 v27, v89 :: v_dual_mov_b32 v28, v90
	v_dual_mov_b32 v29, v91 :: v_dual_mov_b32 v30, v92
	v_dual_mov_b32 v31, v93 :: v_dual_mov_b32 v32, v94
	v_dual_mov_b32 v33, v95 :: v_dual_mov_b32 v34, v96
	v_dual_mov_b32 v35, v97 :: v_dual_mov_b32 v36, v98
	v_dual_mov_b32 v15, v77 :: v_dual_mov_b32 v16, v78
	v_dual_mov_b32 v17, v79 :: v_dual_mov_b32 v18, v80
	v_dual_mov_b32 v19, v81 :: v_dual_mov_b32 v20, v82
	v_dual_mov_b32 v21, v83 :: v_dual_mov_b32 v22, v84
	v_dual_mov_b32 v23, v85 :: v_dual_mov_b32 v24, v86
	v_mov_b32_e32 v40, v39
.LBB61_93:
	s_or_b32 exec_lo, exec_lo, s2
	s_delay_alu instid0(VALU_DEP_1)
	v_cmp_lt_f32_e32 vcc_lo, v40, v9
	v_dual_mov_b32 v38, v2 :: v_dual_mov_b32 v41, v5
	v_dual_mov_b32 v42, v6 :: v_dual_mov_b32 v47, v11
	v_dual_cndmask_b32 v145, v33, v32 :: v_dual_cndmask_b32 v32, v32, v33
	v_dual_cndmask_b32 v146, v21, v20 :: v_dual_mov_b32 v39, v3
	v_dual_cndmask_b32 v20, v20, v21 :: v_dual_cndmask_b32 v45, v9, v40
	v_dual_cndmask_b32 v44, v8, v9 :: v_dual_mov_b32 v37, v1
	v_dual_mov_b32 v40, v4 :: v_dual_mov_b32 v43, v7
	v_mov_b32_e32 v46, v10
	v_mov_b32_e32 v48, v12
	s_mov_b32 s2, exec_lo
	v_cmpx_lt_f32_e32 v1, v2
	s_cbranch_execz .LBB61_95
; %bb.94:
	v_dual_mov_b32 v49, v38 :: v_dual_mov_b32 v50, v37
	v_dual_mov_b32 v51, v39 :: v_dual_mov_b32 v52, v40
	;; [unrolled: 1-line block ×6, first 2 shown]
	v_mov_b32_e32 v3, v25
	v_mov_b32_e32 v4, v13
	v_dual_mov_b32 v37, v49 :: v_dual_mov_b32 v40, v52
	v_swap_b32 v25, v26
	v_swap_b32 v13, v14
	v_dual_mov_b32 v38, v50 :: v_dual_mov_b32 v39, v51
	v_dual_mov_b32 v41, v53 :: v_dual_mov_b32 v42, v54
	;; [unrolled: 1-line block ×5, first 2 shown]
	v_mov_b32_e32 v2, v1
.LBB61_95:
	s_or_b32 exec_lo, exec_lo, s2
	v_mov_b32_e32 v21, v146
	v_dual_mov_b32 v33, v145 :: v_dual_mov_b32 v60, v24
	v_dual_mov_b32 v72, v36 :: v_dual_mov_b32 v61, v25
	;; [unrolled: 1-line block ×43, first 2 shown]
	v_mov_b32_e32 v97, v13
	v_mov_b32_e32 v1, v39
	s_mov_b32 s2, exec_lo
	v_dual_mov_b32 v95, v35 :: v_dual_mov_b32 v94, v34
	v_dual_mov_b32 v93, v33 :: v_dual_mov_b32 v92, v32
	;; [unrolled: 1-line block ×5, first 2 shown]
	v_cmpx_lt_f32_e32 v2, v39
	s_cbranch_execz .LBB61_97
; %bb.96:
	v_dual_mov_b32 v108, v24 :: v_dual_mov_b32 v107, v23
	v_dual_mov_b32 v98, v14 :: v_dual_mov_b32 v97, v13
	v_mov_b32_e32 v98, v15
	v_dual_mov_b32 v104, v20 :: v_dual_mov_b32 v103, v19
	v_dual_mov_b32 v100, v16 :: v_dual_mov_b32 v99, v15
	;; [unrolled: 1-line block ×26, first 2 shown]
	v_mov_b32_e32 v84, v144
	v_dual_mov_b32 v74, v134 :: v_dual_mov_b32 v77, v137
	v_mov_b32_e32 v75, v135
	v_dual_mov_b32 v38, v39 :: v_dual_mov_b32 v85, v121
	v_dual_mov_b32 v76, v136 :: v_dual_mov_b32 v79, v139
	;; [unrolled: 1-line block ×10, first 2 shown]
	v_mov_b32_e32 v39, v2
	v_dual_mov_b32 v49, v73 :: v_dual_mov_b32 v50, v74
	v_dual_mov_b32 v59, v83 :: v_dual_mov_b32 v60, v84
	;; [unrolled: 1-line block ×18, first 2 shown]
	v_mov_b32_e32 v70, v34
	v_dual_mov_b32 v72, v36 :: v_dual_mov_b32 v1, v2
	v_mov_b32_e32 v27, v26
	v_mov_b32_e32 v15, v14
.LBB61_97:
	s_or_b32 exec_lo, exec_lo, s2
	v_mov_b32_e32 v2, v40
	s_mov_b32 s2, exec_lo
	v_cmpx_lt_f32_e32 v1, v40
	s_cbranch_execz .LBB61_99
; %bb.98:
	v_mov_b32_e32 v99, v16
	v_mov_b32_e32 v144, v108
	;; [unrolled: 1-line block ×3, first 2 shown]
	v_dual_mov_b32 v136, v15 :: v_dual_mov_b32 v111, v28
	v_dual_mov_b32 v142, v106 :: v_dual_mov_b32 v133, v97
	;; [unrolled: 1-line block ×4, first 2 shown]
	v_mov_b32_e32 v135, v99
	v_dual_mov_b32 v125, v113 :: v_dual_mov_b32 v124, v112
	v_mov_b32_e32 v143, v107
	v_dual_mov_b32 v141, v105 :: v_dual_mov_b32 v140, v104
	v_dual_mov_b32 v139, v103 :: v_dual_mov_b32 v138, v102
	v_dual_mov_b32 v131, v119 :: v_dual_mov_b32 v130, v118
	v_dual_mov_b32 v129, v117 :: v_dual_mov_b32 v128, v116
	v_dual_mov_b32 v127, v115 :: v_dual_mov_b32 v126, v114
	v_dual_mov_b32 v123, v111 :: v_dual_mov_b32 v122, v110
	v_dual_mov_b32 v124, v27 :: v_dual_mov_b32 v73, v133
	v_dual_mov_b32 v74, v134 :: v_dual_mov_b32 v85, v121
	v_dual_mov_b32 v75, v135 :: v_dual_mov_b32 v76, v136
	v_dual_mov_b32 v77, v137 :: v_dual_mov_b32 v78, v138
	v_dual_mov_b32 v89, v125 :: v_dual_mov_b32 v92, v128
	v_dual_mov_b32 v79, v139 :: v_dual_mov_b32 v80, v140
	v_dual_mov_b32 v81, v141 :: v_dual_mov_b32 v82, v142
	v_dual_mov_b32 v83, v143 :: v_dual_mov_b32 v84, v144
	v_dual_mov_b32 v77, v17 :: v_dual_mov_b32 v86, v122
	v_dual_mov_b32 v87, v123 :: v_dual_mov_b32 v90, v126
	v_dual_mov_b32 v91, v127 :: v_dual_mov_b32 v94, v130
	v_dual_mov_b32 v93, v129 :: v_dual_mov_b32 v96, v132
	v_mov_b32_e32 v95, v131
	v_dual_mov_b32 v89, v29 :: v_dual_mov_b32 v88, v124
	v_dual_mov_b32 v49, v73 :: v_dual_mov_b32 v54, v78
	v_mov_b32_e32 v50, v74
	v_dual_mov_b32 v52, v76 :: v_dual_mov_b32 v61, v85
	s_delay_alu instid0(VALU_DEP_4)
	v_dual_mov_b32 v64, v88 :: v_dual_mov_b32 v51, v75
	v_dual_mov_b32 v56, v80 :: v_dual_mov_b32 v53, v77
	v_dual_mov_b32 v58, v82 :: v_dual_mov_b32 v55, v79
	v_dual_mov_b32 v60, v84 :: v_dual_mov_b32 v57, v81
	v_dual_mov_b32 v54, v18 :: v_dual_mov_b32 v59, v83
	v_dual_mov_b32 v56, v20 :: v_dual_mov_b32 v63, v87
	v_dual_mov_b32 v66, v90 :: v_dual_mov_b32 v65, v89
	v_dual_mov_b32 v68, v92 :: v_dual_mov_b32 v67, v91
	v_dual_mov_b32 v70, v94 :: v_dual_mov_b32 v69, v93
	v_dual_mov_b32 v72, v96 :: v_dual_mov_b32 v71, v95
	v_dual_mov_b32 v66, v30 :: v_dual_mov_b32 v39, v40
	v_dual_mov_b32 v40, v1 :: v_dual_mov_b32 v55, v19
	v_mov_b32_e32 v58, v22
	v_dual_mov_b32 v57, v146 :: v_dual_mov_b32 v60, v24
	v_dual_mov_b32 v59, v23 :: v_dual_mov_b32 v62, v86
	;; [unrolled: 1-line block ×5, first 2 shown]
	v_mov_b32_e32 v2, v1
	v_mov_b32_e32 v28, v27
	;; [unrolled: 1-line block ×3, first 2 shown]
.LBB61_99:
	s_or_b32 exec_lo, exec_lo, s2
	v_mov_b32_e32 v1, v41
	s_mov_b32 s2, exec_lo
	v_cmpx_lt_f32_e32 v2, v41
	s_cbranch_execz .LBB61_101
; %bb.100:
	v_mov_b32_e32 v100, v17
	v_mov_b32_e32 v73, v97
	;; [unrolled: 1-line block ×3, first 2 shown]
	v_dual_mov_b32 v77, v16 :: v_dual_mov_b32 v78, v102
	v_dual_mov_b32 v112, v29 :: v_dual_mov_b32 v75, v99
	;; [unrolled: 1-line block ×3, first 2 shown]
	v_mov_b32_e32 v84, v108
	v_dual_mov_b32 v74, v98 :: v_dual_mov_b32 v85, v109
	v_mov_b32_e32 v86, v110
	v_dual_mov_b32 v76, v100 :: v_dual_mov_b32 v79, v103
	v_dual_mov_b32 v80, v104 :: v_dual_mov_b32 v81, v105
	;; [unrolled: 1-line block ×8, first 2 shown]
	v_mov_b32_e32 v49, v73
	v_dual_mov_b32 v89, v28 :: v_dual_mov_b32 v50, v74
	v_dual_mov_b32 v59, v83 :: v_dual_mov_b32 v60, v84
	;; [unrolled: 1-line block ×32, first 2 shown]
	v_mov_b32_e32 v17, v16
.LBB61_101:
	s_or_b32 exec_lo, exec_lo, s2
	v_mov_b32_e32 v2, v42
	s_mov_b32 s2, exec_lo
	v_cmpx_lt_f32_e32 v1, v42
	s_cbranch_execz .LBB61_103
; %bb.102:
	v_mov_b32_e32 v137, v18
	v_mov_b32_e32 v125, v30
	v_dual_mov_b32 v41, v42 :: v_dual_mov_b32 v42, v1
	v_dual_mov_b32 v49, v133 :: v_dual_mov_b32 v50, v134
	;; [unrolled: 1-line block ×13, first 2 shown]
	v_mov_b32_e32 v66, v29
	v_dual_mov_b32 v85, v121 :: v_dual_mov_b32 v86, v122
	v_dual_mov_b32 v73, v133 :: v_dual_mov_b32 v74, v134
	;; [unrolled: 1-line block ×4, first 2 shown]
	v_mov_b32_e32 v64, v124
	v_dual_mov_b32 v58, v22 :: v_dual_mov_b32 v59, v23
	v_dual_mov_b32 v67, v31 :: v_dual_mov_b32 v68, v32
	;; [unrolled: 1-line block ×8, first 2 shown]
	v_mov_b32_e32 v2, v1
	v_mov_b32_e32 v30, v29
	v_dual_mov_b32 v18, v17 :: v_dual_mov_b32 v91, v127
	v_dual_mov_b32 v92, v128 :: v_dual_mov_b32 v93, v129
	;; [unrolled: 1-line block ×6, first 2 shown]
	v_mov_b32_e32 v84, v144
.LBB61_103:
	s_or_b32 exec_lo, exec_lo, s2
	v_mov_b32_e32 v1, v43
	s_mov_b32 s2, exec_lo
	v_cmpx_lt_f32_e32 v2, v43
	s_cbranch_execz .LBB61_105
; %bb.104:
	v_dual_mov_b32 v94, v34 :: v_dual_mov_b32 v95, v35
	v_dual_mov_b32 v78, v19 :: v_dual_mov_b32 v79, v18
	;; [unrolled: 1-line block ×6, first 2 shown]
	v_mov_b32_e32 v96, v36
	v_dual_mov_b32 v42, v43 :: v_dual_mov_b32 v43, v2
	v_dual_mov_b32 v84, v24 :: v_dual_mov_b32 v61, v85
	;; [unrolled: 1-line block ×14, first 2 shown]
.LBB61_105:
	s_or_b32 exec_lo, exec_lo, s2
	s_delay_alu instid0(VALU_DEP_1)
	v_cmp_lt_f32_e32 vcc_lo, v1, v44
	v_dual_mov_b32 v3, v39 :: v_dual_mov_b32 v10, v46
	v_dual_mov_b32 v5, v41 :: v_dual_mov_b32 v12, v48
	v_dual_cndmask_b32 v121, v68, v67 :: v_dual_mov_b32 v2, v38
	v_dual_cndmask_b32 v67, v67, v68 :: v_dual_cndmask_b32 v122, v56, v55
	v_dual_cndmask_b32 v55, v55, v56 :: v_dual_cndmask_b32 v8, v44, v1
	v_dual_cndmask_b32 v7, v43, v44 :: v_dual_mov_b32 v4, v40
	v_dual_mov_b32 v1, v37 :: v_dual_mov_b32 v6, v42
	v_mov_b32_e32 v9, v45
	v_mov_b32_e32 v11, v47
	s_mov_b32 s2, exec_lo
	v_cmpx_lt_f32_e32 v37, v38
	s_cbranch_execz .LBB61_107
; %bb.106:
	v_dual_mov_b32 v13, v2 :: v_dual_mov_b32 v14, v1
	v_dual_mov_b32 v15, v3 :: v_dual_mov_b32 v16, v4
	;; [unrolled: 1-line block ×6, first 2 shown]
	v_mov_b32_e32 v25, v61
	v_mov_b32_e32 v26, v49
	v_dual_mov_b32 v1, v13 :: v_dual_mov_b32 v4, v16
	v_swap_b32 v61, v62
	v_swap_b32 v49, v50
	v_dual_mov_b32 v2, v14 :: v_dual_mov_b32 v3, v15
	v_dual_mov_b32 v5, v17 :: v_dual_mov_b32 v6, v18
	;; [unrolled: 1-line block ×5, first 2 shown]
	v_mov_b32_e32 v38, v37
.LBB61_107:
	s_or_b32 exec_lo, exec_lo, s2
	v_mov_b32_e32 v56, v122
	v_mov_b32_e32 v68, v121
	;; [unrolled: 1-line block ×3, first 2 shown]
	v_dual_mov_b32 v27, v51 :: v_dual_mov_b32 v84, v72
	v_mov_b32_e32 v81, v69
	v_dual_mov_b32 v83, v71 :: v_dual_mov_b32 v96, v60
	v_dual_mov_b32 v91, v55 :: v_dual_mov_b32 v120, v72
	;; [unrolled: 1-line block ×31, first 2 shown]
	v_mov_b32_e32 v24, v60
	s_mov_b32 s2, exec_lo
	v_dual_mov_b32 v118, v70 :: v_dual_mov_b32 v115, v67
	v_dual_mov_b32 v116, v68 :: v_dual_mov_b32 v113, v65
	;; [unrolled: 1-line block ×3, first 2 shown]
	v_cmpx_lt_f32_e32 v38, v3
	s_cbranch_execz .LBB61_109
; %bb.108:
	v_dual_mov_b32 v13, v49 :: v_dual_mov_b32 v14, v50
	v_dual_mov_b32 v23, v59 :: v_dual_mov_b32 v24, v60
	;; [unrolled: 1-line block ×30, first 2 shown]
	v_mov_b32_e32 v112, v64
	v_dual_mov_b32 v34, v94 :: v_dual_mov_b32 v35, v95
	v_dual_mov_b32 v35, v59 :: v_dual_mov_b32 v34, v58
	v_dual_mov_b32 v73, v109 :: v_dual_mov_b32 v28, v88
	v_dual_mov_b32 v29, v89 :: v_dual_mov_b32 v30, v90
	v_dual_mov_b32 v31, v91 :: v_dual_mov_b32 v36, v96
	v_dual_mov_b32 v29, v53 :: v_dual_mov_b32 v74, v110
	v_dual_mov_b32 v77, v113 :: v_dual_mov_b32 v76, v112
	v_dual_mov_b32 v79, v115 :: v_dual_mov_b32 v78, v114
	v_dual_mov_b32 v81, v117 :: v_dual_mov_b32 v80, v116
	v_dual_mov_b32 v83, v119 :: v_dual_mov_b32 v82, v118
	v_dual_mov_b32 v77, v65 :: v_dual_mov_b32 v84, v120
	v_dual_mov_b32 v79, v67 :: v_dual_mov_b32 v26, v86
	v_dual_mov_b32 v27, v87 :: v_dual_mov_b32 v30, v54
	v_dual_mov_b32 v31, v55 :: v_dual_mov_b32 v36, v60
	v_dual_mov_b32 v75, v111 :: v_dual_mov_b32 v78, v66
	v_mov_b32_e32 v81, v69
	v_dual_mov_b32 v80, v121 :: v_dual_mov_b32 v83, v71
	v_mov_b32_e32 v82, v70
	v_dual_mov_b32 v84, v72 :: v_dual_mov_b32 v37, v38
	v_mov_b32_e32 v63, v62
	v_mov_b32_e32 v51, v50
.LBB61_109:
	s_or_b32 exec_lo, exec_lo, s2
	v_mov_b32_e32 v38, v4
	s_mov_b32 s2, exec_lo
	v_cmpx_lt_f32_e32 v37, v4
	s_cbranch_execz .LBB61_111
; %bb.110:
	v_mov_b32_e32 v15, v52
	v_mov_b32_e32 v96, v24
	;; [unrolled: 1-line block ×3, first 2 shown]
	v_dual_mov_b32 v88, v51 :: v_dual_mov_b32 v99, v64
	v_dual_mov_b32 v94, v22 :: v_dual_mov_b32 v85, v13
	;; [unrolled: 1-line block ×3, first 2 shown]
	v_mov_b32_e32 v95, v23
	v_dual_mov_b32 v93, v21 :: v_dual_mov_b32 v92, v20
	v_dual_mov_b32 v91, v19 :: v_dual_mov_b32 v90, v18
	;; [unrolled: 1-line block ×7, first 2 shown]
	v_mov_b32_e32 v87, v15
	v_dual_mov_b32 v111, v99 :: v_dual_mov_b32 v110, v98
	v_dual_mov_b32 v112, v63 :: v_dual_mov_b32 v25, v85
	;; [unrolled: 1-line block ×3, first 2 shown]
	s_delay_alu instid0(VALU_DEP_3)
	v_dual_mov_b32 v74, v110 :: v_dual_mov_b32 v29, v89
	v_dual_mov_b32 v30, v90 :: v_dual_mov_b32 v31, v91
	;; [unrolled: 1-line block ×8, first 2 shown]
	v_mov_b32_e32 v84, v120
	v_dual_mov_b32 v3, v4 :: v_dual_mov_b32 v4, v37
	v_dual_mov_b32 v27, v87 :: v_dual_mov_b32 v28, v88
	;; [unrolled: 1-line block ×11, first 2 shown]
	v_mov_b32_e32 v38, v37
	v_mov_b32_e32 v64, v63
	;; [unrolled: 1-line block ×3, first 2 shown]
.LBB61_111:
	s_or_b32 exec_lo, exec_lo, s2
	v_mov_b32_e32 v16, v5
	s_mov_b32 s2, exec_lo
	v_cmpx_lt_f32_e32 v38, v5
	s_cbranch_execz .LBB61_113
; %bb.112:
	v_mov_b32_e32 v100, v65
	v_mov_b32_e32 v16, v53
	v_dual_mov_b32 v4, v5 :: v_dual_mov_b32 v5, v38
	v_dual_mov_b32 v36, v24 :: v_dual_mov_b32 v33, v21
	;; [unrolled: 1-line block ×3, first 2 shown]
	v_mov_b32_e32 v31, v19
	v_dual_mov_b32 v35, v59 :: v_dual_mov_b32 v34, v58
	v_dual_mov_b32 v73, v97 :: v_dual_mov_b32 v32, v20
	v_dual_mov_b32 v29, v17 :: v_dual_mov_b32 v30, v18
	v_dual_mov_b32 v27, v15 :: v_dual_mov_b32 v74, v98
	v_dual_mov_b32 v77, v101 :: v_dual_mov_b32 v76, v100
	v_dual_mov_b32 v79, v103 :: v_dual_mov_b32 v78, v102
	v_dual_mov_b32 v81, v105 :: v_dual_mov_b32 v80, v104
	v_dual_mov_b32 v83, v107 :: v_dual_mov_b32 v82, v106
	v_mov_b32_e32 v77, v64
	v_dual_mov_b32 v84, v108 :: v_dual_mov_b32 v79, v67
	v_dual_mov_b32 v120, v108 :: v_dual_mov_b32 v115, v103
	;; [unrolled: 1-line block ×19, first 2 shown]
	v_mov_b32_e32 v88, v16
	v_dual_mov_b32 v86, v14 :: v_dual_mov_b32 v65, v64
	v_dual_mov_b32 v16, v38 :: v_dual_mov_b32 v53, v52
	v_dual_mov_b32 v118, v106 :: v_dual_mov_b32 v113, v101
.LBB61_113:
	s_or_b32 exec_lo, exec_lo, s2
	v_mov_b32_e32 v13, v6
	s_mov_b32 s2, exec_lo
	v_cmpx_lt_f32_e32 v16, v6
	s_cbranch_execz .LBB61_115
; %bb.114:
	v_dual_mov_b32 v89, v54 :: v_dual_mov_b32 v90, v53
	v_dual_mov_b32 v91, v55 :: v_dual_mov_b32 v92, v122
	v_dual_mov_b32 v93, v57 :: v_dual_mov_b32 v94, v58
	v_dual_mov_b32 v95, v59 :: v_dual_mov_b32 v114, v65
	v_dual_mov_b32 v113, v66 :: v_dual_mov_b32 v116, v121
	v_dual_mov_b32 v115, v67 :: v_dual_mov_b32 v118, v70
	v_dual_mov_b32 v117, v69 :: v_dual_mov_b32 v120, v72
	v_dual_mov_b32 v119, v71 :: v_dual_mov_b32 v96, v60
	v_dual_mov_b32 v73, v109 :: v_dual_mov_b32 v74, v110
	v_dual_mov_b32 v25, v85 :: v_dual_mov_b32 v26, v86
	v_dual_mov_b32 v5, v6 :: v_dual_mov_b32 v6, v16
	v_dual_mov_b32 v75, v111 :: v_dual_mov_b32 v76, v112
	v_dual_mov_b32 v77, v113 :: v_dual_mov_b32 v78, v114
	v_dual_mov_b32 v79, v115 :: v_dual_mov_b32 v80, v116
	v_dual_mov_b32 v81, v117 :: v_dual_mov_b32 v82, v118
	v_dual_mov_b32 v83, v119 :: v_dual_mov_b32 v84, v120
	v_dual_mov_b32 v27, v87 :: v_dual_mov_b32 v28, v88
	v_dual_mov_b32 v29, v89 :: v_dual_mov_b32 v30, v90
	v_dual_mov_b32 v31, v91 :: v_dual_mov_b32 v32, v92
	v_dual_mov_b32 v33, v93 :: v_dual_mov_b32 v34, v94
	v_dual_mov_b32 v35, v95 :: v_dual_mov_b32 v36, v96
	v_mov_b32_e32 v13, v16
.LBB61_115:
	s_or_b32 exec_lo, exec_lo, s2
	s_delay_alu instid0(VALU_DEP_1)
	v_cmp_lt_f32_e32 vcc_lo, v13, v7
	v_dual_mov_b32 v14, v2 :: v_dual_mov_b32 v17, v5
	v_dual_mov_b32 v16, v4 :: v_dual_mov_b32 v21, v9
	v_dual_cndmask_b32 v37, v79, v78 :: v_dual_cndmask_b32 v78, v78, v79
	v_cndmask_b32_e32 v38, v31, v30, vcc_lo
	v_dual_cndmask_b32 v30, v30, v31 :: v_dual_cndmask_b32 v19, v7, v13
	v_dual_cndmask_b32 v18, v6, v7 :: v_dual_mov_b32 v15, v3
	v_dual_mov_b32 v13, v1 :: v_dual_mov_b32 v20, v8
	v_dual_mov_b32 v23, v11 :: v_dual_mov_b32 v22, v10
	v_mov_b32_e32 v24, v12
	s_mov_b32 s2, exec_lo
	v_cmpx_lt_f32_e32 v1, v2
	s_cbranch_execz .LBB61_117
; %bb.116:
	v_dual_mov_b32 v2, v14 :: v_dual_mov_b32 v3, v13
	v_dual_mov_b32 v12, v23 :: v_dual_mov_b32 v13, v24
	;; [unrolled: 1-line block ×6, first 2 shown]
	v_mov_b32_e32 v24, v13
	v_mov_b32_e32 v31, v73
	v_dual_mov_b32 v39, v25 :: v_dual_mov_b32 v18, v7
	v_swap_b32 v73, v74
	v_swap_b32 v25, v26
	v_dual_mov_b32 v23, v12 :: v_dual_mov_b32 v20, v9
	v_dual_mov_b32 v22, v11 :: v_dual_mov_b32 v21, v10
	;; [unrolled: 1-line block ×4, first 2 shown]
	v_mov_b32_e32 v15, v4
	v_dual_mov_b32 v13, v2 :: v_dual_mov_b32 v2, v1
.LBB61_117:
	s_or_b32 exec_lo, exec_lo, s2
	v_mov_b32_e32 v31, v38
	v_dual_mov_b32 v79, v37 :: v_dual_mov_b32 v50, v36
	v_dual_mov_b32 v51, v73 :: v_dual_mov_b32 v52, v74
	;; [unrolled: 1-line block ×24, first 2 shown]
	v_mov_b32_e32 v85, v25
	v_mov_b32_e32 v1, v15
	s_mov_b32 s2, exec_lo
	v_cmpx_lt_f32_e32 v2, v15
	s_cbranch_execz .LBB61_119
; %bb.118:
	v_dual_mov_b32 v96, v36 :: v_dual_mov_b32 v95, v35
	v_dual_mov_b32 v86, v26 :: v_dual_mov_b32 v85, v25
	;; [unrolled: 1-line block ×8, first 2 shown]
	v_mov_b32_e32 v105, v81
	v_dual_mov_b32 v43, v89 :: v_dual_mov_b32 v44, v90
	v_dual_mov_b32 v100, v76 :: v_dual_mov_b32 v97, v73
	;; [unrolled: 1-line block ×6, first 2 shown]
	v_mov_b32_e32 v98, v74
	v_dual_mov_b32 v98, v75 :: v_dual_mov_b32 v99, v74
	v_dual_mov_b32 v49, v95 :: v_dual_mov_b32 v50, v96
	;; [unrolled: 1-line block ×12, first 2 shown]
	v_mov_b32_e32 v40, v86
	v_dual_mov_b32 v42, v28 :: v_dual_mov_b32 v43, v29
	v_dual_mov_b32 v45, v38 :: v_dual_mov_b32 v46, v32
	;; [unrolled: 1-line block ×9, first 2 shown]
	v_mov_b32_e32 v75, v74
	v_mov_b32_e32 v27, v26
.LBB61_119:
	s_or_b32 exec_lo, exec_lo, s2
	v_mov_b32_e32 v2, v16
	s_mov_b32 s2, exec_lo
	v_cmpx_lt_f32_e32 v1, v16
	s_cbranch_execz .LBB61_121
; %bb.120:
	v_mov_b32_e32 v87, v28
	v_mov_b32_e32 v99, v76
	v_dual_mov_b32 v15, v16 :: v_dual_mov_b32 v16, v1
	v_dual_mov_b32 v39, v85 :: v_dual_mov_b32 v42, v88
	;; [unrolled: 1-line block ×13, first 2 shown]
	v_mov_b32_e32 v56, v78
	v_mov_b32_e32 v40, v86
	v_dual_mov_b32 v42, v27 :: v_dual_mov_b32 v43, v29
	v_dual_mov_b32 v45, v38 :: v_dual_mov_b32 v46, v32
	;; [unrolled: 1-line block ×8, first 2 shown]
	v_mov_b32_e32 v2, v1
	v_mov_b32_e32 v76, v75
	;; [unrolled: 1-line block ×3, first 2 shown]
.LBB61_121:
	s_or_b32 exec_lo, exec_lo, s2
	v_mov_b32_e32 v1, v17
	s_mov_b32 s2, exec_lo
	v_cmpx_lt_f32_e32 v2, v17
	s_cbranch_execz .LBB61_123
; %bb.122:
	v_dual_mov_b32 v106, v82 :: v_dual_mov_b32 v107, v83
	v_dual_mov_b32 v88, v29 :: v_dual_mov_b32 v89, v28
	;; [unrolled: 1-line block ×8, first 2 shown]
	v_mov_b32_e32 v108, v84
	v_dual_mov_b32 v16, v17 :: v_dual_mov_b32 v17, v2
	v_dual_mov_b32 v96, v36 :: v_dual_mov_b32 v51, v97
	;; [unrolled: 1-line block ×14, first 2 shown]
.LBB61_123:
	s_or_b32 exec_lo, exec_lo, s2
	s_delay_alu instid0(VALU_DEP_1)
	v_cmp_lt_f32_e32 vcc_lo, v1, v18
	v_dual_mov_b32 v27, v13 :: v_dual_mov_b32 v34, v20
	v_dual_mov_b32 v29, v15 :: v_dual_mov_b32 v36, v22
	v_dual_cndmask_b32 v63, v56, v55 :: v_dual_cndmask_b32 v32, v18, v1
	v_dual_cndmask_b32 v55, v55, v56 :: v_dual_cndmask_b32 v64, v44, v43
	v_dual_cndmask_b32 v43, v43, v44 :: v_dual_mov_b32 v28, v14
	v_dual_cndmask_b32 v31, v17, v18 :: v_dual_mov_b32 v30, v16
	v_dual_mov_b32 v33, v19 :: v_dual_mov_b32 v38, v24
	v_mov_b32_e32 v35, v21
	v_mov_b32_e32 v37, v23
	s_mov_b32 s2, exec_lo
	v_cmpx_lt_f32_e32 v13, v14
	s_cbranch_execz .LBB61_125
; %bb.124:
	s_delay_alu instid0(VALU_DEP_2)
	v_dual_mov_b32 v11, v37 :: v_dual_mov_b32 v12, v38
	v_dual_mov_b32 v1, v28 :: v_dual_mov_b32 v2, v27
	;; [unrolled: 1-line block ×7, first 2 shown]
	s_delay_alu instid0(VALU_DEP_2)
	v_dual_mov_b32 v16, v39 :: v_dual_mov_b32 v35, v9
	v_swap_b32 v51, v52
	v_swap_b32 v39, v40
	v_dual_mov_b32 v37, v11 :: v_dual_mov_b32 v36, v10
	v_dual_mov_b32 v34, v8 :: v_dual_mov_b32 v33, v7
	;; [unrolled: 1-line block ×5, first 2 shown]
	v_mov_b32_e32 v14, v13
.LBB61_125:
	s_or_b32 exec_lo, exec_lo, s2
	v_mov_b32_e32 v44, v64
	v_mov_b32_e32 v56, v63
	;; [unrolled: 1-line block ×4, first 2 shown]
	v_dual_mov_b32 v15, v51 :: v_dual_mov_b32 v2, v40
	v_dual_mov_b32 v16, v52 :: v_dual_mov_b32 v17, v53
	;; [unrolled: 1-line block ×11, first 2 shown]
	v_mov_b32_e32 v12, v50
	s_mov_b32 s2, exec_lo
	v_cmpx_lt_f32_e32 v14, v29
	s_cbranch_execz .LBB61_127
; %bb.126:
	v_dual_mov_b32 v1, v39 :: v_dual_mov_b32 v2, v40
	v_dual_mov_b32 v11, v49 :: v_dual_mov_b32 v12, v50
	v_dual_mov_b32 v12, v50 :: v_dual_mov_b32 v15, v51
	v_dual_mov_b32 v3, v41 :: v_dual_mov_b32 v4, v42
	v_dual_mov_b32 v5, v43 :: v_dual_mov_b32 v6, v44
	v_dual_mov_b32 v7, v45 :: v_dual_mov_b32 v8, v46
	v_dual_mov_b32 v9, v47 :: v_dual_mov_b32 v10, v48
	v_dual_mov_b32 v16, v52 :: v_dual_mov_b32 v17, v53
	v_dual_mov_b32 v18, v54 :: v_dual_mov_b32 v19, v55
	v_dual_mov_b32 v20, v56 :: v_dual_mov_b32 v21, v57
	v_dual_mov_b32 v22, v58 :: v_dual_mov_b32 v23, v59
	v_dual_mov_b32 v24, v60 :: v_dual_mov_b32 v25, v61
	v_dual_mov_b32 v26, v62 :: v_dual_mov_b32 v17, v52
	v_dual_mov_b32 v28, v29 :: v_dual_mov_b32 v29, v14
	v_dual_mov_b32 v2, v41 :: v_dual_mov_b32 v3, v40
	v_dual_mov_b32 v4, v42 :: v_dual_mov_b32 v5, v43
	v_dual_mov_b32 v6, v64 :: v_dual_mov_b32 v7, v45
	v_dual_mov_b32 v8, v46 :: v_dual_mov_b32 v9, v47
	v_dual_mov_b32 v10, v48 :: v_dual_mov_b32 v11, v49
	v_dual_mov_b32 v16, v53 :: v_dual_mov_b32 v19, v55
	v_dual_mov_b32 v18, v54 :: v_dual_mov_b32 v21, v57
	v_dual_mov_b32 v20, v63 :: v_dual_mov_b32 v25, v61
	v_dual_mov_b32 v22, v58 :: v_dual_mov_b32 v23, v59
	v_dual_mov_b32 v24, v60 :: v_dual_mov_b32 v13, v14
	v_dual_mov_b32 v26, v62 :: v_dual_mov_b32 v53, v52
	v_mov_b32_e32 v41, v40
.LBB61_127:
	s_or_b32 exec_lo, exec_lo, s2
	v_mov_b32_e32 v39, v30
	s_mov_b32 s2, exec_lo
	v_cmpx_lt_f32_e32 v13, v30
	s_cbranch_execz .LBB61_129
; %bb.128:
	v_dual_mov_b32 v29, v30 :: v_dual_mov_b32 v30, v13
	v_dual_mov_b32 v3, v42 :: v_dual_mov_b32 v4, v41
	;; [unrolled: 1-line block ×11, first 2 shown]
	v_mov_b32_e32 v39, v13
.LBB61_129:
	s_or_b32 exec_lo, exec_lo, s2
	s_delay_alu instid0(VALU_DEP_1)
	v_cmp_lt_f32_e32 vcc_lo, v39, v31
	v_dual_mov_b32 v40, v28 :: v_dual_mov_b32 v45, v33
	v_dual_mov_b32 v44, v32 :: v_dual_mov_b32 v47, v35
	v_dual_cndmask_b32 v13, v19, v18 :: v_dual_cndmask_b32 v18, v18, v19
	v_dual_cndmask_b32 v14, v5, v4 :: v_dual_cndmask_b32 v43, v31, v39
	v_dual_cndmask_b32 v4, v4, v5 :: v_dual_mov_b32 v39, v27
	v_dual_cndmask_b32 v42, v30, v31 :: v_dual_mov_b32 v41, v29
	v_dual_mov_b32 v46, v34 :: v_dual_mov_b32 v49, v37
	v_mov_b32_e32 v48, v36
	v_mov_b32_e32 v50, v38
	s_mov_b32 s2, exec_lo
	v_cmpx_lt_f32_e32 v27, v28
	s_cbranch_execz .LBB61_131
; %bb.130:
	v_dual_mov_b32 v28, v40 :: v_dual_mov_b32 v29, v39
	v_dual_mov_b32 v38, v49 :: v_dual_mov_b32 v39, v50
	;; [unrolled: 1-line block ×7, first 2 shown]
	v_mov_b32_e32 v5, v15
	v_swap_b32 v15, v16
	s_delay_alu instid0(VALU_DEP_4)
	v_mov_b32_e32 v48, v37
	v_swap_b32 v1, v2
	v_dual_mov_b32 v49, v38 :: v_dual_mov_b32 v46, v35
	v_dual_mov_b32 v47, v36 :: v_dual_mov_b32 v44, v33
	;; [unrolled: 1-line block ×4, first 2 shown]
	v_mov_b32_e32 v41, v30
	v_dual_mov_b32 v39, v28 :: v_dual_mov_b32 v28, v27
.LBB61_131:
	s_or_b32 exec_lo, exec_lo, s2
	v_mov_b32_e32 v5, v14
	v_mov_b32_e32 v19, v13
	;; [unrolled: 1-line block ×3, first 2 shown]
	s_mov_b32 s2, exec_lo
	v_cmpx_lt_f32_e32 v28, v41
	s_cbranch_execz .LBB61_133
; %bb.132:
	v_dual_mov_b32 v74, v26 :: v_dual_mov_b32 v73, v25
	v_dual_mov_b32 v62, v12 :: v_dual_mov_b32 v61, v11
	;; [unrolled: 1-line block ×22, first 2 shown]
	v_mov_b32_e32 v74, v26
	v_dual_mov_b32 v40, v41 :: v_dual_mov_b32 v41, v28
	v_dual_mov_b32 v62, v12 :: v_dual_mov_b32 v15, v63
	;; [unrolled: 1-line block ×14, first 2 shown]
.LBB61_133:
	s_or_b32 exec_lo, exec_lo, s2
	s_delay_alu instid0(VALU_DEP_1)
	v_cmp_lt_f32_e32 vcc_lo, v27, v42
	v_dual_mov_b32 v29, v24 :: v_dual_mov_b32 v32, v5
	v_dual_mov_b32 v31, v26 :: v_dual_mov_b32 v34, v7
	v_dual_cndmask_b32 v13, v18, v17 :: v_dual_cndmask_b32 v14, v4, v3
	v_cndmask_b32_e32 v51, v17, v18, vcc_lo
	v_dual_cndmask_b32 v59, v3, v4 :: v_dual_cndmask_b32 v60, v41, v42
	v_dual_cndmask_b32 v3, v42, v27 :: v_dual_mov_b32 v18, v21
	v_cmp_lt_f32_e32 vcc_lo, v39, v40
	v_dual_mov_b32 v4, v19 :: v_dual_mov_b32 v17, v20
	v_dual_mov_b32 v28, v23 :: v_dual_mov_b32 v27, v22
	;; [unrolled: 1-line block ×7, first 2 shown]
	v_mov_b32_e32 v58, v50
	v_dual_mov_b32 v52, v44 :: v_dual_mov_b32 v53, v45
	v_dual_mov_b32 v55, v47 :: v_dual_mov_b32 v56, v48
	v_mov_b32_e32 v57, v49
	s_and_saveexec_b32 s2, vcc_lo
	s_cbranch_execz .LBB61_135
; %bb.134:
	v_dual_mov_b32 v42, v40 :: v_dual_mov_b32 v27, v22
	v_dual_mov_b32 v4, v15 :: v_dual_mov_b32 v17, v20
	;; [unrolled: 1-line block ×3, first 2 shown]
	v_swap_b32 v15, v16
	v_swap_b32 v1, v2
	v_dual_mov_b32 v40, v39 :: v_dual_mov_b32 v29, v24
	v_dual_mov_b32 v4, v19 :: v_dual_mov_b32 v31, v26
	v_dual_mov_b32 v18, v21 :: v_dual_mov_b32 v33, v6
	v_dual_mov_b32 v28, v23 :: v_dual_mov_b32 v35, v8
	v_dual_mov_b32 v30, v25 :: v_dual_mov_b32 v37, v10
	v_dual_mov_b32 v32, v5 :: v_dual_mov_b32 v41, v12
	v_dual_mov_b32 v34, v7 :: v_dual_mov_b32 v39, v42
	v_dual_mov_b32 v36, v9 :: v_dual_mov_b32 v55, v47
	v_dual_mov_b32 v38, v11 :: v_dual_mov_b32 v53, v45
	v_dual_mov_b32 v42, v43 :: v_dual_mov_b32 v57, v49
	v_mov_b32_e32 v52, v44
	v_mov_b32_e32 v54, v46
	;; [unrolled: 1-line block ×4, first 2 shown]
.LBB61_135:
	s_or_b32 exec_lo, exec_lo, s2
	s_clause 0x1
	s_load_b32 s8, s[0:1], 0x28
	s_load_b128 s[4:7], s[0:1], 0x10
	v_mov_b32_e32 v6, 0
	s_waitcnt lgkmcnt(0)
	s_cmp_lt_i32 s8, 1
	s_cbranch_scc1 .LBB61_141
; %bb.136:
	v_cmp_lt_f32_e32 vcc_lo, v40, v60
	v_mov_b32_e32 v7, 0
	s_mov_b32 s9, 0x76543210
	s_mov_b32 s10, s8
	v_mov_b32_e32 v6, 0
	v_cndmask_b32_e32 v8, v60, v40, vcc_lo
	v_cndmask_b32_e32 v19, v61, v60, vcc_lo
	v_dual_cndmask_b32 v5, v59, v2 :: v_dual_cndmask_b32 v2, v2, v59
	v_dual_cndmask_b32 v9, v51, v16 :: v_dual_cndmask_b32 v20, v16, v51
	s_delay_alu instid0(VALU_DEP_3) | instskip(NEXT) | instid1(VALU_DEP_1)
	v_cmp_lt_f32_e64 s2, v39, v19
	v_cndmask_b32_e64 v10, v2, v1, s2
	v_cndmask_b32_e64 v11, v1, v2, s2
	;; [unrolled: 1-line block ×6, first 2 shown]
	v_dual_mov_b32 v20, v0 :: v_dual_mov_b32 v1, 0
	v_mov_b32_e32 v2, 0
.LBB61_137:                             ; =>This Inner Loop Header: Depth=1
	v_cmp_eq_u32_e32 vcc_lo, 1, v7
	v_cmp_eq_u32_e64 s2, 2, v7
	v_dual_cndmask_b32 v21, v16, v12 :: v_dual_cndmask_b32 v22, v11, v10
	s_delay_alu instid0(VALU_DEP_1) | instskip(NEXT) | instid1(VALU_DEP_2)
	v_cndmask_b32_e64 v21, v21, v8, s2
	v_cndmask_b32_e64 v22, v22, v5, s2
	v_cndmask_b32_e32 v23, v15, v19, vcc_lo
	v_cmp_eq_u32_e32 vcc_lo, 3, v7
	s_delay_alu instid0(VALU_DEP_3) | instskip(NEXT) | instid1(VALU_DEP_3)
	v_cndmask_b32_e32 v22, v22, v14, vcc_lo
	v_cndmask_b32_e64 v23, v23, v9, s2
	v_cmp_eq_u32_e64 s2, 4, v7
	s_delay_alu instid0(VALU_DEP_2) | instskip(NEXT) | instid1(VALU_DEP_2)
	v_cndmask_b32_e32 v23, v23, v13, vcc_lo
	v_cndmask_b32_e64 v22, v22, v32, s2
	v_cndmask_b32_e32 v21, v21, v3, vcc_lo
	v_cmp_eq_u32_e32 vcc_lo, 5, v7
	s_delay_alu instid0(VALU_DEP_4) | instskip(NEXT) | instid1(VALU_DEP_4)
	v_cndmask_b32_e64 v23, v23, v4, s2
	v_cndmask_b32_e32 v22, v22, v33, vcc_lo
	s_delay_alu instid0(VALU_DEP_4) | instskip(SKIP_1) | instid1(VALU_DEP_4)
	v_cndmask_b32_e64 v21, v21, v42, s2
	v_cmp_eq_u32_e64 s2, 6, v7
	v_cndmask_b32_e32 v23, v23, v17, vcc_lo
	s_delay_alu instid0(VALU_DEP_3) | instskip(SKIP_1) | instid1(VALU_DEP_4)
	v_cndmask_b32_e32 v21, v21, v52, vcc_lo
	v_cmp_eq_u32_e32 vcc_lo, 7, v7
	v_cndmask_b32_e64 v22, v22, v34, s2
	s_delay_alu instid0(VALU_DEP_4) | instskip(NEXT) | instid1(VALU_DEP_4)
	v_cndmask_b32_e64 v23, v23, v18, s2
	v_cndmask_b32_e64 v21, v21, v53, s2
	v_cmp_eq_u32_e64 s2, 8, v7
	s_delay_alu instid0(VALU_DEP_4) | instskip(NEXT) | instid1(VALU_DEP_4)
	v_cndmask_b32_e32 v22, v22, v35, vcc_lo
	v_cndmask_b32_e32 v23, v23, v27, vcc_lo
	s_delay_alu instid0(VALU_DEP_4) | instskip(SKIP_1) | instid1(VALU_DEP_4)
	v_cndmask_b32_e32 v21, v21, v54, vcc_lo
	v_cmp_eq_u32_e32 vcc_lo, 9, v7
	v_cndmask_b32_e64 v22, v22, v36, s2
	s_delay_alu instid0(VALU_DEP_4) | instskip(NEXT) | instid1(VALU_DEP_4)
	v_cndmask_b32_e64 v23, v23, v28, s2
	v_cndmask_b32_e64 v21, v21, v55, s2
	v_cmp_eq_u32_e64 s2, 10, v7
	s_delay_alu instid0(VALU_DEP_4) | instskip(NEXT) | instid1(VALU_DEP_4)
	v_cndmask_b32_e32 v22, v22, v37, vcc_lo
	v_cndmask_b32_e32 v23, v23, v29, vcc_lo
	s_delay_alu instid0(VALU_DEP_4) | instskip(SKIP_1) | instid1(VALU_DEP_4)
	v_cndmask_b32_e32 v21, v21, v56, vcc_lo
	v_cmp_eq_u32_e32 vcc_lo, 11, v7
	v_cndmask_b32_e64 v22, v22, v38, s2
	s_delay_alu instid0(VALU_DEP_4) | instskip(NEXT) | instid1(VALU_DEP_4)
	v_cndmask_b32_e64 v23, v23, v30, s2
	v_cndmask_b32_e64 v21, v21, v57, s2
	v_cmp_gt_u32_e64 s2, 12, v7
	s_delay_alu instid0(VALU_DEP_2) | instskip(NEXT) | instid1(VALU_DEP_1)
	v_dual_cndmask_b32 v22, v22, v41 :: v_dual_cndmask_b32 v21, v21, v58
	v_cndmask_b32_e64 v24, 0, v22, s2
	s_delay_alu instid0(VALU_DEP_2)
	v_cndmask_b32_e64 v21, 0xff800000, v21, s2
	;;#ASMSTART
	v_max_f32 v25, v21, v21 quad_perm:[1,0,3,2] row_mask:0xf bank_mask:0xf bound_ctrl:1
	;;#ASMEND
	;;#ASMSTART
	v_max_f32 v26, v25, v25 quad_perm:[2,3,0,1] row_mask:0xf bank_mask:0xf bound_ctrl:1
	;;#ASMEND
	;;#ASMSTART
	v_max_f32 v25, v26, v26 row_half_mirror row_mask:0xf bank_mask:0xf bound_ctrl:1
	;;#ASMEND
	;;#ASMSTART
	v_max_f32 v26, v25, v25 row_mirror row_mask:0xf bank_mask:0xf bound_ctrl:1
	;;#ASMEND
	v_permlanex16_b32 v25, v26, s9, 0xfedcba98 op_sel:[1,1]
	s_delay_alu instid0(VALU_DEP_1) | instskip(NEXT) | instid1(VALU_DEP_1)
	v_dual_max_f32 v26, v26, v26 :: v_dual_max_f32 v25, v25, v25
	v_max_f32_e32 v25, v26, v25
	s_delay_alu instid0(VALU_DEP_1) | instskip(SKIP_1) | instid1(VALU_DEP_2)
	v_cmp_eq_f32_e64 s3, v21, v25
	v_cndmask_b32_e32 v21, v23, v31, vcc_lo
	s_ctz_i32_b32 s11, s3
	s_cmp_lg_u32 s3, 0
	s_cselect_b32 s3, s11, 0
	s_add_i32 s10, s10, -1
	v_readlane_b32 s3, v24, s3
	s_delay_alu instid0(VALU_DEP_1)
	v_cmp_eq_u32_e32 vcc_lo, s3, v22
	s_and_b32 vcc_lo, s2, vcc_lo
	s_and_b32 s2, s3, 31
	v_cndmask_b32_e32 v21, 0, v21, vcc_lo
	v_add_co_ci_u32_e32 v7, vcc_lo, 0, v7, vcc_lo
	s_cmp_eq_u32 s10, 0
	s_delay_alu instid0(VALU_DEP_2) | instskip(SKIP_2) | instid1(VALU_DEP_3)
	v_readlane_b32 s11, v21, s2
	v_cmp_eq_u32_e64 s2, 0, v20
	v_add_nc_u32_e32 v20, -1, v20
	v_add_f32_e32 v6, s11, v6
	s_delay_alu instid0(VALU_DEP_3)
	v_cndmask_b32_e64 v2, v2, s11, s2
	v_cndmask_b32_e64 v1, v1, s3, s2
	s_cbranch_scc0 .LBB61_137
; %bb.138:
	s_mov_b32 s2, exec_lo
	v_cmpx_gt_i32_e64 s8, v0
	s_cbranch_execz .LBB61_140
.LBB61_139:
	s_load_b32 s2, s[0:1], 0x30
	v_max_f32_e32 v0, v6, v6
	s_load_b64 s[0:1], s[0:1], 0x20
	s_ashr_i32 s3, s15, 31
	s_delay_alu instid0(VALU_DEP_1) | instskip(SKIP_1) | instid1(VALU_DEP_1)
	v_max_f32_e32 v0, 0x1e3ce508, v0
	s_waitcnt lgkmcnt(0)
	v_div_scale_f32 v3, null, v0, v0, s2
	v_div_scale_f32 v6, vcc_lo, s2, v0, s2
	s_mul_i32 s1, s15, s1
	s_delay_alu instid0(VALU_DEP_2)
	v_rcp_f32_e32 v4, v3
	s_mul_hi_u32 s8, s15, s0
	s_mul_i32 s3, s3, s0
	s_add_i32 s1, s8, s1
	s_mul_i32 s0, s15, s0
	s_add_i32 s1, s1, s3
	s_delay_alu instid0(SALU_CYCLE_1) | instskip(SKIP_2) | instid1(VALU_DEP_1)
	s_lshl_b64 s[0:1], s[0:1], 2
	s_waitcnt_depctr 0xfff
	v_fma_f32 v5, -v3, v4, 1.0
	v_fmac_f32_e32 v4, v5, v4
	s_delay_alu instid0(VALU_DEP_1) | instskip(NEXT) | instid1(VALU_DEP_1)
	v_mul_f32_e32 v5, v6, v4
	v_fma_f32 v7, -v3, v5, v6
	s_delay_alu instid0(VALU_DEP_1) | instskip(NEXT) | instid1(VALU_DEP_1)
	v_fmac_f32_e32 v5, v7, v4
	v_fma_f32 v3, -v3, v5, v6
	s_delay_alu instid0(VALU_DEP_1) | instskip(NEXT) | instid1(VALU_DEP_1)
	v_div_fmas_f32 v3, v3, v4, v5
	v_div_fixup_f32 v0, v3, v0, s2
	s_add_u32 s2, s4, s0
	s_addc_u32 s3, s5, s1
	s_add_u32 s0, s6, s0
	s_addc_u32 s1, s7, s1
	v_mul_f32_e32 v0, v2, v0
	s_clause 0x1
	global_store_b32 v183, v0, s[2:3]
	global_store_b32 v183, v1, s[0:1]
.LBB61_140:
	s_endpgm
.LBB61_141:
	v_dual_mov_b32 v1, 0 :: v_dual_mov_b32 v2, 0
	s_mov_b32 s2, exec_lo
	v_cmpx_gt_i32_e64 s8, v0
	s_cbranch_execnz .LBB61_139
	s_branch .LBB61_140
	.section	.rodata,"a",@progbits
	.p2align	6, 0x0
	.amdhsa_kernel _ZN5aiter24topk_softplus_kernel_optIf6__halfLi384ELb1ELi0EEEvPKT_PKT0_PfPimiif
		.amdhsa_group_segment_fixed_size 0
		.amdhsa_private_segment_fixed_size 196
		.amdhsa_kernarg_size 52
		.amdhsa_user_sgpr_count 15
		.amdhsa_user_sgpr_dispatch_ptr 0
		.amdhsa_user_sgpr_queue_ptr 0
		.amdhsa_user_sgpr_kernarg_segment_ptr 1
		.amdhsa_user_sgpr_dispatch_id 0
		.amdhsa_user_sgpr_private_segment_size 0
		.amdhsa_wavefront_size32 1
		.amdhsa_uses_dynamic_stack 0
		.amdhsa_enable_private_segment 1
		.amdhsa_system_sgpr_workgroup_id_x 1
		.amdhsa_system_sgpr_workgroup_id_y 0
		.amdhsa_system_sgpr_workgroup_id_z 0
		.amdhsa_system_sgpr_workgroup_info 0
		.amdhsa_system_vgpr_workitem_id 0
		.amdhsa_next_free_vgpr 184
		.amdhsa_next_free_sgpr 16
		.amdhsa_reserve_vcc 1
		.amdhsa_float_round_mode_32 0
		.amdhsa_float_round_mode_16_64 0
		.amdhsa_float_denorm_mode_32 3
		.amdhsa_float_denorm_mode_16_64 3
		.amdhsa_dx10_clamp 1
		.amdhsa_ieee_mode 1
		.amdhsa_fp16_overflow 0
		.amdhsa_workgroup_processor_mode 1
		.amdhsa_memory_ordered 1
		.amdhsa_forward_progress 0
		.amdhsa_shared_vgpr_count 0
		.amdhsa_exception_fp_ieee_invalid_op 0
		.amdhsa_exception_fp_denorm_src 0
		.amdhsa_exception_fp_ieee_div_zero 0
		.amdhsa_exception_fp_ieee_overflow 0
		.amdhsa_exception_fp_ieee_underflow 0
		.amdhsa_exception_fp_ieee_inexact 0
		.amdhsa_exception_int_div_zero 0
	.end_amdhsa_kernel
	.section	.text._ZN5aiter24topk_softplus_kernel_optIf6__halfLi384ELb1ELi0EEEvPKT_PKT0_PfPimiif,"axG",@progbits,_ZN5aiter24topk_softplus_kernel_optIf6__halfLi384ELb1ELi0EEEvPKT_PKT0_PfPimiif,comdat
.Lfunc_end61:
	.size	_ZN5aiter24topk_softplus_kernel_optIf6__halfLi384ELb1ELi0EEEvPKT_PKT0_PfPimiif, .Lfunc_end61-_ZN5aiter24topk_softplus_kernel_optIf6__halfLi384ELb1ELi0EEEvPKT_PKT0_PfPimiif
                                        ; -- End function
	.section	.AMDGPU.csdata,"",@progbits
; Kernel info:
; codeLenInByte = 30508
; NumSgprs: 18
; NumVgprs: 184
; ScratchSize: 196
; MemoryBound: 0
; FloatMode: 240
; IeeeMode: 1
; LDSByteSize: 0 bytes/workgroup (compile time only)
; SGPRBlocks: 2
; VGPRBlocks: 22
; NumSGPRsForWavesPerEU: 18
; NumVGPRsForWavesPerEU: 184
; Occupancy: 8
; WaveLimiterHint : 0
; COMPUTE_PGM_RSRC2:SCRATCH_EN: 1
; COMPUTE_PGM_RSRC2:USER_SGPR: 15
; COMPUTE_PGM_RSRC2:TRAP_HANDLER: 0
; COMPUTE_PGM_RSRC2:TGID_X_EN: 1
; COMPUTE_PGM_RSRC2:TGID_Y_EN: 0
; COMPUTE_PGM_RSRC2:TGID_Z_EN: 0
; COMPUTE_PGM_RSRC2:TIDIG_COMP_CNT: 0
	.section	.text._ZN5aiter24topk_softplus_kernel_optIf6__halfLi384ELb0ELi0EEEvPKT_PKT0_PfPimiif,"axG",@progbits,_ZN5aiter24topk_softplus_kernel_optIf6__halfLi384ELb0ELi0EEEvPKT_PKT0_PfPimiif,comdat
	.protected	_ZN5aiter24topk_softplus_kernel_optIf6__halfLi384ELb0ELi0EEEvPKT_PKT0_PfPimiif ; -- Begin function _ZN5aiter24topk_softplus_kernel_optIf6__halfLi384ELb0ELi0EEEvPKT_PKT0_PfPimiif
	.globl	_ZN5aiter24topk_softplus_kernel_optIf6__halfLi384ELb0ELi0EEEvPKT_PKT0_PfPimiif
	.p2align	8
	.type	_ZN5aiter24topk_softplus_kernel_optIf6__halfLi384ELb0ELi0EEEvPKT_PKT0_PfPimiif,@function
_ZN5aiter24topk_softplus_kernel_optIf6__halfLi384ELb0ELi0EEEvPKT_PKT0_PfPimiif: ; @_ZN5aiter24topk_softplus_kernel_optIf6__halfLi384ELb0ELi0EEEvPKT_PKT0_PfPimiif
; %bb.0:
	s_load_b128 s[4:7], s[0:1], 0x0
	s_mul_i32 s2, s15, 0x180
	v_lshlrev_b32_e32 v183, 2, v0
	s_ashr_i32 s3, s2, 31
	s_delay_alu instid0(SALU_CYCLE_1)
	s_lshl_b64 s[2:3], s[2:3], 2
	s_waitcnt lgkmcnt(0)
	s_add_u32 s4, s4, s2
	s_addc_u32 s5, s5, s3
	s_cmp_lg_u64 s[6:7], 0
	global_load_b32 v1, v183, s[4:5]
	s_cselect_b32 s3, -1, 0
	s_waitcnt vmcnt(0)
	v_mul_f32_e32 v2, 0x3fb8aa3b, v1
	s_delay_alu instid0(VALU_DEP_1) | instskip(SKIP_2) | instid1(VALU_DEP_2)
	v_cmp_gt_f32_e32 vcc_lo, 0xc2fc0000, v2
	v_cndmask_b32_e64 v2, 0, 0x42800000, vcc_lo
	v_cndmask_b32_e64 v3, 1.0, 0x1f800000, vcc_lo
	v_fmac_f32_e32 v2, 0x3fb8aa3b, v1
	s_delay_alu instid0(VALU_DEP_1) | instskip(SKIP_2) | instid1(VALU_DEP_1)
	v_exp_f32_e32 v2, v2
	s_waitcnt_depctr 0xfff
	v_fma_f32 v2, v2, v3, 1.0
	v_cmp_gt_f32_e32 vcc_lo, 0x800000, v2
	v_cndmask_b32_e64 v3, 1.0, 0x4f800000, vcc_lo
	s_delay_alu instid0(VALU_DEP_1) | instskip(SKIP_2) | instid1(VALU_DEP_3)
	v_mul_f32_e32 v2, v2, v3
	v_cndmask_b32_e64 v3, 0, 0x42000000, vcc_lo
	v_cmp_lt_f32_e32 vcc_lo, 0x41a00000, v1
	v_log_f32_e32 v2, v2
	s_waitcnt_depctr 0xfff
	v_sub_f32_e32 v2, v2, v3
	s_delay_alu instid0(VALU_DEP_1) | instskip(NEXT) | instid1(VALU_DEP_1)
	v_mul_f32_e32 v2, 0x3f317218, v2
	v_cndmask_b32_e32 v1, v2, v1, vcc_lo
	s_delay_alu instid0(VALU_DEP_1) | instskip(SKIP_1) | instid1(VALU_DEP_2)
	v_mul_f32_e32 v2, 0x4f800000, v1
	v_cmp_gt_f32_e32 vcc_lo, 0xf800000, v1
	v_cndmask_b32_e32 v1, v1, v2, vcc_lo
	s_delay_alu instid0(VALU_DEP_1) | instskip(SKIP_3) | instid1(VALU_DEP_2)
	v_sqrt_f32_e32 v2, v1
	s_waitcnt_depctr 0xfff
	v_add_nc_u32_e32 v3, -1, v2
	v_add_nc_u32_e32 v4, 1, v2
	v_fma_f32 v5, -v3, v2, v1
	s_delay_alu instid0(VALU_DEP_2) | instskip(NEXT) | instid1(VALU_DEP_2)
	v_fma_f32 v6, -v4, v2, v1
	v_cmp_ge_f32_e64 s2, 0, v5
	s_delay_alu instid0(VALU_DEP_1) | instskip(NEXT) | instid1(VALU_DEP_3)
	v_cndmask_b32_e64 v2, v2, v3, s2
	v_cmp_lt_f32_e64 s2, 0, v6
	s_delay_alu instid0(VALU_DEP_1) | instskip(SKIP_1) | instid1(VALU_DEP_1)
	v_cndmask_b32_e64 v2, v2, v4, s2
	v_add_co_u32 v12, s2, s4, v183
	v_add_co_ci_u32_e64 v13, null, s5, 0, s2
	s_delay_alu instid0(VALU_DEP_3) | instskip(NEXT) | instid1(VALU_DEP_1)
	v_mul_f32_e32 v3, 0x37800000, v2
	v_cndmask_b32_e32 v2, v2, v3, vcc_lo
	v_cmp_class_f32_e64 vcc_lo, v1, 0x260
	s_delay_alu instid0(VALU_DEP_2) | instskip(SKIP_2) | instid1(VALU_DEP_2)
	v_cndmask_b32_e32 v49, v2, v1, vcc_lo
	v_lshlrev_b32_e32 v1, 1, v0
	s_and_b32 vcc_lo, exec_lo, s3
	v_mov_b32_e32 v37, v49
	s_cbranch_vccz .LBB62_2
; %bb.1:
	global_load_u16 v2, v1, s[6:7]
	s_waitcnt vmcnt(0)
	v_cvt_f32_f16_e32 v2, v2
	s_delay_alu instid0(VALU_DEP_1)
	v_add_f32_e32 v37, v49, v2
.LBB62_2:
	global_load_b32 v2, v[12:13], off offset:128
	v_cndmask_b32_e64 v14, 0, 1, s3
	s_waitcnt vmcnt(0)
	v_mul_f32_e32 v3, 0x3fb8aa3b, v2
	s_delay_alu instid0(VALU_DEP_1) | instskip(SKIP_2) | instid1(VALU_DEP_2)
	v_cmp_gt_f32_e32 vcc_lo, 0xc2fc0000, v3
	v_cndmask_b32_e64 v4, 0, 0x42800000, vcc_lo
	v_cndmask_b32_e64 v3, 1.0, 0x1f800000, vcc_lo
	v_fmac_f32_e32 v4, 0x3fb8aa3b, v2
	s_delay_alu instid0(VALU_DEP_1) | instskip(SKIP_2) | instid1(VALU_DEP_1)
	v_exp_f32_e32 v4, v4
	s_waitcnt_depctr 0xfff
	v_fma_f32 v3, v4, v3, 1.0
	v_cmp_gt_f32_e32 vcc_lo, 0x800000, v3
	v_cndmask_b32_e64 v4, 1.0, 0x4f800000, vcc_lo
	s_delay_alu instid0(VALU_DEP_1) | instskip(SKIP_2) | instid1(VALU_DEP_3)
	v_mul_f32_e32 v3, v3, v4
	v_cndmask_b32_e64 v4, 0, 0x42000000, vcc_lo
	v_cmp_lt_f32_e32 vcc_lo, 0x41a00000, v2
	v_log_f32_e32 v3, v3
	s_waitcnt_depctr 0xfff
	v_sub_f32_e32 v3, v3, v4
	s_delay_alu instid0(VALU_DEP_1) | instskip(NEXT) | instid1(VALU_DEP_1)
	v_mul_f32_e32 v3, 0x3f317218, v3
	v_cndmask_b32_e32 v2, v3, v2, vcc_lo
	s_delay_alu instid0(VALU_DEP_1) | instskip(SKIP_1) | instid1(VALU_DEP_2)
	v_mul_f32_e32 v3, 0x4f800000, v2
	v_cmp_gt_f32_e32 vcc_lo, 0xf800000, v2
	v_cndmask_b32_e32 v2, v2, v3, vcc_lo
	s_delay_alu instid0(VALU_DEP_1) | instskip(SKIP_3) | instid1(VALU_DEP_2)
	v_sqrt_f32_e32 v3, v2
	s_waitcnt_depctr 0xfff
	v_add_nc_u32_e32 v4, -1, v3
	v_add_nc_u32_e32 v5, 1, v3
	v_fma_f32 v6, -v4, v3, v2
	s_delay_alu instid0(VALU_DEP_2) | instskip(NEXT) | instid1(VALU_DEP_2)
	v_fma_f32 v7, -v5, v3, v2
	v_cmp_ge_f32_e64 s2, 0, v6
	s_delay_alu instid0(VALU_DEP_1) | instskip(NEXT) | instid1(VALU_DEP_3)
	v_cndmask_b32_e64 v3, v3, v4, s2
	v_cmp_lt_f32_e64 s2, 0, v7
	s_delay_alu instid0(VALU_DEP_1) | instskip(NEXT) | instid1(VALU_DEP_1)
	v_cndmask_b32_e64 v3, v3, v5, s2
	v_mul_f32_e32 v4, 0x37800000, v3
	s_delay_alu instid0(VALU_DEP_1) | instskip(SKIP_1) | instid1(VALU_DEP_2)
	v_cndmask_b32_e32 v3, v3, v4, vcc_lo
	v_cmp_class_f32_e64 vcc_lo, v2, 0x260
	v_cndmask_b32_e32 v2, v3, v2, vcc_lo
	s_and_not1_b32 vcc_lo, exec_lo, s3
	s_delay_alu instid0(VALU_DEP_1)
	v_mov_b32_e32 v38, v2
	s_cbranch_vccnz .LBB62_4
; %bb.3:
	global_load_u16 v3, v1, s[6:7] offset:64
	s_waitcnt vmcnt(0)
	v_cvt_f32_f16_e32 v3, v3
	s_delay_alu instid0(VALU_DEP_1)
	v_add_f32_e32 v38, v2, v3
.LBB62_4:
	global_load_b32 v3, v[12:13], off offset:256
	s_waitcnt vmcnt(0)
	v_mul_f32_e32 v4, 0x3fb8aa3b, v3
	s_delay_alu instid0(VALU_DEP_1) | instskip(SKIP_2) | instid1(VALU_DEP_2)
	v_cmp_gt_f32_e32 vcc_lo, 0xc2fc0000, v4
	v_cndmask_b32_e64 v5, 0, 0x42800000, vcc_lo
	v_cndmask_b32_e64 v4, 1.0, 0x1f800000, vcc_lo
	v_fmac_f32_e32 v5, 0x3fb8aa3b, v3
	s_delay_alu instid0(VALU_DEP_1) | instskip(SKIP_2) | instid1(VALU_DEP_1)
	v_exp_f32_e32 v5, v5
	s_waitcnt_depctr 0xfff
	v_fma_f32 v4, v5, v4, 1.0
	v_cmp_gt_f32_e32 vcc_lo, 0x800000, v4
	v_cndmask_b32_e64 v5, 1.0, 0x4f800000, vcc_lo
	s_delay_alu instid0(VALU_DEP_1) | instskip(SKIP_2) | instid1(VALU_DEP_3)
	v_mul_f32_e32 v4, v4, v5
	v_cndmask_b32_e64 v5, 0, 0x42000000, vcc_lo
	v_cmp_lt_f32_e32 vcc_lo, 0x41a00000, v3
	v_log_f32_e32 v4, v4
	s_waitcnt_depctr 0xfff
	v_sub_f32_e32 v4, v4, v5
	s_delay_alu instid0(VALU_DEP_1) | instskip(NEXT) | instid1(VALU_DEP_1)
	v_mul_f32_e32 v4, 0x3f317218, v4
	v_cndmask_b32_e32 v3, v4, v3, vcc_lo
	s_delay_alu instid0(VALU_DEP_1) | instskip(SKIP_1) | instid1(VALU_DEP_2)
	v_mul_f32_e32 v4, 0x4f800000, v3
	v_cmp_gt_f32_e32 vcc_lo, 0xf800000, v3
	v_cndmask_b32_e32 v3, v3, v4, vcc_lo
	s_delay_alu instid0(VALU_DEP_1) | instskip(SKIP_3) | instid1(VALU_DEP_2)
	v_sqrt_f32_e32 v4, v3
	s_waitcnt_depctr 0xfff
	v_add_nc_u32_e32 v5, -1, v4
	v_add_nc_u32_e32 v6, 1, v4
	v_fma_f32 v7, -v5, v4, v3
	s_delay_alu instid0(VALU_DEP_2) | instskip(NEXT) | instid1(VALU_DEP_2)
	v_fma_f32 v8, -v6, v4, v3
	v_cmp_ge_f32_e64 s2, 0, v7
	s_delay_alu instid0(VALU_DEP_1) | instskip(NEXT) | instid1(VALU_DEP_3)
	v_cndmask_b32_e64 v4, v4, v5, s2
	v_cmp_lt_f32_e64 s2, 0, v8
	s_delay_alu instid0(VALU_DEP_1) | instskip(NEXT) | instid1(VALU_DEP_1)
	v_cndmask_b32_e64 v4, v4, v6, s2
	v_mul_f32_e32 v5, 0x37800000, v4
	s_delay_alu instid0(VALU_DEP_1) | instskip(SKIP_1) | instid1(VALU_DEP_2)
	v_cndmask_b32_e32 v4, v4, v5, vcc_lo
	v_cmp_class_f32_e64 vcc_lo, v3, 0x260
	v_cndmask_b32_e32 v3, v4, v3, vcc_lo
	v_cmp_ne_u32_e32 vcc_lo, 1, v14
	s_delay_alu instid0(VALU_DEP_2)
	v_mov_b32_e32 v39, v3
	s_cbranch_vccnz .LBB62_6
; %bb.5:
	global_load_u16 v4, v1, s[6:7] offset:128
	s_waitcnt vmcnt(0)
	v_cvt_f32_f16_e32 v4, v4
	s_delay_alu instid0(VALU_DEP_1)
	v_add_f32_e32 v39, v3, v4
.LBB62_6:
	global_load_b32 v4, v[12:13], off offset:384
	s_waitcnt vmcnt(0)
	v_mul_f32_e32 v5, 0x3fb8aa3b, v4
	s_delay_alu instid0(VALU_DEP_1) | instskip(SKIP_2) | instid1(VALU_DEP_2)
	v_cmp_gt_f32_e32 vcc_lo, 0xc2fc0000, v5
	v_cndmask_b32_e64 v6, 0, 0x42800000, vcc_lo
	v_cndmask_b32_e64 v5, 1.0, 0x1f800000, vcc_lo
	v_fmac_f32_e32 v6, 0x3fb8aa3b, v4
	s_delay_alu instid0(VALU_DEP_1) | instskip(SKIP_2) | instid1(VALU_DEP_1)
	v_exp_f32_e32 v6, v6
	s_waitcnt_depctr 0xfff
	v_fma_f32 v5, v6, v5, 1.0
	v_cmp_gt_f32_e32 vcc_lo, 0x800000, v5
	v_cndmask_b32_e64 v6, 1.0, 0x4f800000, vcc_lo
	s_delay_alu instid0(VALU_DEP_1) | instskip(SKIP_2) | instid1(VALU_DEP_3)
	v_mul_f32_e32 v5, v5, v6
	v_cndmask_b32_e64 v6, 0, 0x42000000, vcc_lo
	v_cmp_lt_f32_e32 vcc_lo, 0x41a00000, v4
	v_log_f32_e32 v5, v5
	s_waitcnt_depctr 0xfff
	v_sub_f32_e32 v5, v5, v6
	s_delay_alu instid0(VALU_DEP_1) | instskip(NEXT) | instid1(VALU_DEP_1)
	v_mul_f32_e32 v5, 0x3f317218, v5
	v_cndmask_b32_e32 v4, v5, v4, vcc_lo
	s_delay_alu instid0(VALU_DEP_1) | instskip(SKIP_1) | instid1(VALU_DEP_2)
	v_mul_f32_e32 v5, 0x4f800000, v4
	v_cmp_gt_f32_e32 vcc_lo, 0xf800000, v4
	v_cndmask_b32_e32 v4, v4, v5, vcc_lo
	s_delay_alu instid0(VALU_DEP_1) | instskip(SKIP_3) | instid1(VALU_DEP_2)
	v_sqrt_f32_e32 v5, v4
	s_waitcnt_depctr 0xfff
	v_add_nc_u32_e32 v6, -1, v5
	v_add_nc_u32_e32 v7, 1, v5
	v_fma_f32 v8, -v6, v5, v4
	s_delay_alu instid0(VALU_DEP_2) | instskip(NEXT) | instid1(VALU_DEP_2)
	v_fma_f32 v9, -v7, v5, v4
	v_cmp_ge_f32_e64 s2, 0, v8
	s_delay_alu instid0(VALU_DEP_1) | instskip(NEXT) | instid1(VALU_DEP_3)
	v_cndmask_b32_e64 v5, v5, v6, s2
	v_cmp_lt_f32_e64 s2, 0, v9
	s_delay_alu instid0(VALU_DEP_1) | instskip(NEXT) | instid1(VALU_DEP_1)
	v_cndmask_b32_e64 v5, v5, v7, s2
	v_mul_f32_e32 v6, 0x37800000, v5
	s_delay_alu instid0(VALU_DEP_1) | instskip(SKIP_1) | instid1(VALU_DEP_2)
	v_cndmask_b32_e32 v5, v5, v6, vcc_lo
	v_cmp_class_f32_e64 vcc_lo, v4, 0x260
	v_cndmask_b32_e32 v4, v5, v4, vcc_lo
	v_cmp_ne_u32_e32 vcc_lo, 1, v14
	s_delay_alu instid0(VALU_DEP_2)
	;; [unrolled: 58-line block ×9, first 2 shown]
	v_mov_b32_e32 v47, v11
	s_cbranch_vccnz .LBB62_22
; %bb.21:
	global_load_u16 v15, v1, s[6:7] offset:640
	s_waitcnt vmcnt(0)
	v_cvt_f32_f16_e32 v15, v15
	s_delay_alu instid0(VALU_DEP_1)
	v_add_f32_e32 v47, v11, v15
.LBB62_22:
	global_load_b32 v12, v[12:13], off offset:1408
	s_waitcnt vmcnt(0)
	v_mul_f32_e32 v13, 0x3fb8aa3b, v12
	s_delay_alu instid0(VALU_DEP_1) | instskip(SKIP_2) | instid1(VALU_DEP_2)
	v_cmp_gt_f32_e32 vcc_lo, 0xc2fc0000, v13
	v_cndmask_b32_e64 v15, 0, 0x42800000, vcc_lo
	v_cndmask_b32_e64 v13, 1.0, 0x1f800000, vcc_lo
	v_fmac_f32_e32 v15, 0x3fb8aa3b, v12
	s_delay_alu instid0(VALU_DEP_1) | instskip(SKIP_2) | instid1(VALU_DEP_1)
	v_exp_f32_e32 v15, v15
	s_waitcnt_depctr 0xfff
	v_fma_f32 v13, v15, v13, 1.0
	v_cmp_gt_f32_e32 vcc_lo, 0x800000, v13
	v_cndmask_b32_e64 v15, 1.0, 0x4f800000, vcc_lo
	s_delay_alu instid0(VALU_DEP_1) | instskip(SKIP_2) | instid1(VALU_DEP_3)
	v_mul_f32_e32 v13, v13, v15
	v_cndmask_b32_e64 v15, 0, 0x42000000, vcc_lo
	v_cmp_lt_f32_e32 vcc_lo, 0x41a00000, v12
	v_log_f32_e32 v13, v13
	s_waitcnt_depctr 0xfff
	v_sub_f32_e32 v13, v13, v15
	s_delay_alu instid0(VALU_DEP_1) | instskip(NEXT) | instid1(VALU_DEP_1)
	v_mul_f32_e32 v13, 0x3f317218, v13
	v_cndmask_b32_e32 v12, v13, v12, vcc_lo
	s_delay_alu instid0(VALU_DEP_1) | instskip(SKIP_1) | instid1(VALU_DEP_2)
	v_mul_f32_e32 v13, 0x4f800000, v12
	v_cmp_gt_f32_e32 vcc_lo, 0xf800000, v12
	v_cndmask_b32_e32 v12, v12, v13, vcc_lo
	s_delay_alu instid0(VALU_DEP_1) | instskip(SKIP_3) | instid1(VALU_DEP_2)
	v_sqrt_f32_e32 v13, v12
	s_waitcnt_depctr 0xfff
	v_add_nc_u32_e32 v15, -1, v13
	v_add_nc_u32_e32 v16, 1, v13
	v_fma_f32 v17, -v15, v13, v12
	s_delay_alu instid0(VALU_DEP_2) | instskip(NEXT) | instid1(VALU_DEP_2)
	v_fma_f32 v18, -v16, v13, v12
	v_cmp_ge_f32_e64 s2, 0, v17
	s_delay_alu instid0(VALU_DEP_1) | instskip(NEXT) | instid1(VALU_DEP_3)
	v_cndmask_b32_e64 v13, v13, v15, s2
	v_cmp_lt_f32_e64 s2, 0, v18
	s_delay_alu instid0(VALU_DEP_1) | instskip(NEXT) | instid1(VALU_DEP_1)
	v_cndmask_b32_e64 v13, v13, v16, s2
	v_mul_f32_e32 v15, 0x37800000, v13
	s_delay_alu instid0(VALU_DEP_1) | instskip(SKIP_1) | instid1(VALU_DEP_2)
	v_cndmask_b32_e32 v13, v13, v15, vcc_lo
	v_cmp_class_f32_e64 vcc_lo, v12, 0x260
	v_cndmask_b32_e32 v12, v13, v12, vcc_lo
	v_cmp_ne_u32_e32 vcc_lo, 1, v14
	s_cbranch_vccnz .LBB62_24
; %bb.23:
	global_load_u16 v1, v1, s[6:7] offset:704
	s_waitcnt vmcnt(0)
	v_cvt_f32_f16_e32 v1, v1
	s_delay_alu instid0(VALU_DEP_1)
	v_add_f32_e32 v48, v12, v1
	s_branch .LBB62_25
.LBB62_24:
	s_delay_alu instid0(VALU_DEP_2)
	v_mov_b32_e32 v48, v12
.LBB62_25:
	v_dual_mov_b32 v13, v37 :: v_dual_add_nc_u32 v26, 32, v0
	v_dual_mov_b32 v14, v38 :: v_dual_add_nc_u32 v27, 64, v0
	v_dual_mov_b32 v15, v39 :: v_dual_add_nc_u32 v28, 0x60, v0
	v_dual_mov_b32 v16, v40 :: v_dual_add_nc_u32 v29, 0x80, v0
	v_dual_mov_b32 v17, v41 :: v_dual_add_nc_u32 v30, 0xa0, v0
	v_dual_mov_b32 v18, v42 :: v_dual_add_nc_u32 v31, 0xc0, v0
	v_dual_mov_b32 v19, v43 :: v_dual_add_nc_u32 v32, 0xe0, v0
	v_dual_mov_b32 v20, v44 :: v_dual_add_nc_u32 v33, 0x100, v0
	v_dual_mov_b32 v21, v45 :: v_dual_add_nc_u32 v34, 0x120, v0
	v_dual_mov_b32 v22, v46 :: v_dual_add_nc_u32 v35, 0x140, v0
	v_dual_mov_b32 v23, v47 :: v_dual_add_nc_u32 v36, 0x160, v0
	v_dual_mov_b32 v24, v48 :: v_dual_mov_b32 v1, v49
	v_mov_b32_e32 v25, v0
	s_mov_b32 s2, exec_lo
	v_cmpx_lt_f32_e32 v37, v38
	s_xor_b32 s2, exec_lo, s2
; %bb.26:
	v_dual_mov_b32 v13, v38 :: v_dual_mov_b32 v14, v37
	v_dual_mov_b32 v15, v39 :: v_dual_mov_b32 v16, v40
	;; [unrolled: 1-line block ×8, first 2 shown]
	v_mov_b32_e32 v26, v0
; %bb.27:
	s_or_b32 exec_lo, exec_lo, s2
	v_dual_mov_b32 v37, v15 :: v_dual_mov_b32 v86, v12
	v_dual_mov_b32 v75, v1 :: v_dual_mov_b32 v146, v12
	;; [unrolled: 1-line block ×36, first 2 shown]
	s_clause 0x8
	scratch_store_b128 off, v[1:4], off
	scratch_store_b128 off, v[5:8], off offset:16
	scratch_store_b128 off, v[9:12], off offset:32
	;; [unrolled: 1-line block ×8, first 2 shown]
	v_dual_mov_b32 v73, v35 :: v_dual_mov_b32 v72, v34
	v_dual_mov_b32 v71, v33 :: v_dual_mov_b32 v70, v32
	;; [unrolled: 1-line block ×30, first 2 shown]
	v_mov_b32_e32 v159, v25
	s_clause 0x2
	scratch_store_b128 off, v[25:28], off offset:144
	scratch_store_b128 off, v[29:32], off offset:160
	;; [unrolled: 1-line block ×3, first 2 shown]
	s_mov_b32 s2, exec_lo
	v_dual_mov_b32 v182, v36 :: v_dual_mov_b32 v181, v35
	v_dual_mov_b32 v180, v34 :: v_dual_mov_b32 v179, v33
	;; [unrolled: 1-line block ×6, first 2 shown]
	v_cmpx_lt_f32_e32 v38, v15
	s_cbranch_execz .LBB62_29
; %bb.28:
	v_dual_mov_b32 v37, v38 :: v_dual_mov_b32 v182, v36
	v_dual_mov_b32 v173, v27 :: v_dual_mov_b32 v172, v26
	;; [unrolled: 1-line block ×14, first 2 shown]
	v_mov_b32_e32 v125, v2
	v_dual_mov_b32 v159, v171 :: v_dual_mov_b32 v162, v174
	v_dual_mov_b32 v161, v173 :: v_dual_mov_b32 v164, v176
	;; [unrolled: 1-line block ×6, first 2 shown]
	v_mov_b32_e32 v162, v28
	s_clause 0x2
	scratch_store_b128 off, v[123:126], off offset:96
	scratch_store_b128 off, v[127:130], off offset:112
	;; [unrolled: 1-line block ×3, first 2 shown]
	v_dual_mov_b32 v14, v15 :: v_dual_mov_b32 v15, v38
	v_dual_mov_b32 v43, v164 :: v_dual_mov_b32 v44, v165
	;; [unrolled: 1-line block ×7, first 2 shown]
	s_clause 0x2
	scratch_store_b128 off, v[38:41], off offset:144
	scratch_store_b128 off, v[42:45], off offset:160
	;; [unrolled: 1-line block ×3, first 2 shown]
	v_mov_b32_e32 v163, v29
	v_mov_b32_e32 v27, v26
	v_dual_mov_b32 v43, v128 :: v_dual_mov_b32 v44, v129
	v_dual_mov_b32 v47, v132 :: v_dual_mov_b32 v38, v123
	;; [unrolled: 1-line block ×5, first 2 shown]
	v_mov_b32_e32 v41, v126
	v_dual_mov_b32 v147, v159 :: v_dual_mov_b32 v154, v166
	v_mov_b32_e32 v148, v160
	v_mov_b32_e32 v150, v162
	s_clause 0x2
	scratch_store_b128 off, v[38:41], off offset:48
	scratch_store_b128 off, v[42:45], off offset:64
	;; [unrolled: 1-line block ×3, first 2 shown]
	v_dual_mov_b32 v127, v5 :: v_dual_mov_b32 v152, v164
	v_dual_mov_b32 v153, v165 :: v_dual_mov_b32 v152, v30
	;; [unrolled: 1-line block ×7, first 2 shown]
	v_mov_b32_e32 v41, v126
	v_dual_mov_b32 v128, v6 :: v_dual_mov_b32 v99, v147
	v_dual_mov_b32 v105, v153 :: v_dual_mov_b32 v106, v154
	;; [unrolled: 1-line block ×3, first 2 shown]
	v_mov_b32_e32 v105, v31
	v_dual_mov_b32 v103, v151 :: v_dual_mov_b32 v104, v152
	v_dual_mov_b32 v107, v155 :: v_dual_mov_b32 v108, v156
	v_dual_mov_b32 v51, v123 :: v_dual_mov_b32 v54, v126
	v_dual_mov_b32 v100, v148 :: v_dual_mov_b32 v101, v149
	v_dual_mov_b32 v102, v150 :: v_dual_mov_b32 v59, v131
	v_dual_mov_b32 v62, v134 :: v_dual_mov_b32 v57, v129
	v_mov_b32_e32 v60, v132
	v_dual_mov_b32 v52, v124 :: v_dual_mov_b32 v55, v127
	v_dual_mov_b32 v58, v130 :: v_dual_mov_b32 v61, v133
	v_mov_b32_e32 v57, v7
	v_dual_mov_b32 v53, v125 :: v_dual_mov_b32 v56, v128
	s_clause 0x2
	scratch_store_b128 off, v[38:41], off
	scratch_store_b128 off, v[42:45], off offset:16
	scratch_store_b128 off, v[46:49], off offset:32
	v_dual_mov_b32 v39, v99 :: v_dual_mov_b32 v44, v104
	v_dual_mov_b32 v45, v105 :: v_dual_mov_b32 v50, v110
	;; [unrolled: 1-line block ×6, first 2 shown]
	v_mov_b32_e32 v122, v62
	v_dual_mov_b32 v46, v32 :: v_dual_mov_b32 v111, v51
	v_dual_mov_b32 v121, v61 :: v_dual_mov_b32 v120, v60
	;; [unrolled: 1-line block ×6, first 2 shown]
	v_mov_b32_e32 v118, v8
	v_dual_mov_b32 v98, v50 :: v_dual_mov_b32 v97, v49
	v_dual_mov_b32 v96, v48 :: v_dual_mov_b32 v95, v47
	;; [unrolled: 1-line block ×7, first 2 shown]
	v_mov_b32_e32 v135, v111
	v_dual_mov_b32 v3, v2 :: v_dual_mov_b32 v144, v120
	v_dual_mov_b32 v145, v121 :: v_dual_mov_b32 v142, v118
	;; [unrolled: 1-line block ×5, first 2 shown]
	v_mov_b32_e32 v137, v113
	v_mov_b32_e32 v143, v9
	v_dual_mov_b32 v63, v87 :: v_dual_mov_b32 v70, v94
	v_mov_b32_e32 v64, v88
	v_mov_b32_e32 v66, v90
	v_dual_mov_b32 v68, v92 :: v_dual_mov_b32 v75, v135
	v_dual_mov_b32 v80, v140 :: v_dual_mov_b32 v65, v89
	;; [unrolled: 1-line block ×13, first 2 shown]
.LBB62_29:
	s_or_b32 exec_lo, exec_lo, s2
	v_mov_b32_e32 v1, v16
	s_mov_b32 s2, exec_lo
	v_cmpx_lt_f32_e32 v37, v16
	s_cbranch_execz .LBB62_31
; %bb.30:
	s_clause 0x2
	scratch_load_b128 v[38:41], off, off offset:96
	scratch_load_b128 v[42:45], off, off offset:112
	;; [unrolled: 1-line block ×3, first 2 shown]
	v_mov_b32_e32 v173, v28
	v_dual_mov_b32 v15, v16 :: v_dual_mov_b32 v16, v37
	v_dual_mov_b32 v1, v37 :: v_dual_mov_b32 v28, v27
	s_waitcnt vmcnt(2)
	v_dual_mov_b32 v124, v39 :: v_dual_mov_b32 v123, v38
	s_waitcnt vmcnt(0)
	v_dual_mov_b32 v134, v49 :: v_dual_mov_b32 v125, v4
	v_dual_mov_b32 v159, v171 :: v_dual_mov_b32 v160, v172
	v_mov_b32_e32 v162, v174
	v_dual_mov_b32 v38, v123 :: v_dual_mov_b32 v39, v124
	v_dual_mov_b32 v161, v173 :: v_dual_mov_b32 v164, v176
	;; [unrolled: 1-line block ×10, first 2 shown]
	v_mov_b32_e32 v126, v41
	s_clause 0x2
	scratch_store_b128 off, v[38:41], off offset:96
	scratch_store_b128 off, v[42:45], off offset:112
	scratch_store_b128 off, v[46:49], off offset:128
	v_dual_mov_b32 v43, v164 :: v_dual_mov_b32 v38, v159
	v_dual_mov_b32 v41, v162 :: v_dual_mov_b32 v126, v3
	v_dual_mov_b32 v45, v166 :: v_dual_mov_b32 v44, v165
	v_dual_mov_b32 v47, v168 :: v_dual_mov_b32 v46, v167
	v_dual_mov_b32 v49, v170 :: v_dual_mov_b32 v48, v169
	v_dual_mov_b32 v39, v160 :: v_dual_mov_b32 v40, v161
	v_dual_mov_b32 v163, v29 :: v_dual_mov_b32 v4, v3
	s_clause 0x2
	scratch_store_b128 off, v[38:41], off offset:144
	scratch_store_b128 off, v[42:45], off offset:160
	;; [unrolled: 1-line block ×3, first 2 shown]
	v_dual_mov_b32 v43, v128 :: v_dual_mov_b32 v46, v131
	v_dual_mov_b32 v49, v134 :: v_dual_mov_b32 v38, v123
	;; [unrolled: 1-line block ×5, first 2 shown]
	v_mov_b32_e32 v41, v126
	v_dual_mov_b32 v147, v159 :: v_dual_mov_b32 v152, v164
	v_dual_mov_b32 v148, v160 :: v_dual_mov_b32 v127, v5
	;; [unrolled: 1-line block ×7, first 2 shown]
	s_clause 0x2
	scratch_store_b128 off, v[38:41], off offset:48
	scratch_store_b128 off, v[42:45], off offset:64
	scratch_store_b128 off, v[46:49], off offset:80
	v_dual_mov_b32 v38, v123 :: v_dual_mov_b32 v39, v124
	v_dual_mov_b32 v40, v125 :: v_dual_mov_b32 v41, v126
	v_mov_b32_e32 v42, v127
	v_dual_mov_b32 v128, v6 :: v_dual_mov_b32 v99, v147
	v_dual_mov_b32 v106, v154 :: v_dual_mov_b32 v107, v155
	;; [unrolled: 1-line block ×3, first 2 shown]
	v_mov_b32_e32 v52, v124
	v_dual_mov_b32 v100, v148 :: v_dual_mov_b32 v101, v149
	v_dual_mov_b32 v102, v150 :: v_dual_mov_b32 v103, v151
	;; [unrolled: 1-line block ×6, first 2 shown]
	v_mov_b32_e32 v105, v31
	v_dual_mov_b32 v57, v129 :: v_dual_mov_b32 v58, v130
	v_dual_mov_b32 v53, v125 :: v_dual_mov_b32 v54, v126
	;; [unrolled: 1-line block ×3, first 2 shown]
	v_mov_b32_e32 v57, v7
	s_clause 0x2
	scratch_store_b128 off, v[38:41], off
	scratch_store_b128 off, v[42:45], off offset:16
	scratch_store_b128 off, v[46:49], off offset:32
	v_dual_mov_b32 v39, v99 :: v_dual_mov_b32 v42, v102
	v_dual_mov_b32 v47, v107 :: v_dual_mov_b32 v50, v110
	;; [unrolled: 1-line block ×9, first 2 shown]
	v_mov_b32_e32 v46, v32
	v_dual_mov_b32 v118, v58 :: v_dual_mov_b32 v117, v57
	v_dual_mov_b32 v116, v56 :: v_dual_mov_b32 v115, v55
	;; [unrolled: 1-line block ×3, first 2 shown]
	v_mov_b32_e32 v118, v8
	v_dual_mov_b32 v98, v50 :: v_dual_mov_b32 v95, v47
	v_dual_mov_b32 v97, v49 :: v_dual_mov_b32 v90, v42
	;; [unrolled: 1-line block ×9, first 2 shown]
	v_mov_b32_e32 v89, v41
	v_dual_mov_b32 v143, v9 :: v_dual_mov_b32 v142, v118
	v_dual_mov_b32 v141, v117 :: v_dual_mov_b32 v140, v116
	;; [unrolled: 1-line block ×3, first 2 shown]
	v_mov_b32_e32 v137, v113
	v_dual_mov_b32 v63, v87 :: v_dual_mov_b32 v66, v90
	v_dual_mov_b32 v64, v88 :: v_dual_mov_b32 v75, v135
	;; [unrolled: 1-line block ×13, first 2 shown]
	v_mov_b32_e32 v82, v142
	v_dual_mov_b32 v84, v10 :: v_dual_mov_b32 v85, v11
	v_mov_b32_e32 v86, v12
.LBB62_31:
	s_or_b32 exec_lo, exec_lo, s2
	v_mov_b32_e32 v2, v17
	s_mov_b32 s2, exec_lo
	v_cmpx_lt_f32_e32 v1, v17
	s_cbranch_execz .LBB62_33
; %bb.32:
	s_clause 0x2
	scratch_load_b128 v[37:40], off, off offset:96
	scratch_load_b128 v[41:44], off, off offset:112
	;; [unrolled: 1-line block ×3, first 2 shown]
	v_mov_b32_e32 v174, v29
	v_dual_mov_b32 v2, v1 :: v_dual_mov_b32 v29, v28
	v_mov_b32_e32 v16, v17
	s_waitcnt vmcnt(0)
	v_dual_mov_b32 v74, v48 :: v_dual_mov_b32 v71, v45
	v_dual_mov_b32 v68, v42 :: v_dual_mov_b32 v65, v39
	;; [unrolled: 1-line block ×18, first 2 shown]
	v_mov_b32_e32 v125, v65
	v_mov_b32_e32 v127, v4
	v_dual_mov_b32 v147, v159 :: v_dual_mov_b32 v148, v160
	v_dual_mov_b32 v153, v165 :: v_dual_mov_b32 v156, v168
	;; [unrolled: 1-line block ×3, first 2 shown]
	v_mov_b32_e32 v157, v169
	v_dual_mov_b32 v151, v163 :: v_dual_mov_b32 v154, v166
	v_dual_mov_b32 v149, v161 :: v_dual_mov_b32 v152, v164
	;; [unrolled: 1-line block ×4, first 2 shown]
	v_mov_b32_e32 v38, v124
	v_dual_mov_b32 v152, v30 :: v_dual_mov_b32 v45, v131
	v_dual_mov_b32 v46, v132 :: v_dual_mov_b32 v47, v133
	;; [unrolled: 1-line block ×13, first 2 shown]
	s_clause 0x2
	scratch_store_b128 off, v[37:40], off
	scratch_store_b128 off, v[41:44], off offset:16
	scratch_store_b128 off, v[45:48], off offset:32
	v_dual_mov_b32 v57, v129 :: v_dual_mov_b32 v60, v132
	v_dual_mov_b32 v55, v127 :: v_dual_mov_b32 v58, v130
	v_mov_b32_e32 v61, v133
	v_mov_b32_e32 v57, v7
	v_dual_mov_b32 v39, v99 :: v_dual_mov_b32 v44, v104
	v_dual_mov_b32 v17, v1 :: v_dual_mov_b32 v52, v124
	;; [unrolled: 1-line block ×8, first 2 shown]
	v_mov_b32_e32 v122, v62
	v_dual_mov_b32 v46, v32 :: v_dual_mov_b32 v119, v59
	v_dual_mov_b32 v118, v58 :: v_dual_mov_b32 v111, v51
	v_dual_mov_b32 v118, v8 :: v_dual_mov_b32 v121, v61
	v_dual_mov_b32 v120, v60 :: v_dual_mov_b32 v117, v57
	v_dual_mov_b32 v116, v56 :: v_dual_mov_b32 v115, v55
	v_dual_mov_b32 v114, v54 :: v_dual_mov_b32 v113, v53
	v_mov_b32_e32 v112, v52
	v_dual_mov_b32 v98, v50 :: v_dual_mov_b32 v97, v49
	v_dual_mov_b32 v96, v48 :: v_dual_mov_b32 v95, v47
	;; [unrolled: 1-line block ×8, first 2 shown]
	v_mov_b32_e32 v135, v111
	v_dual_mov_b32 v145, v121 :: v_dual_mov_b32 v144, v120
	v_dual_mov_b32 v141, v117 :: v_dual_mov_b32 v140, v116
	v_mov_b32_e32 v143, v9
	v_dual_mov_b32 v139, v115 :: v_dual_mov_b32 v138, v114
	v_dual_mov_b32 v137, v113 :: v_dual_mov_b32 v136, v112
	s_clause 0x5
	scratch_store_b128 off, v[63:66], off offset:48
	scratch_store_b128 off, v[67:70], off offset:64
	;; [unrolled: 1-line block ×6, first 2 shown]
	v_dual_mov_b32 v63, v87 :: v_dual_mov_b32 v68, v92
	v_mov_b32_e32 v64, v88
	v_dual_mov_b32 v66, v90 :: v_dual_mov_b32 v75, v135
	v_dual_mov_b32 v78, v138 :: v_dual_mov_b32 v67, v91
	;; [unrolled: 1-line block ×14, first 2 shown]
.LBB62_33:
	s_or_b32 exec_lo, exec_lo, s2
	v_mov_b32_e32 v1, v18
	s_mov_b32 s2, exec_lo
	v_cmpx_lt_f32_e32 v2, v18
	s_cbranch_execz .LBB62_35
; %bb.34:
	s_clause 0x2
	scratch_load_b128 v[37:40], off, off offset:144
	scratch_load_b128 v[41:44], off, off offset:160
	;; [unrolled: 1-line block ×3, first 2 shown]
	s_waitcnt vmcnt(0)
	v_dual_mov_b32 v17, v18 :: v_dual_mov_b32 v170, v48
	v_dual_mov_b32 v169, v47 :: v_dual_mov_b32 v162, v40
	;; [unrolled: 1-line block ×6, first 2 shown]
	s_clause 0x2
	scratch_load_b128 v[37:40], off, off offset:48
	scratch_load_b128 v[41:44], off, off offset:64
	;; [unrolled: 1-line block ×3, first 2 shown]
	v_dual_mov_b32 v163, v30 :: v_dual_mov_b32 v30, v29
	s_waitcnt vmcnt(0)
	v_mov_b32_e32 v74, v48
	v_dual_mov_b32 v66, v40 :: v_dual_mov_b32 v63, v37
	v_dual_mov_b32 v73, v47 :: v_dual_mov_b32 v64, v38
	;; [unrolled: 1-line block ×5, first 2 shown]
	v_mov_b32_e32 v69, v43
	v_dual_mov_b32 v67, v6 :: v_dual_mov_b32 v148, v160
	v_dual_mov_b32 v134, v74 :: v_dual_mov_b32 v133, v73
	;; [unrolled: 1-line block ×12, first 2 shown]
	v_mov_b32_e32 v128, v5
	v_dual_mov_b32 v152, v29 :: v_dual_mov_b32 v51, v123
	v_dual_mov_b32 v99, v147 :: v_dual_mov_b32 v108, v156
	;; [unrolled: 1-line block ×13, first 2 shown]
	v_mov_b32_e32 v57, v7
	v_dual_mov_b32 v39, v99 :: v_dual_mov_b32 v40, v100
	v_dual_mov_b32 v49, v109 :: v_dual_mov_b32 v50, v110
	s_delay_alu instid0(VALU_DEP_4)
	v_dual_mov_b32 v122, v62 :: v_dual_mov_b32 v121, v61
	v_dual_mov_b32 v43, v103 :: v_dual_mov_b32 v44, v104
	;; [unrolled: 1-line block ×10, first 2 shown]
	v_mov_b32_e32 v46, v32
	v_mov_b32_e32 v118, v8
	v_dual_mov_b32 v98, v50 :: v_dual_mov_b32 v93, v45
	v_dual_mov_b32 v97, v49 :: v_dual_mov_b32 v146, v122
	;; [unrolled: 1-line block ×13, first 2 shown]
	v_mov_b32_e32 v137, v113
	s_clause 0x2
	scratch_store_b128 off, v[63:66], off
	scratch_store_b128 off, v[67:70], off offset:16
	scratch_store_b128 off, v[71:74], off offset:32
	v_dual_mov_b32 v63, v87 :: v_dual_mov_b32 v66, v90
	v_dual_mov_b32 v75, v135 :: v_dual_mov_b32 v78, v138
	;; [unrolled: 1-line block ×15, first 2 shown]
	v_mov_b32_e32 v86, v12
	v_mov_b32_e32 v6, v5
.LBB62_35:
	s_or_b32 exec_lo, exec_lo, s2
	v_mov_b32_e32 v2, v19
	s_mov_b32 s2, exec_lo
	v_cmpx_lt_f32_e32 v1, v19
	s_cbranch_execz .LBB62_37
; %bb.36:
	s_clause 0x2
	scratch_load_b128 v[37:40], off, off
	scratch_load_b128 v[41:44], off, off offset:16
	scratch_load_b128 v[45:48], off, off offset:32
	v_mov_b32_e32 v164, v31
	v_dual_mov_b32 v2, v1 :: v_dual_mov_b32 v31, v30
	v_mov_b32_e32 v18, v19
	s_waitcnt vmcnt(0)
	v_dual_mov_b32 v134, v48 :: v_dual_mov_b32 v133, v47
	v_dual_mov_b32 v130, v44 :: v_dual_mov_b32 v127, v41
	;; [unrolled: 1-line block ×17, first 2 shown]
	v_mov_b32_e32 v61, v133
	v_mov_b32_e32 v57, v6
	;; [unrolled: 1-line block ×3, first 2 shown]
	v_dual_mov_b32 v62, v134 :: v_dual_mov_b32 v39, v99
	v_dual_mov_b32 v147, v159 :: v_dual_mov_b32 v148, v160
	s_delay_alu instid0(VALU_DEP_2)
	v_dual_mov_b32 v149, v161 :: v_dual_mov_b32 v122, v62
	v_dual_mov_b32 v120, v60 :: v_dual_mov_b32 v49, v109
	v_mov_b32_e32 v50, v110
	v_dual_mov_b32 v40, v100 :: v_dual_mov_b32 v119, v59
	v_dual_mov_b32 v118, v58 :: v_dual_mov_b32 v115, v55
	;; [unrolled: 1-line block ×6, first 2 shown]
	v_mov_b32_e32 v121, v61
	v_dual_mov_b32 v117, v57 :: v_dual_mov_b32 v116, v56
	v_dual_mov_b32 v113, v53 :: v_dual_mov_b32 v112, v52
	;; [unrolled: 1-line block ×3, first 2 shown]
	v_mov_b32_e32 v46, v32
	v_mov_b32_e32 v118, v8
	v_dual_mov_b32 v98, v50 :: v_dual_mov_b32 v95, v47
	v_dual_mov_b32 v97, v49 :: v_dual_mov_b32 v146, v122
	;; [unrolled: 1-line block ×4, first 2 shown]
	v_mov_b32_e32 v87, v39
	v_dual_mov_b32 v143, v9 :: v_dual_mov_b32 v96, v48
	v_dual_mov_b32 v93, v45 :: v_dual_mov_b32 v88, v40
	;; [unrolled: 1-line block ×8, first 2 shown]
	v_mov_b32_e32 v137, v113
	v_dual_mov_b32 v75, v135 :: v_dual_mov_b32 v78, v138
	v_dual_mov_b32 v63, v87 :: v_dual_mov_b32 v66, v90
	;; [unrolled: 1-line block ×14, first 2 shown]
	v_mov_b32_e32 v74, v36
	v_dual_mov_b32 v84, v10 :: v_dual_mov_b32 v85, v11
	v_dual_mov_b32 v150, v162 :: v_dual_mov_b32 v151, v163
	;; [unrolled: 1-line block ×5, first 2 shown]
	v_mov_b32_e32 v158, v170
	v_mov_b32_e32 v7, v6
.LBB62_37:
	s_or_b32 exec_lo, exec_lo, s2
	v_mov_b32_e32 v1, v20
	s_mov_b32 s2, exec_lo
	v_cmpx_lt_f32_e32 v2, v20
	s_cbranch_execz .LBB62_39
; %bb.38:
	v_mov_b32_e32 v129, v8
	v_mov_b32_e32 v153, v32
	v_dual_mov_b32 v111, v123 :: v_dual_mov_b32 v114, v126
	v_dual_mov_b32 v39, v147 :: v_dual_mov_b32 v40, v148
	;; [unrolled: 1-line block ×10, first 2 shown]
	v_mov_b32_e32 v120, v132
	v_dual_mov_b32 v116, v128 :: v_dual_mov_b32 v121, v133
	v_mov_b32_e32 v46, v31
	v_dual_mov_b32 v119, v131 :: v_dual_mov_b32 v98, v50
	v_dual_mov_b32 v118, v7 :: v_dual_mov_b32 v97, v49
	;; [unrolled: 1-line block ×13, first 2 shown]
	v_mov_b32_e32 v95, v33
	v_dual_mov_b32 v19, v20 :: v_dual_mov_b32 v20, v2
	v_mov_b32_e32 v143, v9
	v_dual_mov_b32 v63, v87 :: v_dual_mov_b32 v68, v92
	v_dual_mov_b32 v64, v88 :: v_dual_mov_b32 v75, v135
	;; [unrolled: 1-line block ×11, first 2 shown]
	v_mov_b32_e32 v70, v94
	v_dual_mov_b32 v66, v90 :: v_dual_mov_b32 v71, v95
	v_dual_mov_b32 v76, v136 :: v_dual_mov_b32 v77, v137
	;; [unrolled: 1-line block ×15, first 2 shown]
	v_mov_b32_e32 v110, v158
	v_dual_mov_b32 v1, v2 :: v_dual_mov_b32 v8, v7
	v_mov_b32_e32 v32, v31
.LBB62_39:
	s_or_b32 exec_lo, exec_lo, s2
	v_mov_b32_e32 v2, v21
	s_mov_b32 s2, exec_lo
	v_cmpx_lt_f32_e32 v1, v21
	s_cbranch_execz .LBB62_41
; %bb.40:
	v_mov_b32_e32 v58, v9
	v_mov_b32_e32 v106, v33
	v_dual_mov_b32 v146, v62 :: v_dual_mov_b32 v143, v59
	v_mov_b32_e32 v87, v99
	s_delay_alu instid0(VALU_DEP_3)
	v_dual_mov_b32 v141, v57 :: v_dual_mov_b32 v94, v106
	v_dual_mov_b32 v95, v107 :: v_dual_mov_b32 v140, v56
	;; [unrolled: 1-line block ×6, first 2 shown]
	v_mov_b32_e32 v95, v32
	v_dual_mov_b32 v143, v8 :: v_dual_mov_b32 v20, v21
	v_dual_mov_b32 v88, v100 :: v_dual_mov_b32 v89, v101
	;; [unrolled: 1-line block ×7, first 2 shown]
	s_delay_alu instid0(VALU_DEP_2)
	v_dual_mov_b32 v75, v135 :: v_dual_mov_b32 v76, v136
	v_dual_mov_b32 v122, v62 :: v_dual_mov_b32 v117, v57
	;; [unrolled: 1-line block ×25, first 2 shown]
	v_mov_b32_e32 v48, v108
	v_dual_mov_b32 v50, v110 :: v_dual_mov_b32 v9, v8
	v_dual_mov_b32 v2, v1 :: v_dual_mov_b32 v33, v32
.LBB62_41:
	s_or_b32 exec_lo, exec_lo, s2
	v_mov_b32_e32 v3, v22
	s_mov_b32 s2, exec_lo
	s_delay_alu instid0(VALU_DEP_2)
	v_cmpx_lt_f32_e32 v2, v22
	s_cbranch_execz .LBB62_43
; %bb.42:
	v_mov_b32_e32 v47, v34
	v_mov_b32_e32 v74, v50
	v_dual_mov_b32 v21, v22 :: v_dual_mov_b32 v72, v48
	v_dual_mov_b32 v72, v33 :: v_dual_mov_b32 v119, v10
	;; [unrolled: 1-line block ×3, first 2 shown]
	v_mov_b32_e32 v78, v114
	v_dual_mov_b32 v22, v2 :: v_dual_mov_b32 v73, v49
	v_dual_mov_b32 v81, v117 :: v_dual_mov_b32 v84, v120
	;; [unrolled: 1-line block ×7, first 2 shown]
	v_mov_b32_e32 v69, v45
	v_dual_mov_b32 v67, v43 :: v_dual_mov_b32 v66, v42
	v_dual_mov_b32 v65, v41 :: v_dual_mov_b32 v64, v40
	;; [unrolled: 1-line block ×18, first 2 shown]
	v_mov_b32_e32 v34, v33
.LBB62_43:
	s_or_b32 exec_lo, exec_lo, s2
	v_mov_b32_e32 v1, v23
	s_mov_b32 s2, exec_lo
	v_cmpx_lt_f32_e32 v3, v23
	s_cbranch_execz .LBB62_45
; %bb.44:
	v_dual_mov_b32 v144, v11 :: v_dual_mov_b32 v145, v10
	v_dual_mov_b32 v96, v35 :: v_dual_mov_b32 v97, v34
	v_mov_b32_e32 v146, v12
	v_mov_b32_e32 v22, v23
	v_dual_mov_b32 v23, v3 :: v_dual_mov_b32 v98, v36
	v_dual_mov_b32 v75, v135 :: v_dual_mov_b32 v84, v144
	;; [unrolled: 1-line block ×3, first 2 shown]
	v_mov_b32_e32 v79, v139
	v_dual_mov_b32 v77, v137 :: v_dual_mov_b32 v78, v138
	v_dual_mov_b32 v81, v141 :: v_dual_mov_b32 v80, v140
	;; [unrolled: 1-line block ×10, first 2 shown]
.LBB62_45:
	s_or_b32 exec_lo, exec_lo, s2
	s_delay_alu instid0(VALU_DEP_1)
	v_cmp_lt_f32_e32 vcc_lo, v1, v24
	v_mov_b32_e32 v42, v78
	v_cmp_lt_f32_e64 s2, v13, v14
	v_dual_mov_b32 v40, v76 :: v_dual_mov_b32 v41, v77
	v_dual_cndmask_b32 v12, v24, v1 :: v_dual_mov_b32 v43, v79
	v_dual_cndmask_b32 v23, v23, v24 :: v_dual_cndmask_b32 v50, v86, v85
	s_delay_alu instid0(VALU_DEP_2) | instskip(SKIP_2) | instid1(VALU_DEP_3)
	v_dual_mov_b32 v39, v75 :: v_dual_mov_b32 v24, v12
	v_dual_cndmask_b32 v49, v85, v86 :: v_dual_mov_b32 v44, v80
	v_dual_cndmask_b32 v61, v73, v74 :: v_dual_cndmask_b32 v62, v74, v73
	v_dual_mov_b32 v38, v24 :: v_dual_mov_b32 v35, v21
	v_dual_mov_b32 v37, v23 :: v_dual_mov_b32 v36, v22
	;; [unrolled: 1-line block ×13, first 2 shown]
	s_and_saveexec_b32 s3, s2
	s_delay_alu instid0(SALU_CYCLE_1)
	s_xor_b32 s2, exec_lo, s3
	s_cbranch_execz .LBB62_47
; %bb.46:
	v_dual_mov_b32 v1, v14 :: v_dual_mov_b32 v2, v13
	v_dual_mov_b32 v3, v15 :: v_dual_mov_b32 v4, v16
	v_dual_mov_b32 v5, v17 :: v_dual_mov_b32 v6, v18
	v_dual_mov_b32 v7, v19 :: v_dual_mov_b32 v8, v20
	v_dual_mov_b32 v9, v21 :: v_dual_mov_b32 v10, v22
	v_dual_mov_b32 v11, v23 :: v_dual_mov_b32 v14, v13
	s_delay_alu instid0(VALU_DEP_2) | instskip(NEXT) | instid1(VALU_DEP_2)
	v_dual_mov_b32 v38, v12 :: v_dual_mov_b32 v35, v9
	v_dual_mov_b32 v36, v10 :: v_dual_mov_b32 v37, v11
	;; [unrolled: 1-line block ×16, first 2 shown]
.LBB62_47:
	s_or_b32 exec_lo, exec_lo, s2
	v_dual_mov_b32 v13, v29 :: v_dual_mov_b32 v122, v50
	v_dual_mov_b32 v15, v39 :: v_dual_mov_b32 v16, v40
	;; [unrolled: 1-line block ×30, first 2 shown]
	v_mov_b32_e32 v135, v39
	s_clause 0x2
	scratch_store_b128 off, v[39:42], off offset:48
	scratch_store_b128 off, v[43:46], off offset:64
	;; [unrolled: 1-line block ×3, first 2 shown]
	v_dual_mov_b32 v1, v51 :: v_dual_mov_b32 v4, v54
	v_dual_mov_b32 v11, v61 :: v_dual_mov_b32 v74, v62
	;; [unrolled: 1-line block ×34, first 2 shown]
	v_mov_b32_e32 v159, v51
	s_mov_b32 s2, exec_lo
	v_dual_mov_b32 v73, v61 :: v_dual_mov_b32 v72, v60
	v_mov_b32_e32 v2, v52
	s_clause 0x2
	scratch_store_b128 off, v[51:54], off
	scratch_store_b128 off, v[55:58], off offset:16
	scratch_store_b128 off, v[59:62], off offset:32
	v_dual_mov_b32 v182, v50 :: v_dual_mov_b32 v181, v49
	v_dual_mov_b32 v180, v48 :: v_dual_mov_b32 v179, v47
	;; [unrolled: 1-line block ×6, first 2 shown]
	v_cmpx_lt_f32_e32 v14, v29
	s_cbranch_execz .LBB62_49
; %bb.48:
	v_dual_mov_b32 v170, v62 :: v_dual_mov_b32 v169, v61
	v_dual_mov_b32 v162, v54 :: v_dual_mov_b32 v161, v53
	;; [unrolled: 1-line block ×7, first 2 shown]
	s_clause 0x2
	scratch_store_b128 off, v[159:162], off
	scratch_store_b128 off, v[163:166], off offset:16
	scratch_store_b128 off, v[167:170], off offset:32
	v_dual_mov_b32 v182, v50 :: v_dual_mov_b32 v181, v49
	v_dual_mov_b32 v172, v40 :: v_dual_mov_b32 v171, v39
	;; [unrolled: 1-line block ×8, first 2 shown]
	s_delay_alu instid0(VALU_DEP_3)
	v_dual_mov_b32 v140, v176 :: v_dual_mov_b32 v141, v177
	v_dual_mov_b32 v138, v174 :: v_dual_mov_b32 v139, v175
	;; [unrolled: 1-line block ×3, first 2 shown]
	v_mov_b32_e32 v146, v182
	v_dual_mov_b32 v136, v172 :: v_dual_mov_b32 v137, v173
	v_mov_b32_e32 v138, v42
	v_dual_mov_b32 v142, v178 :: v_dual_mov_b32 v143, v179
	v_mov_b32_e32 v53, v52
	v_mov_b32_e32 v139, v43
	;; [unrolled: 1-line block ×3, first 2 shown]
	v_dual_mov_b32 v147, v159 :: v_dual_mov_b32 v148, v160
	v_mov_b32_e32 v151, v163
	v_dual_mov_b32 v149, v161 :: v_dual_mov_b32 v150, v162
	v_dual_mov_b32 v153, v165 :: v_dual_mov_b32 v152, v164
	;; [unrolled: 1-line block ×16, first 2 shown]
	v_mov_b32_e32 v122, v146
	v_dual_mov_b32 v114, v138 :: v_dual_mov_b32 v117, v141
	v_dual_mov_b32 v116, v140 :: v_dual_mov_b32 v119, v143
	;; [unrolled: 1-line block ×14, first 2 shown]
	v_mov_b32_e32 v82, v118
	v_dual_mov_b32 v76, v112 :: v_dual_mov_b32 v81, v117
	v_dual_mov_b32 v80, v116 :: v_dual_mov_b32 v85, v121
	;; [unrolled: 1-line block ×6, first 2 shown]
	v_mov_b32_e32 v81, v45
	v_dual_mov_b32 v65, v89 :: v_dual_mov_b32 v72, v96
	v_mov_b32_e32 v29, v14
	s_delay_alu instid0(VALU_DEP_3)
	v_dual_mov_b32 v110, v86 :: v_dual_mov_b32 v105, v81
	v_dual_mov_b32 v70, v94 :: v_dual_mov_b32 v73, v97
	;; [unrolled: 1-line block ×11, first 2 shown]
	v_mov_b32_e32 v106, v46
	s_clause 0x2
	scratch_store_b128 off, v[1:4], off offset:48
	scratch_store_b128 off, v[5:8], off offset:64
	;; [unrolled: 1-line block ×3, first 2 shown]
	v_dual_mov_b32 v100, v76 :: v_dual_mov_b32 v1, v63
	v_dual_mov_b32 v10, v72 :: v_dual_mov_b32 v3, v65
	;; [unrolled: 1-line block ×16, first 2 shown]
	v_mov_b32_e32 v26, v50
.LBB62_49:
	s_or_b32 exec_lo, exec_lo, s2
	v_mov_b32_e32 v14, v30
	s_mov_b32 s2, exec_lo
	v_cmpx_lt_f32_e32 v13, v30
	s_cbranch_execz .LBB62_51
; %bb.50:
	s_clause 0x2
	scratch_load_b128 v[1:4], off, off
	scratch_load_b128 v[5:8], off, off offset:16
	scratch_load_b128 v[9:12], off, off offset:32
	v_mov_b32_e32 v161, v54
	v_dual_mov_b32 v29, v30 :: v_dual_mov_b32 v30, v13
	v_mov_b32_e32 v54, v53
	s_waitcnt vmcnt(0)
	v_dual_mov_b32 v170, v12 :: v_dual_mov_b32 v169, v11
	v_mov_b32_e32 v162, v4
	v_dual_mov_b32 v162, v53 :: v_dual_mov_b32 v173, v42
	v_dual_mov_b32 v160, v2 :: v_dual_mov_b32 v135, v171
	;; [unrolled: 1-line block ×4, first 2 shown]
	v_mov_b32_e32 v165, v7
	s_delay_alu instid0(VALU_DEP_3)
	v_dual_mov_b32 v1, v159 :: v_dual_mov_b32 v2, v160
	v_dual_mov_b32 v136, v172 :: v_dual_mov_b32 v3, v161
	v_mov_b32_e32 v138, v174
	v_dual_mov_b32 v164, v6 :: v_dual_mov_b32 v163, v5
	s_clause 0x2
	scratch_store_b128 off, v[1:4], off
	scratch_store_b128 off, v[5:8], off offset:16
	scratch_store_b128 off, v[9:12], off offset:32
	v_dual_mov_b32 v137, v173 :: v_dual_mov_b32 v140, v176
	v_dual_mov_b32 v138, v41 :: v_dual_mov_b32 v147, v159
	;; [unrolled: 1-line block ×12, first 2 shown]
	v_mov_b32_e32 v139, v43
	v_dual_mov_b32 v123, v147 :: v_dual_mov_b32 v126, v150
	v_dual_mov_b32 v124, v148 :: v_dual_mov_b32 v111, v135
	v_dual_mov_b32 v112, v136 :: v_dual_mov_b32 v125, v149
	s_delay_alu instid0(VALU_DEP_4)
	v_dual_mov_b32 v128, v152 :: v_dual_mov_b32 v115, v139
	v_dual_mov_b32 v116, v140 :: v_dual_mov_b32 v121, v145
	;; [unrolled: 1-line block ×6, first 2 shown]
	v_mov_b32_e32 v128, v56
	v_dual_mov_b32 v116, v44 :: v_dual_mov_b32 v87, v123
	v_dual_mov_b32 v113, v137 :: v_dual_mov_b32 v114, v138
	;; [unrolled: 1-line block ×17, first 2 shown]
	v_mov_b32_e32 v81, v45
	v_dual_mov_b32 v7, v141 :: v_dual_mov_b32 v8, v142
	v_dual_mov_b32 v9, v143 :: v_dual_mov_b32 v10, v144
	;; [unrolled: 1-line block ×5, first 2 shown]
	v_mov_b32_e32 v64, v88
	v_dual_mov_b32 v110, v86 :: v_dual_mov_b32 v109, v85
	v_dual_mov_b32 v65, v89 :: v_dual_mov_b32 v68, v92
	;; [unrolled: 1-line block ×10, first 2 shown]
	v_mov_b32_e32 v102, v78
	v_dual_mov_b32 v42, v41 :: v_dual_mov_b32 v103, v79
	v_mov_b32_e32 v100, v76
	v_mov_b32_e32 v106, v46
	s_clause 0x2
	scratch_store_b128 off, v[1:4], off offset:48
	scratch_store_b128 off, v[5:8], off offset:64
	;; [unrolled: 1-line block ×3, first 2 shown]
	v_mov_b32_e32 v1, v63
	v_mov_b32_e32 v5, v67
	v_dual_mov_b32 v3, v65 :: v_dual_mov_b32 v12, v74
	v_dual_mov_b32 v15, v99 :: v_dual_mov_b32 v4, v66
	;; [unrolled: 1-line block ×14, first 2 shown]
	v_mov_b32_e32 v24, v48
	v_mov_b32_e32 v26, v50
.LBB62_51:
	s_or_b32 exec_lo, exec_lo, s2
	v_mov_b32_e32 v13, v31
	s_mov_b32 s2, exec_lo
	v_cmpx_lt_f32_e32 v14, v31
	s_cbranch_execz .LBB62_53
; %bb.52:
	s_clause 0x2
	scratch_load_b128 v[1:4], off, off
	scratch_load_b128 v[5:8], off, off offset:16
	scratch_load_b128 v[9:12], off, off offset:32
	v_dual_mov_b32 v30, v31 :: v_dual_mov_b32 v31, v14
	v_dual_mov_b32 v13, v14 :: v_dual_mov_b32 v162, v55
	v_mov_b32_e32 v55, v54
	s_waitcnt vmcnt(2)
	v_dual_mov_b32 v161, v3 :: v_dual_mov_b32 v160, v2
	s_waitcnt vmcnt(0)
	v_dual_mov_b32 v159, v1 :: v_dual_mov_b32 v170, v12
	v_dual_mov_b32 v169, v11 :: v_dual_mov_b32 v168, v10
	;; [unrolled: 1-line block ×8, first 2 shown]
	s_delay_alu instid0(VALU_DEP_4)
	v_dual_mov_b32 v151, v163 :: v_dual_mov_b32 v156, v168
	v_dual_mov_b32 v157, v169 :: v_dual_mov_b32 v136, v172
	;; [unrolled: 1-line block ×8, first 2 shown]
	v_mov_b32_e32 v145, v181
	v_mov_b32_e32 v139, v42
	;; [unrolled: 1-line block ×3, first 2 shown]
	v_dual_mov_b32 v146, v182 :: v_dual_mov_b32 v123, v147
	v_dual_mov_b32 v111, v135 :: v_dual_mov_b32 v112, v136
	;; [unrolled: 1-line block ×3, first 2 shown]
	s_delay_alu instid0(VALU_DEP_4)
	v_dual_mov_b32 v124, v148 :: v_dual_mov_b32 v127, v151
	v_dual_mov_b32 v128, v152 :: v_dual_mov_b32 v131, v155
	;; [unrolled: 1-line block ×9, first 2 shown]
	v_mov_b32_e32 v120, v144
	v_dual_mov_b32 v116, v44 :: v_dual_mov_b32 v87, v123
	v_mov_b32_e32 v114, v138
	v_dual_mov_b32 v98, v134 :: v_dual_mov_b32 v75, v111
	v_dual_mov_b32 v88, v124 :: v_dual_mov_b32 v89, v125
	;; [unrolled: 1-line block ×3, first 2 shown]
	v_mov_b32_e32 v86, v122
	v_dual_mov_b32 v90, v126 :: v_dual_mov_b32 v91, v127
	v_dual_mov_b32 v92, v128 :: v_dual_mov_b32 v93, v129
	;; [unrolled: 1-line block ×8, first 2 shown]
	v_mov_b32_e32 v79, v115
	v_mov_b32_e32 v81, v45
	v_dual_mov_b32 v63, v87 :: v_dual_mov_b32 v66, v90
	v_dual_mov_b32 v64, v88 :: v_dual_mov_b32 v73, v97
	;; [unrolled: 1-line block ×9, first 2 shown]
	v_mov_b32_e32 v108, v84
	v_dual_mov_b32 v106, v46 :: v_dual_mov_b32 v1, v63
	v_dual_mov_b32 v105, v81 :: v_dual_mov_b32 v104, v80
	;; [unrolled: 1-line block ×19, first 2 shown]
	v_mov_b32_e32 v26, v50
	v_mov_b32_e32 v43, v42
	s_clause 0x2
	scratch_store_b128 off, v[171:174], off offset:48
	scratch_store_b128 off, v[175:178], off offset:64
	;; [unrolled: 1-line block ×3, first 2 shown]
.LBB62_53:
	s_or_b32 exec_lo, exec_lo, s2
	v_mov_b32_e32 v14, v32
	s_mov_b32 s2, exec_lo
	v_cmpx_lt_f32_e32 v13, v32
	s_cbranch_execz .LBB62_55
; %bb.54:
	s_clause 0x2
	scratch_load_b128 v[1:4], off, off offset:48
	scratch_load_b128 v[5:8], off, off offset:64
	;; [unrolled: 1-line block ×3, first 2 shown]
	v_dual_mov_b32 v163, v56 :: v_dual_mov_b32 v14, v13
	v_dual_mov_b32 v56, v55 :: v_dual_mov_b32 v31, v32
	s_waitcnt vmcnt(2)
	v_dual_mov_b32 v138, v4 :: v_dual_mov_b32 v137, v3
	s_waitcnt vmcnt(0)
	v_dual_mov_b32 v146, v12 :: v_dual_mov_b32 v145, v11
	v_dual_mov_b32 v136, v2 :: v_dual_mov_b32 v135, v1
	;; [unrolled: 1-line block ×17, first 2 shown]
	v_mov_b32_e32 v120, v144
	v_mov_b32_e32 v116, v43
	v_dual_mov_b32 v87, v123 :: v_dual_mov_b32 v88, v124
	v_dual_mov_b32 v89, v125 :: v_dual_mov_b32 v98, v134
	;; [unrolled: 1-line block ×12, first 2 shown]
	v_mov_b32_e32 v79, v115
	v_mov_b32_e32 v81, v45
	v_dual_mov_b32 v63, v87 :: v_dual_mov_b32 v66, v90
	v_dual_mov_b32 v64, v88 :: v_dual_mov_b32 v73, v97
	;; [unrolled: 1-line block ×8, first 2 shown]
	v_mov_b32_e32 v70, v58
	v_dual_mov_b32 v106, v46 :: v_dual_mov_b32 v65, v89
	v_dual_mov_b32 v68, v92 :: v_dual_mov_b32 v105, v81
	;; [unrolled: 1-line block ×4, first 2 shown]
	v_mov_b32_e32 v100, v76
	v_dual_mov_b32 v32, v13 :: v_dual_mov_b32 v1, v63
	v_dual_mov_b32 v12, v74 :: v_dual_mov_b32 v15, v99
	v_mov_b32_e32 v26, v110
	v_dual_mov_b32 v8, v70 :: v_dual_mov_b32 v9, v71
	v_dual_mov_b32 v10, v72 :: v_dual_mov_b32 v11, v73
	v_dual_mov_b32 v22, v106 :: v_dual_mov_b32 v23, v107
	v_dual_mov_b32 v24, v108 :: v_dual_mov_b32 v25, v109
	v_dual_mov_b32 v26, v50 :: v_dual_mov_b32 v147, v159
	v_dual_mov_b32 v2, v64 :: v_dual_mov_b32 v3, v65
	v_dual_mov_b32 v4, v66 :: v_dual_mov_b32 v5, v67
	v_dual_mov_b32 v6, v68 :: v_dual_mov_b32 v7, v69
	v_dual_mov_b32 v16, v100 :: v_dual_mov_b32 v17, v101
	v_dual_mov_b32 v18, v102 :: v_dual_mov_b32 v19, v103
	v_dual_mov_b32 v20, v104 :: v_dual_mov_b32 v21, v105
	v_dual_mov_b32 v9, v59 :: v_dual_mov_b32 v10, v60
	v_dual_mov_b32 v11, v61 :: v_dual_mov_b32 v12, v62
	v_dual_mov_b32 v23, v47 :: v_dual_mov_b32 v24, v48
	v_dual_mov_b32 v25, v49 :: v_dual_mov_b32 v148, v160
	v_dual_mov_b32 v149, v161 :: v_dual_mov_b32 v150, v162
	v_dual_mov_b32 v151, v163 :: v_dual_mov_b32 v152, v164
	v_dual_mov_b32 v153, v165 :: v_dual_mov_b32 v154, v166
	v_dual_mov_b32 v155, v167 :: v_dual_mov_b32 v156, v168
	v_dual_mov_b32 v157, v169 :: v_dual_mov_b32 v158, v170
	v_mov_b32_e32 v44, v43
.LBB62_55:
	s_or_b32 exec_lo, exec_lo, s2
	v_mov_b32_e32 v13, v33
	s_mov_b32 s2, exec_lo
	v_cmpx_lt_f32_e32 v14, v33
	s_cbranch_execz .LBB62_57
; %bb.56:
	v_mov_b32_e32 v140, v45
	v_dual_mov_b32 v152, v57 :: v_dual_mov_b32 v75, v135
	v_dual_mov_b32 v87, v147 :: v_dual_mov_b32 v90, v150
	;; [unrolled: 1-line block ×3, first 2 shown]
	s_delay_alu instid0(VALU_DEP_3)
	v_dual_mov_b32 v92, v152 :: v_dual_mov_b32 v93, v153
	v_dual_mov_b32 v76, v136 :: v_dual_mov_b32 v79, v139
	;; [unrolled: 1-line block ×6, first 2 shown]
	v_mov_b32_e32 v93, v56
	v_dual_mov_b32 v84, v144 :: v_dual_mov_b32 v63, v87
	v_dual_mov_b32 v78, v138 :: v_dual_mov_b32 v81, v141
	;; [unrolled: 1-line block ×5, first 2 shown]
	s_delay_alu instid0(VALU_DEP_3) | instskip(SKIP_1) | instid1(VALU_DEP_4)
	v_dual_mov_b32 v110, v86 :: v_dual_mov_b32 v109, v85
	v_dual_mov_b32 v100, v76 :: v_dual_mov_b32 v99, v75
	v_dual_mov_b32 v108, v84 :: v_dual_mov_b32 v107, v83
	v_dual_mov_b32 v69, v93 :: v_dual_mov_b32 v70, v94
	v_dual_mov_b32 v106, v82 :: v_dual_mov_b32 v105, v81
	v_dual_mov_b32 v64, v88 :: v_dual_mov_b32 v65, v89
	v_dual_mov_b32 v67, v91 :: v_dual_mov_b32 v68, v92
	v_dual_mov_b32 v71, v95 :: v_dual_mov_b32 v72, v96
	v_dual_mov_b32 v73, v97 :: v_dual_mov_b32 v74, v98
	v_dual_mov_b32 v104, v80 :: v_dual_mov_b32 v103, v79
	v_dual_mov_b32 v102, v78 :: v_dual_mov_b32 v101, v77
	v_mov_b32_e32 v106, v46
	v_dual_mov_b32 v70, v58 :: v_dual_mov_b32 v15, v99
	v_dual_mov_b32 v1, v63 :: v_dual_mov_b32 v24, v108
	;; [unrolled: 1-line block ×3, first 2 shown]
	s_delay_alu instid0(VALU_DEP_3)
	v_dual_mov_b32 v8, v70 :: v_dual_mov_b32 v9, v71
	v_dual_mov_b32 v10, v72 :: v_dual_mov_b32 v11, v73
	;; [unrolled: 1-line block ×26, first 2 shown]
	v_mov_b32_e32 v13, v14
	v_dual_mov_b32 v134, v158 :: v_dual_mov_b32 v45, v44
	v_mov_b32_e32 v57, v56
.LBB62_57:
	s_or_b32 exec_lo, exec_lo, s2
	v_mov_b32_e32 v14, v34
	s_mov_b32 s2, exec_lo
	v_cmpx_lt_f32_e32 v13, v34
	s_cbranch_execz .LBB62_59
; %bb.58:
	v_mov_b32_e32 v129, v58
	v_dual_mov_b32 v63, v123 :: v_dual_mov_b32 v70, v130
	v_dual_mov_b32 v70, v57 :: v_dual_mov_b32 v71, v131
	;; [unrolled: 1-line block ×22, first 2 shown]
	v_mov_b32_e32 v34, v13
	v_dual_mov_b32 v3, v65 :: v_dual_mov_b32 v4, v66
	v_dual_mov_b32 v5, v67 :: v_dual_mov_b32 v6, v68
	;; [unrolled: 1-line block ×20, first 2 shown]
	v_mov_b32_e32 v14, v13
	v_mov_b32_e32 v46, v45
	;; [unrolled: 1-line block ×3, first 2 shown]
.LBB62_59:
	s_or_b32 exec_lo, exec_lo, s2
	v_mov_b32_e32 v13, v35
	s_mov_b32 s2, exec_lo
	v_cmpx_lt_f32_e32 v14, v35
	s_cbranch_execz .LBB62_61
; %bb.60:
	v_mov_b32_e32 v94, v59
	v_dual_mov_b32 v34, v35 :: v_dual_mov_b32 v35, v14
	v_mov_b32_e32 v82, v47
	v_dual_mov_b32 v1, v87 :: v_dual_mov_b32 v2, v88
	v_dual_mov_b32 v10, v96 :: v_dual_mov_b32 v7, v93
	;; [unrolled: 1-line block ×13, first 2 shown]
	v_mov_b32_e32 v5, v91
	v_mov_b32_e32 v9, v58
	v_dual_mov_b32 v12, v62 :: v_dual_mov_b32 v17, v77
	v_dual_mov_b32 v16, v76 :: v_dual_mov_b32 v19, v79
	;; [unrolled: 1-line block ×14, first 2 shown]
	v_mov_b32_e32 v47, v46
	v_mov_b32_e32 v59, v58
	;; [unrolled: 1-line block ×3, first 2 shown]
.LBB62_61:
	s_or_b32 exec_lo, exec_lo, s2
	v_mov_b32_e32 v39, v36
	s_mov_b32 s2, exec_lo
	v_cmpx_lt_f32_e32 v13, v36
	s_cbranch_execz .LBB62_63
; %bb.62:
	v_dual_mov_b32 v71, v60 :: v_dual_mov_b32 v72, v59
	v_dual_mov_b32 v73, v61 :: v_dual_mov_b32 v108, v47
	;; [unrolled: 1-line block ×17, first 2 shown]
	v_mov_b32_e32 v39, v13
.LBB62_63:
	s_or_b32 exec_lo, exec_lo, s2
	s_delay_alu instid0(VALU_DEP_1)
	v_cmp_lt_f32_e32 vcc_lo, v39, v37
	v_dual_mov_b32 v40, v28 :: v_dual_mov_b32 v43, v31
	v_dual_mov_b32 v42, v30 :: v_dual_mov_b32 v45, v33
	v_dual_cndmask_b32 v13, v25, v24 :: v_dual_cndmask_b32 v24, v24, v25
	v_dual_cndmask_b32 v14, v11, v10 :: v_dual_cndmask_b32 v49, v37, v39
	v_dual_cndmask_b32 v10, v10, v11 :: v_dual_mov_b32 v39, v27
	v_dual_cndmask_b32 v48, v36, v37 :: v_dual_mov_b32 v41, v29
	v_dual_mov_b32 v44, v32 :: v_dual_mov_b32 v47, v35
	v_mov_b32_e32 v46, v34
	v_mov_b32_e32 v50, v38
	s_mov_b32 s2, exec_lo
	v_cmpx_lt_f32_e32 v27, v28
	s_cbranch_execz .LBB62_65
; %bb.64:
	v_dual_mov_b32 v28, v40 :: v_dual_mov_b32 v29, v39
	v_dual_mov_b32 v38, v49 :: v_dual_mov_b32 v39, v50
	;; [unrolled: 1-line block ×7, first 2 shown]
	v_mov_b32_e32 v11, v15
	v_swap_b32 v15, v16
	s_delay_alu instid0(VALU_DEP_4)
	v_mov_b32_e32 v48, v37
	v_swap_b32 v1, v2
	v_dual_mov_b32 v49, v38 :: v_dual_mov_b32 v46, v35
	v_dual_mov_b32 v47, v36 :: v_dual_mov_b32 v44, v33
	;; [unrolled: 1-line block ×4, first 2 shown]
	v_mov_b32_e32 v41, v30
	v_dual_mov_b32 v39, v28 :: v_dual_mov_b32 v28, v27
.LBB62_65:
	s_or_b32 exec_lo, exec_lo, s2
	v_mov_b32_e32 v11, v14
	v_dual_mov_b32 v25, v13 :: v_dual_mov_b32 v62, v12
	v_dual_mov_b32 v74, v26 :: v_dual_mov_b32 v63, v15
	v_mov_b32_e32 v86, v26
	v_dual_mov_b32 v72, v24 :: v_dual_mov_b32 v75, v15
	v_dual_mov_b32 v110, v26 :: v_dual_mov_b32 v53, v3
	;; [unrolled: 1-line block ×61, first 2 shown]
	v_mov_b32_e32 v149, v3
	v_mov_b32_e32 v147, v1
	;; [unrolled: 1-line block ×3, first 2 shown]
	s_mov_b32 s2, exec_lo
	v_dual_mov_b32 v85, v25 :: v_dual_mov_b32 v84, v24
	v_dual_mov_b32 v83, v23 :: v_dual_mov_b32 v82, v22
	s_clause 0x2
	scratch_store_b128 off, v[1:4], off
	scratch_store_b128 off, v[5:8], off offset:16
	scratch_store_b128 off, v[9:12], off offset:32
	v_cmpx_lt_f32_e32 v28, v41
	s_cbranch_execz .LBB62_67
; %bb.66:
	v_dual_mov_b32 v158, v12 :: v_dual_mov_b32 v157, v11
	v_dual_mov_b32 v150, v4 :: v_dual_mov_b32 v149, v3
	;; [unrolled: 1-line block ×7, first 2 shown]
	s_clause 0x2
	scratch_store_b128 off, v[147:150], off
	scratch_store_b128 off, v[151:154], off offset:16
	scratch_store_b128 off, v[155:158], off offset:32
	v_dual_mov_b32 v182, v26 :: v_dual_mov_b32 v181, v25
	v_dual_mov_b32 v172, v16 :: v_dual_mov_b32 v171, v15
	v_dual_mov_b32 v176, v20 :: v_dual_mov_b32 v175, v19
	v_dual_mov_b32 v174, v18 :: v_dual_mov_b32 v173, v17
	v_dual_mov_b32 v172, v17 :: v_dual_mov_b32 v173, v16
	v_dual_mov_b32 v180, v24 :: v_dual_mov_b32 v179, v23
	v_dual_mov_b32 v178, v22 :: v_dual_mov_b32 v177, v21
	v_dual_mov_b32 v150, v4 :: v_dual_mov_b32 v159, v171
	s_delay_alu instid0(VALU_DEP_4) | instskip(SKIP_1) | instid1(VALU_DEP_4)
	v_dual_mov_b32 v160, v172 :: v_dual_mov_b32 v161, v173
	v_dual_mov_b32 v162, v174 :: v_dual_mov_b32 v163, v175
	;; [unrolled: 1-line block ×4, first 2 shown]
	v_mov_b32_e32 v170, v182
	v_dual_mov_b32 v166, v178 :: v_dual_mov_b32 v167, v179
	v_mov_b32_e32 v162, v18
	v_dual_mov_b32 v40, v41 :: v_dual_mov_b32 v41, v28
	v_mov_b32_e32 v3, v2
	v_mov_b32_e32 v17, v16
	;; [unrolled: 1-line block ×3, first 2 shown]
	v_dual_mov_b32 v137, v149 :: v_dual_mov_b32 v144, v156
	v_dual_mov_b32 v123, v159 :: v_dual_mov_b32 v136, v148
	;; [unrolled: 1-line block ×12, first 2 shown]
	v_mov_b32_e32 v133, v169
	v_dual_mov_b32 v111, v135 :: v_dual_mov_b32 v112, v136
	v_dual_mov_b32 v99, v123 :: v_dual_mov_b32 v100, v124
	;; [unrolled: 1-line block ×12, first 2 shown]
	v_mov_b32_e32 v104, v20
	v_dual_mov_b32 v116, v6 :: v_dual_mov_b32 v75, v99
	v_mov_b32_e32 v87, v111
	v_dual_mov_b32 v93, v117 :: v_dual_mov_b32 v78, v102
	s_delay_alu instid0(VALU_DEP_3)
	v_dual_mov_b32 v81, v105 :: v_dual_mov_b32 v92, v116
	v_dual_mov_b32 v90, v114 :: v_dual_mov_b32 v91, v115
	;; [unrolled: 1-line block ×11, first 2 shown]
	v_mov_b32_e32 v51, v87
	v_dual_mov_b32 v63, v75 :: v_dual_mov_b32 v66, v78
	v_dual_mov_b32 v55, v91 :: v_dual_mov_b32 v58, v94
	;; [unrolled: 1-line block ×13, first 2 shown]
	v_mov_b32_e32 v60, v10
	v_dual_mov_b32 v61, v14 :: v_dual_mov_b32 v62, v12
	v_dual_mov_b32 v70, v22 :: v_dual_mov_b32 v71, v23
	;; [unrolled: 1-line block ×3, first 2 shown]
	v_mov_b32_e32 v74, v26
.LBB62_67:
	s_or_b32 exec_lo, exec_lo, s2
	v_mov_b32_e32 v1, v42
	v_cmp_lt_f32_e32 vcc_lo, v11, v42
	s_mov_b32 s2, exec_lo
	s_clause 0x2
	scratch_load_b128 v[27:30], off, off
	scratch_load_b128 v[31:34], off, off offset:16
	scratch_load_b128 v[35:38], off, off offset:32
	s_and_b32 s3, s2, vcc_lo
	s_delay_alu instid0(SALU_CYCLE_1)
	s_mov_b32 exec_lo, s3
	s_cbranch_execz .LBB62_69
; %bb.68:
	v_mov_b32_e32 v173, v18
	s_waitcnt vmcnt(2)
	v_mov_b32_e32 v29, v4
	v_dual_mov_b32 v159, v171 :: v_dual_mov_b32 v162, v174
	s_waitcnt vmcnt(0)
	v_dual_mov_b32 v158, v38 :: v_dual_mov_b32 v157, v37
	v_dual_mov_b32 v156, v36 :: v_dual_mov_b32 v147, v27
	;; [unrolled: 1-line block ×6, first 2 shown]
	v_mov_b32_e32 v168, v180
	v_dual_mov_b32 v164, v176 :: v_dual_mov_b32 v165, v177
	v_dual_mov_b32 v170, v182 :: v_dual_mov_b32 v155, v35
	;; [unrolled: 1-line block ×4, first 2 shown]
	v_mov_b32_e32 v162, v17
	v_dual_mov_b32 v169, v181 :: v_dual_mov_b32 v150, v3
	v_dual_mov_b32 v123, v159 :: v_dual_mov_b32 v124, v160
	;; [unrolled: 1-line block ×3, first 2 shown]
	s_delay_alu instid0(VALU_DEP_3)
	v_dual_mov_b32 v137, v149 :: v_dual_mov_b32 v138, v150
	v_dual_mov_b32 v139, v151 :: v_dual_mov_b32 v140, v152
	v_dual_mov_b32 v141, v153 :: v_dual_mov_b32 v142, v154
	v_dual_mov_b32 v127, v163 :: v_dual_mov_b32 v128, v164
	v_dual_mov_b32 v129, v165 :: v_dual_mov_b32 v130, v166
	v_dual_mov_b32 v143, v155 :: v_dual_mov_b32 v144, v156
	v_dual_mov_b32 v145, v157 :: v_dual_mov_b32 v146, v158
	v_dual_mov_b32 v125, v161 :: v_dual_mov_b32 v126, v162
	v_dual_mov_b32 v131, v167 :: v_dual_mov_b32 v132, v168
	v_dual_mov_b32 v133, v169 :: v_dual_mov_b32 v134, v170
	v_mov_b32_e32 v127, v19
	v_mov_b32_e32 v139, v5
	v_dual_mov_b32 v99, v123 :: v_dual_mov_b32 v100, v124
	v_dual_mov_b32 v111, v135 :: v_dual_mov_b32 v114, v138
	;; [unrolled: 1-line block ×4, first 2 shown]
	v_mov_b32_e32 v120, v144
	v_dual_mov_b32 v104, v128 :: v_dual_mov_b32 v105, v129
	v_dual_mov_b32 v110, v134 :: v_dual_mov_b32 v115, v139
	v_dual_mov_b32 v118, v142 :: v_dual_mov_b32 v119, v143
	v_dual_mov_b32 v122, v146 :: v_dual_mov_b32 v121, v145
	v_dual_mov_b32 v102, v126 :: v_dual_mov_b32 v101, v125
	v_dual_mov_b32 v106, v130 :: v_dual_mov_b32 v103, v127
	v_dual_mov_b32 v108, v132 :: v_dual_mov_b32 v107, v131
	v_dual_mov_b32 v116, v6 :: v_dual_mov_b32 v109, v133
	v_dual_mov_b32 v104, v20 :: v_dual_mov_b32 v87, v111
	v_dual_mov_b32 v88, v112 :: v_dual_mov_b32 v75, v99
	v_dual_mov_b32 v76, v100 :: v_dual_mov_b32 v93, v117
	v_dual_mov_b32 v94, v118 :: v_dual_mov_b32 v81, v105
	v_dual_mov_b32 v82, v106 :: v_dual_mov_b32 v89, v113
	v_dual_mov_b32 v90, v114 :: v_dual_mov_b32 v91, v115
	v_dual_mov_b32 v92, v116 :: v_dual_mov_b32 v95, v119
	v_dual_mov_b32 v96, v120 :: v_dual_mov_b32 v97, v121
	v_dual_mov_b32 v98, v122 :: v_dual_mov_b32 v77, v101
	v_dual_mov_b32 v78, v102 :: v_dual_mov_b32 v79, v103
	v_dual_mov_b32 v80, v104 :: v_dual_mov_b32 v83, v107
	v_dual_mov_b32 v84, v108 :: v_dual_mov_b32 v85, v109
	v_dual_mov_b32 v86, v110 :: v_dual_mov_b32 v81, v21
	v_dual_mov_b32 v41, v42 :: v_dual_mov_b32 v42, v11
	v_mov_b32_e32 v93, v7
	v_dual_mov_b32 v63, v75 :: v_dual_mov_b32 v68, v80
	v_dual_mov_b32 v64, v76 :: v_dual_mov_b32 v51, v87
	;; [unrolled: 1-line block ×3, first 2 shown]
	s_delay_alu instid0(VALU_DEP_4)
	v_dual_mov_b32 v58, v94 :: v_dual_mov_b32 v57, v93
	v_dual_mov_b32 v60, v96 :: v_dual_mov_b32 v59, v95
	;; [unrolled: 1-line block ×8, first 2 shown]
	v_mov_b32_e32 v60, v10
	v_dual_mov_b32 v52, v88 :: v_dual_mov_b32 v53, v89
	v_dual_mov_b32 v56, v92 :: v_dual_mov_b32 v59, v9
	;; [unrolled: 1-line block ×3, first 2 shown]
	v_mov_b32_e32 v72, v24
	v_dual_mov_b32 v70, v22 :: v_dual_mov_b32 v71, v23
	v_dual_mov_b32 v73, v13 :: v_dual_mov_b32 v74, v26
	;; [unrolled: 1-line block ×3, first 2 shown]
	v_mov_b32_e32 v4, v3
.LBB62_69:
	s_or_b32 exec_lo, exec_lo, s2
	v_mov_b32_e32 v2, v43
	s_mov_b32 s2, exec_lo
	v_cmpx_lt_f32_e32 v1, v43
	s_cbranch_execz .LBB62_71
; %bb.70:
	v_mov_b32_e32 v174, v19
	s_waitcnt vmcnt(2)
	v_dual_mov_b32 v30, v5 :: v_dual_mov_b32 v123, v171
	s_waitcnt vmcnt(0)
	v_dual_mov_b32 v146, v38 :: v_dual_mov_b32 v143, v35
	v_dual_mov_b32 v145, v37 :: v_dual_mov_b32 v142, v34
	s_delay_alu instid0(VALU_DEP_3)
	v_dual_mov_b32 v139, v31 :: v_dual_mov_b32 v138, v30
	v_dual_mov_b32 v135, v27 :: v_dual_mov_b32 v124, v172
	;; [unrolled: 1-line block ×5, first 2 shown]
	v_mov_b32_e32 v127, v18
	v_dual_mov_b32 v134, v182 :: v_dual_mov_b32 v139, v4
	v_dual_mov_b32 v144, v36 :: v_dual_mov_b32 v141, v33
	;; [unrolled: 1-line block ×5, first 2 shown]
	s_delay_alu instid0(VALU_DEP_3)
	v_dual_mov_b32 v111, v135 :: v_dual_mov_b32 v112, v136
	v_dual_mov_b32 v99, v123 :: v_dual_mov_b32 v100, v124
	;; [unrolled: 1-line block ×12, first 2 shown]
	v_mov_b32_e32 v104, v20
	v_dual_mov_b32 v116, v6 :: v_dual_mov_b32 v75, v99
	v_mov_b32_e32 v87, v111
	v_dual_mov_b32 v93, v117 :: v_dual_mov_b32 v78, v102
	s_delay_alu instid0(VALU_DEP_3)
	v_dual_mov_b32 v81, v105 :: v_dual_mov_b32 v92, v116
	v_dual_mov_b32 v80, v104 :: v_dual_mov_b32 v83, v107
	;; [unrolled: 1-line block ×11, first 2 shown]
	v_mov_b32_e32 v63, v75
	s_delay_alu instid0(VALU_DEP_4)
	v_dual_mov_b32 v51, v87 :: v_dual_mov_b32 v52, v88
	v_dual_mov_b32 v71, v83 :: v_dual_mov_b32 v72, v84
	;; [unrolled: 1-line block ×14, first 2 shown]
	v_mov_b32_e32 v68, v80
	v_dual_mov_b32 v58, v8 :: v_dual_mov_b32 v59, v9
	v_dual_mov_b32 v60, v10 :: v_dual_mov_b32 v71, v23
	;; [unrolled: 1-line block ×16, first 2 shown]
	v_mov_b32_e32 v2, v1
.LBB62_71:
	s_or_b32 exec_lo, exec_lo, s2
	v_mov_b32_e32 v1, v44
	s_mov_b32 s2, exec_lo
	s_delay_alu instid0(VALU_DEP_2)
	v_cmpx_lt_f32_e32 v2, v44
	s_cbranch_execz .LBB62_73
; %bb.72:
	v_mov_b32_e32 v163, v20
	v_mov_b32_e32 v151, v6
	v_dual_mov_b32 v99, v159 :: v_dual_mov_b32 v100, v160
	v_dual_mov_b32 v111, v147 :: v_dual_mov_b32 v112, v148
	;; [unrolled: 1-line block ×10, first 2 shown]
	v_mov_b32_e32 v108, v168
	v_dual_mov_b32 v104, v164 :: v_dual_mov_b32 v107, v167
	v_mov_b32_e32 v116, v5
	v_dual_mov_b32 v109, v169 :: v_dual_mov_b32 v104, v19
	v_dual_mov_b32 v87, v111 :: v_dual_mov_b32 v88, v112
	;; [unrolled: 1-line block ×13, first 2 shown]
	v_mov_b32_e32 v93, v7
	v_dual_mov_b32 v43, v44 :: v_dual_mov_b32 v44, v2
	v_mov_b32_e32 v81, v21
	v_dual_mov_b32 v51, v87 :: v_dual_mov_b32 v56, v92
	v_dual_mov_b32 v52, v88 :: v_dual_mov_b32 v63, v75
	;; [unrolled: 1-line block ×14, first 2 shown]
	v_mov_b32_e32 v136, v148
	v_dual_mov_b32 v54, v90 :: v_dual_mov_b32 v59, v9
	v_dual_mov_b32 v62, v12 :: v_dual_mov_b32 v61, v14
	v_mov_b32_e32 v72, v24
	v_dual_mov_b32 v70, v22 :: v_dual_mov_b32 v71, v23
	v_dual_mov_b32 v73, v13 :: v_dual_mov_b32 v74, v26
	;; [unrolled: 1-line block ×13, first 2 shown]
	v_mov_b32_e32 v6, v5
.LBB62_73:
	s_or_b32 exec_lo, exec_lo, s2
	v_mov_b32_e32 v2, v45
	s_mov_b32 s2, exec_lo
	v_cmpx_lt_f32_e32 v1, v45
	s_cbranch_execz .LBB62_75
; %bb.74:
	v_mov_b32_e32 v140, v7
	v_dual_mov_b32 v128, v21 :: v_dual_mov_b32 v87, v135
	v_mov_b32_e32 v93, v141
	v_mov_b32_e32 v93, v6
	;; [unrolled: 1-line block ×3, first 2 shown]
	v_dual_mov_b32 v92, v140 :: v_dual_mov_b32 v95, v143
	v_dual_mov_b32 v96, v144 :: v_dual_mov_b32 v97, v145
	;; [unrolled: 1-line block ×42, first 2 shown]
	v_mov_b32_e32 v2, v1
.LBB62_75:
	s_or_b32 exec_lo, exec_lo, s2
	v_mov_b32_e32 v1, v46
	s_mov_b32 s2, exec_lo
	s_delay_alu instid0(VALU_DEP_2)
	v_cmpx_lt_f32_e32 v2, v46
	s_cbranch_execz .LBB62_77
; %bb.76:
	v_mov_b32_e32 v117, v8
	v_mov_b32_e32 v45, v46
	;; [unrolled: 1-line block ×4, first 2 shown]
	v_dual_mov_b32 v51, v111 :: v_dual_mov_b32 v54, v114
	v_dual_mov_b32 v56, v116 :: v_dual_mov_b32 v63, v99
	v_dual_mov_b32 v66, v102 :: v_dual_mov_b32 v53, v113
	v_dual_mov_b32 v58, v118 :: v_dual_mov_b32 v55, v115
	v_dual_mov_b32 v60, v120 :: v_dual_mov_b32 v57, v117
	v_dual_mov_b32 v62, v122 :: v_dual_mov_b32 v59, v119
	v_dual_mov_b32 v60, v10 :: v_dual_mov_b32 v61, v121
	v_mov_b32_e32 v58, v7
	v_dual_mov_b32 v67, v103 :: v_dual_mov_b32 v70, v106
	v_dual_mov_b32 v69, v105 :: v_dual_mov_b32 v72, v108
	v_dual_mov_b32 v71, v107 :: v_dual_mov_b32 v74, v110
	v_dual_mov_b32 v73, v109 :: v_dual_mov_b32 v72, v24
	v_dual_mov_b32 v75, v99 :: v_dual_mov_b32 v76, v100
	v_dual_mov_b32 v87, v111 :: v_dual_mov_b32 v88, v112
	v_dual_mov_b32 v52, v112 :: v_dual_mov_b32 v59, v9
	v_dual_mov_b32 v62, v12 :: v_dual_mov_b32 v61, v14
	v_dual_mov_b32 v64, v100 :: v_dual_mov_b32 v65, v101
	v_mov_b32_e32 v68, v104
	v_dual_mov_b32 v70, v21 :: v_dual_mov_b32 v71, v23
	v_dual_mov_b32 v73, v13 :: v_dual_mov_b32 v74, v26
	;; [unrolled: 10-line block ×3, first 2 shown]
	v_dual_mov_b32 v95, v119 :: v_dual_mov_b32 v96, v120
	v_dual_mov_b32 v97, v121 :: v_dual_mov_b32 v98, v122
.LBB62_77:
	s_or_b32 exec_lo, exec_lo, s2
	v_mov_b32_e32 v2, v47
	s_mov_b32 s2, exec_lo
	v_cmpx_lt_f32_e32 v1, v47
	s_cbranch_execz .LBB62_79
; %bb.78:
	v_dual_mov_b32 v83, v22 :: v_dual_mov_b32 v84, v24
	v_dual_mov_b32 v94, v9 :: v_dual_mov_b32 v95, v8
	;; [unrolled: 1-line block ×4, first 2 shown]
	v_mov_b32_e32 v86, v26
	v_dual_mov_b32 v46, v47 :: v_dual_mov_b32 v47, v1
	v_dual_mov_b32 v98, v12 :: v_dual_mov_b32 v63, v75
	v_dual_mov_b32 v72, v84 :: v_dual_mov_b32 v51, v87
	v_dual_mov_b32 v64, v76 :: v_dual_mov_b32 v67, v79
	v_dual_mov_b32 v65, v77 :: v_dual_mov_b32 v66, v78
	v_dual_mov_b32 v69, v81 :: v_dual_mov_b32 v68, v80
	v_dual_mov_b32 v71, v83 :: v_dual_mov_b32 v70, v82
	v_dual_mov_b32 v73, v85 :: v_dual_mov_b32 v74, v86
	v_dual_mov_b32 v53, v89 :: v_dual_mov_b32 v52, v88
	v_dual_mov_b32 v55, v91 :: v_dual_mov_b32 v54, v90
	v_dual_mov_b32 v57, v93 :: v_dual_mov_b32 v56, v92
	v_dual_mov_b32 v59, v95 :: v_dual_mov_b32 v58, v94
	v_dual_mov_b32 v61, v97 :: v_dual_mov_b32 v60, v96
	v_mov_b32_e32 v62, v98
	v_mov_b32_e32 v2, v1
.LBB62_79:
	s_or_b32 exec_lo, exec_lo, s2
	s_delay_alu instid0(VALU_DEP_1)
	v_cmp_lt_f32_e32 vcc_lo, v2, v48
	v_dual_mov_b32 v1, v39 :: v_dual_mov_b32 v6, v44
	v_dual_mov_b32 v3, v41 :: v_dual_mov_b32 v8, v46
	s_waitcnt vmcnt(0)
	v_dual_cndmask_b32 v37, v72, v71 :: v_dual_mov_b32 v4, v42
	v_dual_cndmask_b32 v71, v71, v72 :: v_dual_cndmask_b32 v38, v60, v59
	v_dual_cndmask_b32 v59, v59, v60 :: v_dual_cndmask_b32 v10, v48, v2
	v_dual_cndmask_b32 v9, v47, v48 :: v_dual_mov_b32 v2, v40
	v_dual_mov_b32 v5, v43 :: v_dual_mov_b32 v12, v50
	v_mov_b32_e32 v7, v45
	v_mov_b32_e32 v11, v49
	s_mov_b32 s2, exec_lo
	v_cmpx_lt_f32_e32 v39, v40
	s_cbranch_execz .LBB62_81
; %bb.80:
	v_dual_mov_b32 v13, v2 :: v_dual_mov_b32 v14, v1
	v_dual_mov_b32 v15, v3 :: v_dual_mov_b32 v16, v4
	;; [unrolled: 1-line block ×6, first 2 shown]
	v_mov_b32_e32 v25, v63
	v_dual_mov_b32 v26, v51 :: v_dual_mov_b32 v1, v13
	v_swap_b32 v63, v64
	v_swap_b32 v51, v52
	v_dual_mov_b32 v2, v14 :: v_dual_mov_b32 v3, v15
	v_dual_mov_b32 v4, v16 :: v_dual_mov_b32 v5, v17
	;; [unrolled: 1-line block ×5, first 2 shown]
	v_mov_b32_e32 v12, v24
	v_mov_b32_e32 v40, v39
.LBB62_81:
	s_or_b32 exec_lo, exec_lo, s2
	v_mov_b32_e32 v60, v38
	v_dual_mov_b32 v72, v37 :: v_dual_mov_b32 v13, v51
	v_dual_mov_b32 v25, v63 :: v_dual_mov_b32 v98, v74
	v_dual_mov_b32 v95, v71 :: v_dual_mov_b32 v110, v74
	v_dual_mov_b32 v107, v71 :: v_dual_mov_b32 v158, v74
	v_dual_mov_b32 v155, v71 :: v_dual_mov_b32 v146, v74
	v_dual_mov_b32 v143, v71 :: v_dual_mov_b32 v86, v62
	v_dual_mov_b32 v81, v57 :: v_dual_mov_b32 v122, v62
	v_dual_mov_b32 v117, v57 :: v_dual_mov_b32 v170, v62
	v_dual_mov_b32 v165, v57 :: v_dual_mov_b32 v134, v62
	v_dual_mov_b32 v129, v57 :: v_dual_mov_b32 v26, v64
	v_dual_mov_b32 v27, v65 :: v_dual_mov_b32 v28, v66
	v_dual_mov_b32 v29, v67 :: v_dual_mov_b32 v30, v68
	v_dual_mov_b32 v31, v69 :: v_dual_mov_b32 v32, v70
	v_dual_mov_b32 v33, v71 :: v_dual_mov_b32 v34, v72
	v_dual_mov_b32 v35, v73 :: v_dual_mov_b32 v36, v74
	v_dual_mov_b32 v97, v73 :: v_dual_mov_b32 v94, v70
	v_dual_mov_b32 v91, v67 :: v_dual_mov_b32 v92, v68
	v_dual_mov_b32 v89, v65 :: v_dual_mov_b32 v90, v66
	v_dual_mov_b32 v87, v63 :: v_dual_mov_b32 v88, v64
	v_dual_mov_b32 v109, v73 :: v_dual_mov_b32 v108, v72
	v_dual_mov_b32 v105, v69 :: v_dual_mov_b32 v106, v70
	v_dual_mov_b32 v103, v67 :: v_dual_mov_b32 v104, v68
	v_dual_mov_b32 v101, v65 :: v_dual_mov_b32 v102, v66
	v_dual_mov_b32 v99, v63 :: v_dual_mov_b32 v100, v64
	v_dual_mov_b32 v157, v73 :: v_dual_mov_b32 v156, v72
	v_dual_mov_b32 v153, v69 :: v_dual_mov_b32 v154, v70
	v_dual_mov_b32 v151, v67 :: v_dual_mov_b32 v152, v68
	v_dual_mov_b32 v149, v65 :: v_dual_mov_b32 v150, v66
	v_dual_mov_b32 v147, v63 :: v_dual_mov_b32 v148, v64
	v_dual_mov_b32 v145, v73 :: v_dual_mov_b32 v144, v72
	v_dual_mov_b32 v141, v69 :: v_dual_mov_b32 v142, v70
	v_dual_mov_b32 v139, v67 :: v_dual_mov_b32 v140, v68
	v_dual_mov_b32 v137, v65 :: v_dual_mov_b32 v138, v66
	v_dual_mov_b32 v135, v63 :: v_dual_mov_b32 v136, v64
	v_dual_mov_b32 v15, v53 :: v_dual_mov_b32 v14, v52
	v_dual_mov_b32 v17, v55 :: v_dual_mov_b32 v16, v54
	v_dual_mov_b32 v19, v57 :: v_dual_mov_b32 v18, v56
	v_dual_mov_b32 v21, v59 :: v_dual_mov_b32 v20, v58
	v_dual_mov_b32 v23, v61 :: v_dual_mov_b32 v22, v60
	v_dual_mov_b32 v85, v61 :: v_dual_mov_b32 v24, v62
	v_dual_mov_b32 v83, v59 :: v_dual_mov_b32 v84, v60
	v_dual_mov_b32 v79, v55 :: v_dual_mov_b32 v82, v58
	v_dual_mov_b32 v77, v53 :: v_dual_mov_b32 v80, v56
	v_dual_mov_b32 v75, v51 :: v_dual_mov_b32 v78, v54
	v_dual_mov_b32 v121, v61 :: v_dual_mov_b32 v76, v52
	v_dual_mov_b32 v119, v59 :: v_dual_mov_b32 v120, v60
	v_dual_mov_b32 v115, v55 :: v_dual_mov_b32 v118, v58
	v_dual_mov_b32 v113, v53 :: v_dual_mov_b32 v116, v56
	v_dual_mov_b32 v111, v51 :: v_dual_mov_b32 v114, v54
	v_dual_mov_b32 v169, v61 :: v_dual_mov_b32 v112, v52
	v_dual_mov_b32 v167, v59 :: v_dual_mov_b32 v168, v60
	v_dual_mov_b32 v163, v55 :: v_dual_mov_b32 v166, v58
	v_dual_mov_b32 v161, v53 :: v_dual_mov_b32 v164, v56
	v_dual_mov_b32 v159, v51 :: v_dual_mov_b32 v162, v54
	v_dual_mov_b32 v133, v61 :: v_dual_mov_b32 v160, v52
	v_dual_mov_b32 v131, v59 :: v_dual_mov_b32 v132, v60
	v_dual_mov_b32 v127, v55 :: v_dual_mov_b32 v130, v58
	v_dual_mov_b32 v125, v53 :: v_dual_mov_b32 v128, v56
	v_dual_mov_b32 v123, v51 :: v_dual_mov_b32 v126, v54
	v_dual_mov_b32 v39, v3 :: v_dual_mov_b32 v124, v52
	s_mov_b32 s2, exec_lo
	v_dual_mov_b32 v96, v72 :: v_dual_mov_b32 v93, v69
	v_cmpx_lt_f32_e32 v40, v3
	s_cbranch_execz .LBB62_83
; %bb.82:
	v_dual_mov_b32 v134, v62 :: v_dual_mov_b32 v133, v61
	v_dual_mov_b32 v124, v52 :: v_dual_mov_b32 v123, v51
	v_mov_b32_e32 v124, v53
	v_dual_mov_b32 v128, v56 :: v_dual_mov_b32 v127, v55
	v_dual_mov_b32 v132, v60 :: v_dual_mov_b32 v131, v59
	;; [unrolled: 1-line block ×11, first 2 shown]
	v_mov_b32_e32 v141, v69
	v_dual_mov_b32 v136, v65 :: v_dual_mov_b32 v137, v64
	v_dual_mov_b32 v160, v124 :: v_dual_mov_b32 v159, v123
	;; [unrolled: 1-line block ×40, first 2 shown]
	v_mov_b32_e32 v22, v84
	v_dual_mov_b32 v22, v38 :: v_dual_mov_b32 v25, v87
	v_dual_mov_b32 v16, v78 :: v_dual_mov_b32 v19, v81
	;; [unrolled: 1-line block ×16, first 2 shown]
	v_mov_b32_e32 v35, v73
	v_dual_mov_b32 v34, v37 :: v_dual_mov_b32 v39, v40
	v_dual_mov_b32 v36, v74 :: v_dual_mov_b32 v65, v64
	v_mov_b32_e32 v53, v52
.LBB62_83:
	s_or_b32 exec_lo, exec_lo, s2
	v_mov_b32_e32 v40, v4
	s_mov_b32 s2, exec_lo
	v_cmpx_lt_f32_e32 v39, v4
	s_cbranch_execz .LBB62_85
; %bb.84:
	v_mov_b32_e32 v137, v66
	v_mov_b32_e32 v125, v54
	;; [unrolled: 1-line block ×4, first 2 shown]
	v_dual_mov_b32 v170, v134 :: v_dual_mov_b32 v169, v133
	v_dual_mov_b32 v168, v132 :: v_dual_mov_b32 v159, v123
	;; [unrolled: 1-line block ×9, first 2 shown]
	v_mov_b32_e32 v157, v145
	v_dual_mov_b32 v155, v143 :: v_dual_mov_b32 v152, v140
	v_mov_b32_e32 v162, v53
	v_mov_b32_e32 v149, v137
	v_dual_mov_b32 v150, v65 :: v_dual_mov_b32 v111, v159
	v_dual_mov_b32 v112, v160 :: v_dual_mov_b32 v99, v147
	;; [unrolled: 1-line block ×13, first 2 shown]
	v_mov_b32_e32 v115, v55
	v_dual_mov_b32 v87, v99 :: v_dual_mov_b32 v88, v100
	v_dual_mov_b32 v75, v111 :: v_dual_mov_b32 v78, v114
	;; [unrolled: 1-line block ×3, first 2 shown]
	s_delay_alu instid0(VALU_DEP_4)
	v_dual_mov_b32 v80, v116 :: v_dual_mov_b32 v79, v115
	v_dual_mov_b32 v82, v118 :: v_dual_mov_b32 v81, v117
	;; [unrolled: 1-line block ×6, first 2 shown]
	v_mov_b32_e32 v96, v108
	v_dual_mov_b32 v92, v104 :: v_dual_mov_b32 v93, v105
	v_dual_mov_b32 v98, v110 :: v_dual_mov_b32 v95, v107
	;; [unrolled: 1-line block ×21, first 2 shown]
	v_mov_b32_e32 v34, v37
	v_dual_mov_b32 v35, v73 :: v_dual_mov_b32 v36, v74
	v_mov_b32_e32 v40, v39
	v_mov_b32_e32 v66, v65
	;; [unrolled: 1-line block ×3, first 2 shown]
.LBB62_85:
	s_or_b32 exec_lo, exec_lo, s2
	v_mov_b32_e32 v39, v5
	s_mov_b32 s2, exec_lo
	v_cmpx_lt_f32_e32 v40, v5
	s_cbranch_execz .LBB62_87
; %bb.86:
	v_mov_b32_e32 v126, v55
	v_mov_b32_e32 v111, v123
	;; [unrolled: 1-line block ×3, first 2 shown]
	v_dual_mov_b32 v115, v54 :: v_dual_mov_b32 v116, v128
	v_dual_mov_b32 v138, v67 :: v_dual_mov_b32 v113, v125
	v_mov_b32_e32 v112, v124
	v_dual_mov_b32 v118, v130 :: v_dual_mov_b32 v119, v131
	v_dual_mov_b32 v120, v132 :: v_dual_mov_b32 v121, v133
	;; [unrolled: 1-line block ×24, first 2 shown]
	v_mov_b32_e32 v22, v84
	v_dual_mov_b32 v22, v38 :: v_dual_mov_b32 v25, v87
	v_dual_mov_b32 v16, v78 :: v_dual_mov_b32 v19, v81
	;; [unrolled: 1-line block ×18, first 2 shown]
	v_mov_b32_e32 v35, v73
	v_dual_mov_b32 v34, v37 :: v_dual_mov_b32 v155, v143
	v_dual_mov_b32 v36, v74 :: v_dual_mov_b32 v157, v145
	;; [unrolled: 1-line block ×12, first 2 shown]
	v_mov_b32_e32 v55, v54
.LBB62_87:
	s_or_b32 exec_lo, exec_lo, s2
	v_mov_b32_e32 v40, v6
	s_mov_b32 s2, exec_lo
	v_cmpx_lt_f32_e32 v39, v6
	s_cbranch_execz .LBB62_89
; %bb.88:
	v_mov_b32_e32 v163, v56
	v_dual_mov_b32 v75, v159 :: v_dual_mov_b32 v80, v164
	v_dual_mov_b32 v80, v55 :: v_dual_mov_b32 v81, v165
	;; [unrolled: 1-line block ×7, first 2 shown]
	v_mov_b32_e32 v85, v169
	v_dual_mov_b32 v89, v149 :: v_dual_mov_b32 v92, v152
	v_dual_mov_b32 v91, v151 :: v_dual_mov_b32 v94, v154
	;; [unrolled: 1-line block ×6, first 2 shown]
	v_mov_b32_e32 v88, v148
	v_mov_b32_e32 v6, v39
	s_delay_alu instid0(VALU_DEP_3) | instskip(NEXT) | instid1(VALU_DEP_3)
	v_dual_mov_b32 v13, v75 :: v_dual_mov_b32 v14, v76
	v_dual_mov_b32 v25, v87 :: v_dual_mov_b32 v26, v88
	;; [unrolled: 1-line block ×30, first 2 shown]
	v_mov_b32_e32 v40, v39
	v_mov_b32_e32 v68, v67
	;; [unrolled: 1-line block ×3, first 2 shown]
.LBB62_89:
	s_or_b32 exec_lo, exec_lo, s2
	v_mov_b32_e32 v39, v7
	s_mov_b32 s2, exec_lo
	v_cmpx_lt_f32_e32 v40, v7
	s_cbranch_execz .LBB62_91
; %bb.90:
	v_mov_b32_e32 v116, v57
	v_dual_mov_b32 v6, v7 :: v_dual_mov_b32 v7, v40
	v_dual_mov_b32 v104, v69 :: v_dual_mov_b32 v13, v111
	v_mov_b32_e32 v22, v120
	v_dual_mov_b32 v22, v38 :: v_dual_mov_b32 v25, v99
	v_mov_b32_e32 v34, v108
	v_dual_mov_b32 v34, v37 :: v_dual_mov_b32 v87, v99
	v_dual_mov_b32 v16, v114 :: v_dual_mov_b32 v19, v117
	;; [unrolled: 1-line block ×12, first 2 shown]
	v_mov_b32_e32 v23, v61
	v_dual_mov_b32 v21, v59 :: v_dual_mov_b32 v24, v62
	v_dual_mov_b32 v27, v101 :: v_dual_mov_b32 v26, v100
	;; [unrolled: 1-line block ×3, first 2 shown]
	v_mov_b32_e32 v35, v73
	v_dual_mov_b32 v33, v71 :: v_dual_mov_b32 v36, v74
	v_dual_mov_b32 v89, v101 :: v_dual_mov_b32 v88, v100
	;; [unrolled: 1-line block ×9, first 2 shown]
	v_mov_b32_e32 v39, v40
	v_mov_b32_e32 v69, v68
	v_dual_mov_b32 v57, v56 :: v_dual_mov_b32 v94, v106
	v_dual_mov_b32 v97, v109 :: v_dual_mov_b32 v82, v118
	;; [unrolled: 1-line block ×3, first 2 shown]
.LBB62_91:
	s_or_b32 exec_lo, exec_lo, s2
	v_mov_b32_e32 v40, v8
	s_mov_b32 s2, exec_lo
	v_cmpx_lt_f32_e32 v39, v8
	s_cbranch_execz .LBB62_93
; %bb.92:
	v_dual_mov_b32 v81, v58 :: v_dual_mov_b32 v82, v57
	v_dual_mov_b32 v83, v59 :: v_dual_mov_b32 v84, v38
	;; [unrolled: 1-line block ×19, first 2 shown]
	v_mov_b32_e32 v40, v39
.LBB62_93:
	s_or_b32 exec_lo, exec_lo, s2
	s_delay_alu instid0(VALU_DEP_1)
	v_cmp_lt_f32_e32 vcc_lo, v40, v9
	v_dual_mov_b32 v38, v2 :: v_dual_mov_b32 v41, v5
	v_dual_mov_b32 v42, v6 :: v_dual_mov_b32 v47, v11
	v_dual_cndmask_b32 v145, v33, v32 :: v_dual_cndmask_b32 v32, v32, v33
	v_dual_cndmask_b32 v146, v21, v20 :: v_dual_mov_b32 v39, v3
	v_dual_cndmask_b32 v20, v20, v21 :: v_dual_cndmask_b32 v45, v9, v40
	v_dual_cndmask_b32 v44, v8, v9 :: v_dual_mov_b32 v37, v1
	v_dual_mov_b32 v40, v4 :: v_dual_mov_b32 v43, v7
	v_mov_b32_e32 v46, v10
	v_mov_b32_e32 v48, v12
	s_mov_b32 s2, exec_lo
	v_cmpx_lt_f32_e32 v1, v2
	s_cbranch_execz .LBB62_95
; %bb.94:
	v_dual_mov_b32 v49, v38 :: v_dual_mov_b32 v50, v37
	v_dual_mov_b32 v51, v39 :: v_dual_mov_b32 v52, v40
	;; [unrolled: 1-line block ×6, first 2 shown]
	v_mov_b32_e32 v3, v25
	v_mov_b32_e32 v4, v13
	v_dual_mov_b32 v37, v49 :: v_dual_mov_b32 v40, v52
	v_swap_b32 v25, v26
	v_swap_b32 v13, v14
	v_dual_mov_b32 v38, v50 :: v_dual_mov_b32 v39, v51
	v_dual_mov_b32 v41, v53 :: v_dual_mov_b32 v42, v54
	;; [unrolled: 1-line block ×5, first 2 shown]
	v_mov_b32_e32 v2, v1
.LBB62_95:
	s_or_b32 exec_lo, exec_lo, s2
	v_mov_b32_e32 v21, v146
	v_dual_mov_b32 v33, v145 :: v_dual_mov_b32 v60, v24
	v_dual_mov_b32 v72, v36 :: v_dual_mov_b32 v61, v25
	v_dual_mov_b32 v96, v36 :: v_dual_mov_b32 v51, v15
	v_dual_mov_b32 v84, v24 :: v_dual_mov_b32 v85, v25
	v_dual_mov_b32 v132, v36 :: v_dual_mov_b32 v75, v15
	v_dual_mov_b32 v144, v24 :: v_dual_mov_b32 v121, v25
	v_dual_mov_b32 v120, v36 :: v_dual_mov_b32 v135, v15
	v_dual_mov_b32 v108, v24 :: v_dual_mov_b32 v71, v35
	v_dual_mov_b32 v70, v34 :: v_dual_mov_b32 v69, v33
	v_dual_mov_b32 v68, v32 :: v_dual_mov_b32 v67, v31
	v_dual_mov_b32 v66, v30 :: v_dual_mov_b32 v65, v29
	v_dual_mov_b32 v64, v28 :: v_dual_mov_b32 v63, v27
	v_dual_mov_b32 v62, v26 :: v_dual_mov_b32 v89, v29
	v_dual_mov_b32 v88, v28 :: v_dual_mov_b32 v87, v27
	v_dual_mov_b32 v86, v26 :: v_dual_mov_b32 v131, v35
	v_dual_mov_b32 v130, v34 :: v_dual_mov_b32 v129, v33
	v_dual_mov_b32 v128, v32 :: v_dual_mov_b32 v127, v31
	v_dual_mov_b32 v126, v30 :: v_dual_mov_b32 v125, v29
	v_dual_mov_b32 v124, v28 :: v_dual_mov_b32 v123, v27
	v_dual_mov_b32 v122, v26 :: v_dual_mov_b32 v119, v35
	v_dual_mov_b32 v118, v34 :: v_dual_mov_b32 v117, v33
	v_dual_mov_b32 v116, v32 :: v_dual_mov_b32 v115, v31
	v_dual_mov_b32 v114, v30 :: v_dual_mov_b32 v113, v29
	v_dual_mov_b32 v112, v28 :: v_dual_mov_b32 v111, v27
	v_dual_mov_b32 v110, v26 :: v_dual_mov_b32 v109, v25
	v_dual_mov_b32 v58, v22 :: v_dual_mov_b32 v59, v23
	v_dual_mov_b32 v56, v20 :: v_dual_mov_b32 v57, v21
	v_dual_mov_b32 v54, v18 :: v_dual_mov_b32 v55, v19
	v_dual_mov_b32 v52, v16 :: v_dual_mov_b32 v53, v17
	v_dual_mov_b32 v50, v14 :: v_dual_mov_b32 v49, v13
	v_dual_mov_b32 v82, v22 :: v_dual_mov_b32 v79, v19
	v_dual_mov_b32 v76, v16 :: v_dual_mov_b32 v77, v17
	v_dual_mov_b32 v74, v14 :: v_dual_mov_b32 v73, v13
	v_dual_mov_b32 v142, v22 :: v_dual_mov_b32 v143, v23
	v_dual_mov_b32 v140, v20 :: v_dual_mov_b32 v141, v21
	v_dual_mov_b32 v138, v18 :: v_dual_mov_b32 v139, v19
	v_dual_mov_b32 v136, v16 :: v_dual_mov_b32 v137, v17
	v_dual_mov_b32 v134, v14 :: v_dual_mov_b32 v133, v13
	v_dual_mov_b32 v106, v22 :: v_dual_mov_b32 v107, v23
	v_dual_mov_b32 v104, v20 :: v_dual_mov_b32 v105, v21
	v_dual_mov_b32 v102, v18 :: v_dual_mov_b32 v103, v19
	v_dual_mov_b32 v100, v16 :: v_dual_mov_b32 v101, v17
	v_dual_mov_b32 v98, v14 :: v_dual_mov_b32 v99, v15
	v_mov_b32_e32 v97, v13
	v_mov_b32_e32 v1, v39
	s_mov_b32 s2, exec_lo
	v_dual_mov_b32 v95, v35 :: v_dual_mov_b32 v94, v34
	v_dual_mov_b32 v93, v33 :: v_dual_mov_b32 v92, v32
	;; [unrolled: 1-line block ×5, first 2 shown]
	v_cmpx_lt_f32_e32 v2, v39
	s_cbranch_execz .LBB62_97
; %bb.96:
	v_dual_mov_b32 v108, v24 :: v_dual_mov_b32 v107, v23
	v_dual_mov_b32 v98, v14 :: v_dual_mov_b32 v97, v13
	v_mov_b32_e32 v98, v15
	v_dual_mov_b32 v104, v20 :: v_dual_mov_b32 v103, v19
	v_dual_mov_b32 v100, v16 :: v_dual_mov_b32 v99, v15
	;; [unrolled: 1-line block ×26, first 2 shown]
	v_mov_b32_e32 v84, v144
	v_dual_mov_b32 v74, v134 :: v_dual_mov_b32 v77, v137
	v_mov_b32_e32 v75, v135
	v_dual_mov_b32 v38, v39 :: v_dual_mov_b32 v85, v121
	v_dual_mov_b32 v76, v136 :: v_dual_mov_b32 v79, v139
	;; [unrolled: 1-line block ×10, first 2 shown]
	v_mov_b32_e32 v39, v2
	v_dual_mov_b32 v49, v73 :: v_dual_mov_b32 v50, v74
	v_dual_mov_b32 v59, v83 :: v_dual_mov_b32 v60, v84
	;; [unrolled: 1-line block ×18, first 2 shown]
	v_mov_b32_e32 v70, v34
	v_dual_mov_b32 v72, v36 :: v_dual_mov_b32 v1, v2
	v_mov_b32_e32 v27, v26
	v_mov_b32_e32 v15, v14
.LBB62_97:
	s_or_b32 exec_lo, exec_lo, s2
	v_mov_b32_e32 v2, v40
	s_mov_b32 s2, exec_lo
	v_cmpx_lt_f32_e32 v1, v40
	s_cbranch_execz .LBB62_99
; %bb.98:
	v_mov_b32_e32 v99, v16
	v_mov_b32_e32 v144, v108
	;; [unrolled: 1-line block ×3, first 2 shown]
	v_dual_mov_b32 v136, v15 :: v_dual_mov_b32 v111, v28
	v_dual_mov_b32 v142, v106 :: v_dual_mov_b32 v133, v97
	;; [unrolled: 1-line block ×4, first 2 shown]
	v_mov_b32_e32 v135, v99
	v_dual_mov_b32 v125, v113 :: v_dual_mov_b32 v124, v112
	v_mov_b32_e32 v143, v107
	v_dual_mov_b32 v141, v105 :: v_dual_mov_b32 v140, v104
	v_dual_mov_b32 v139, v103 :: v_dual_mov_b32 v138, v102
	;; [unrolled: 1-line block ×18, first 2 shown]
	v_mov_b32_e32 v95, v131
	v_dual_mov_b32 v89, v29 :: v_dual_mov_b32 v88, v124
	v_dual_mov_b32 v49, v73 :: v_dual_mov_b32 v54, v78
	v_mov_b32_e32 v50, v74
	v_dual_mov_b32 v52, v76 :: v_dual_mov_b32 v61, v85
	s_delay_alu instid0(VALU_DEP_4)
	v_dual_mov_b32 v64, v88 :: v_dual_mov_b32 v51, v75
	v_dual_mov_b32 v56, v80 :: v_dual_mov_b32 v53, v77
	;; [unrolled: 1-line block ×12, first 2 shown]
	v_mov_b32_e32 v58, v22
	v_dual_mov_b32 v57, v146 :: v_dual_mov_b32 v60, v24
	v_dual_mov_b32 v59, v23 :: v_dual_mov_b32 v62, v86
	;; [unrolled: 1-line block ×5, first 2 shown]
	v_mov_b32_e32 v2, v1
	v_mov_b32_e32 v28, v27
	;; [unrolled: 1-line block ×3, first 2 shown]
.LBB62_99:
	s_or_b32 exec_lo, exec_lo, s2
	v_mov_b32_e32 v1, v41
	s_mov_b32 s2, exec_lo
	v_cmpx_lt_f32_e32 v2, v41
	s_cbranch_execz .LBB62_101
; %bb.100:
	v_mov_b32_e32 v100, v17
	v_mov_b32_e32 v73, v97
	;; [unrolled: 1-line block ×3, first 2 shown]
	v_dual_mov_b32 v77, v16 :: v_dual_mov_b32 v78, v102
	v_dual_mov_b32 v112, v29 :: v_dual_mov_b32 v75, v99
	v_dual_mov_b32 v82, v106 :: v_dual_mov_b32 v83, v107
	v_mov_b32_e32 v84, v108
	v_dual_mov_b32 v74, v98 :: v_dual_mov_b32 v85, v109
	v_mov_b32_e32 v86, v110
	v_dual_mov_b32 v76, v100 :: v_dual_mov_b32 v79, v103
	v_dual_mov_b32 v80, v104 :: v_dual_mov_b32 v81, v105
	;; [unrolled: 1-line block ×8, first 2 shown]
	v_mov_b32_e32 v49, v73
	v_dual_mov_b32 v89, v28 :: v_dual_mov_b32 v50, v74
	v_dual_mov_b32 v59, v83 :: v_dual_mov_b32 v60, v84
	;; [unrolled: 1-line block ×32, first 2 shown]
	v_mov_b32_e32 v17, v16
.LBB62_101:
	s_or_b32 exec_lo, exec_lo, s2
	v_mov_b32_e32 v2, v42
	s_mov_b32 s2, exec_lo
	v_cmpx_lt_f32_e32 v1, v42
	s_cbranch_execz .LBB62_103
; %bb.102:
	v_mov_b32_e32 v137, v18
	v_mov_b32_e32 v125, v30
	v_dual_mov_b32 v41, v42 :: v_dual_mov_b32 v42, v1
	v_dual_mov_b32 v49, v133 :: v_dual_mov_b32 v50, v134
	;; [unrolled: 1-line block ×13, first 2 shown]
	v_mov_b32_e32 v66, v29
	v_dual_mov_b32 v85, v121 :: v_dual_mov_b32 v86, v122
	v_dual_mov_b32 v73, v133 :: v_dual_mov_b32 v74, v134
	;; [unrolled: 1-line block ×4, first 2 shown]
	v_mov_b32_e32 v64, v124
	v_dual_mov_b32 v58, v22 :: v_dual_mov_b32 v59, v23
	v_dual_mov_b32 v67, v31 :: v_dual_mov_b32 v68, v32
	;; [unrolled: 1-line block ×8, first 2 shown]
	v_mov_b32_e32 v2, v1
	v_mov_b32_e32 v30, v29
	v_dual_mov_b32 v18, v17 :: v_dual_mov_b32 v91, v127
	v_dual_mov_b32 v92, v128 :: v_dual_mov_b32 v93, v129
	;; [unrolled: 1-line block ×6, first 2 shown]
	v_mov_b32_e32 v84, v144
.LBB62_103:
	s_or_b32 exec_lo, exec_lo, s2
	v_mov_b32_e32 v1, v43
	s_mov_b32 s2, exec_lo
	v_cmpx_lt_f32_e32 v2, v43
	s_cbranch_execz .LBB62_105
; %bb.104:
	v_dual_mov_b32 v94, v34 :: v_dual_mov_b32 v95, v35
	v_dual_mov_b32 v78, v19 :: v_dual_mov_b32 v79, v18
	;; [unrolled: 1-line block ×6, first 2 shown]
	v_mov_b32_e32 v96, v36
	v_dual_mov_b32 v42, v43 :: v_dual_mov_b32 v43, v2
	v_dual_mov_b32 v84, v24 :: v_dual_mov_b32 v61, v85
	;; [unrolled: 1-line block ×14, first 2 shown]
.LBB62_105:
	s_or_b32 exec_lo, exec_lo, s2
	s_delay_alu instid0(VALU_DEP_1)
	v_cmp_lt_f32_e32 vcc_lo, v1, v44
	v_dual_mov_b32 v3, v39 :: v_dual_mov_b32 v10, v46
	v_dual_mov_b32 v5, v41 :: v_dual_mov_b32 v12, v48
	v_dual_cndmask_b32 v121, v68, v67 :: v_dual_mov_b32 v2, v38
	v_dual_cndmask_b32 v67, v67, v68 :: v_dual_cndmask_b32 v122, v56, v55
	v_dual_cndmask_b32 v55, v55, v56 :: v_dual_cndmask_b32 v8, v44, v1
	v_dual_cndmask_b32 v7, v43, v44 :: v_dual_mov_b32 v4, v40
	v_dual_mov_b32 v1, v37 :: v_dual_mov_b32 v6, v42
	v_mov_b32_e32 v9, v45
	v_mov_b32_e32 v11, v47
	s_mov_b32 s2, exec_lo
	v_cmpx_lt_f32_e32 v37, v38
	s_cbranch_execz .LBB62_107
; %bb.106:
	v_dual_mov_b32 v13, v2 :: v_dual_mov_b32 v14, v1
	v_dual_mov_b32 v15, v3 :: v_dual_mov_b32 v16, v4
	;; [unrolled: 1-line block ×6, first 2 shown]
	v_mov_b32_e32 v25, v61
	v_mov_b32_e32 v26, v49
	v_dual_mov_b32 v1, v13 :: v_dual_mov_b32 v4, v16
	v_swap_b32 v61, v62
	v_swap_b32 v49, v50
	v_dual_mov_b32 v2, v14 :: v_dual_mov_b32 v3, v15
	v_dual_mov_b32 v5, v17 :: v_dual_mov_b32 v6, v18
	;; [unrolled: 1-line block ×5, first 2 shown]
	v_mov_b32_e32 v38, v37
.LBB62_107:
	s_or_b32 exec_lo, exec_lo, s2
	v_mov_b32_e32 v56, v122
	v_mov_b32_e32 v68, v121
	;; [unrolled: 1-line block ×3, first 2 shown]
	v_dual_mov_b32 v27, v51 :: v_dual_mov_b32 v84, v72
	v_mov_b32_e32 v81, v69
	v_dual_mov_b32 v83, v71 :: v_dual_mov_b32 v96, v60
	v_dual_mov_b32 v91, v55 :: v_dual_mov_b32 v120, v72
	;; [unrolled: 1-line block ×31, first 2 shown]
	v_mov_b32_e32 v24, v60
	s_mov_b32 s2, exec_lo
	v_dual_mov_b32 v118, v70 :: v_dual_mov_b32 v115, v67
	v_dual_mov_b32 v116, v68 :: v_dual_mov_b32 v113, v65
	;; [unrolled: 1-line block ×3, first 2 shown]
	v_cmpx_lt_f32_e32 v38, v3
	s_cbranch_execz .LBB62_109
; %bb.108:
	v_dual_mov_b32 v13, v49 :: v_dual_mov_b32 v14, v50
	v_dual_mov_b32 v23, v59 :: v_dual_mov_b32 v24, v60
	;; [unrolled: 1-line block ×30, first 2 shown]
	v_mov_b32_e32 v112, v64
	v_dual_mov_b32 v34, v94 :: v_dual_mov_b32 v35, v95
	v_dual_mov_b32 v35, v59 :: v_dual_mov_b32 v34, v58
	;; [unrolled: 1-line block ×15, first 2 shown]
	v_mov_b32_e32 v81, v69
	v_dual_mov_b32 v80, v121 :: v_dual_mov_b32 v83, v71
	v_mov_b32_e32 v82, v70
	v_dual_mov_b32 v84, v72 :: v_dual_mov_b32 v37, v38
	v_mov_b32_e32 v63, v62
	v_mov_b32_e32 v51, v50
.LBB62_109:
	s_or_b32 exec_lo, exec_lo, s2
	v_mov_b32_e32 v38, v4
	s_mov_b32 s2, exec_lo
	v_cmpx_lt_f32_e32 v37, v4
	s_cbranch_execz .LBB62_111
; %bb.110:
	v_mov_b32_e32 v15, v52
	v_mov_b32_e32 v96, v24
	;; [unrolled: 1-line block ×3, first 2 shown]
	v_dual_mov_b32 v88, v51 :: v_dual_mov_b32 v99, v64
	v_dual_mov_b32 v94, v22 :: v_dual_mov_b32 v85, v13
	;; [unrolled: 1-line block ×3, first 2 shown]
	v_mov_b32_e32 v95, v23
	v_dual_mov_b32 v93, v21 :: v_dual_mov_b32 v92, v20
	v_dual_mov_b32 v91, v19 :: v_dual_mov_b32 v90, v18
	v_dual_mov_b32 v89, v17 :: v_dual_mov_b32 v86, v14
	v_dual_mov_b32 v119, v107 :: v_dual_mov_b32 v118, v106
	v_dual_mov_b32 v117, v105 :: v_dual_mov_b32 v116, v104
	v_dual_mov_b32 v115, v103 :: v_dual_mov_b32 v114, v102
	v_dual_mov_b32 v113, v101 :: v_dual_mov_b32 v112, v100
	v_mov_b32_e32 v87, v15
	v_dual_mov_b32 v111, v99 :: v_dual_mov_b32 v110, v98
	v_dual_mov_b32 v112, v63 :: v_dual_mov_b32 v25, v85
	;; [unrolled: 1-line block ×3, first 2 shown]
	s_delay_alu instid0(VALU_DEP_3)
	v_dual_mov_b32 v74, v110 :: v_dual_mov_b32 v29, v89
	v_dual_mov_b32 v30, v90 :: v_dual_mov_b32 v31, v91
	;; [unrolled: 1-line block ×8, first 2 shown]
	v_mov_b32_e32 v84, v120
	v_dual_mov_b32 v3, v4 :: v_dual_mov_b32 v4, v37
	v_dual_mov_b32 v27, v87 :: v_dual_mov_b32 v28, v88
	;; [unrolled: 1-line block ×11, first 2 shown]
	v_mov_b32_e32 v38, v37
	v_mov_b32_e32 v64, v63
	;; [unrolled: 1-line block ×3, first 2 shown]
.LBB62_111:
	s_or_b32 exec_lo, exec_lo, s2
	v_mov_b32_e32 v16, v5
	s_mov_b32 s2, exec_lo
	v_cmpx_lt_f32_e32 v38, v5
	s_cbranch_execz .LBB62_113
; %bb.112:
	v_mov_b32_e32 v100, v65
	v_mov_b32_e32 v16, v53
	v_dual_mov_b32 v4, v5 :: v_dual_mov_b32 v5, v38
	v_dual_mov_b32 v36, v24 :: v_dual_mov_b32 v33, v21
	;; [unrolled: 1-line block ×3, first 2 shown]
	v_mov_b32_e32 v31, v19
	v_dual_mov_b32 v35, v59 :: v_dual_mov_b32 v34, v58
	v_dual_mov_b32 v73, v97 :: v_dual_mov_b32 v32, v20
	;; [unrolled: 1-line block ×8, first 2 shown]
	v_mov_b32_e32 v77, v64
	v_dual_mov_b32 v84, v108 :: v_dual_mov_b32 v79, v67
	v_dual_mov_b32 v120, v108 :: v_dual_mov_b32 v115, v103
	v_dual_mov_b32 v96, v24 :: v_dual_mov_b32 v91, v19
	v_dual_mov_b32 v28, v16 :: v_dual_mov_b32 v25, v13
	v_dual_mov_b32 v26, v14 :: v_dual_mov_b32 v29, v52
	v_dual_mov_b32 v30, v54 :: v_dual_mov_b32 v31, v55
	v_dual_mov_b32 v32, v122 :: v_dual_mov_b32 v33, v57
	v_dual_mov_b32 v36, v60 :: v_dual_mov_b32 v75, v99
	v_dual_mov_b32 v78, v66 :: v_dual_mov_b32 v81, v69
	v_dual_mov_b32 v80, v121 :: v_dual_mov_b32 v83, v71
	v_dual_mov_b32 v82, v70 :: v_dual_mov_b32 v119, v107
	v_dual_mov_b32 v84, v72 :: v_dual_mov_b32 v117, v105
	v_dual_mov_b32 v116, v104 :: v_dual_mov_b32 v111, v99
	v_dual_mov_b32 v114, v102 :: v_dual_mov_b32 v109, v97
	v_dual_mov_b32 v112, v100 :: v_dual_mov_b32 v95, v23
	v_dual_mov_b32 v110, v98 :: v_dual_mov_b32 v93, v21
	v_dual_mov_b32 v94, v22 :: v_dual_mov_b32 v89, v17
	v_dual_mov_b32 v92, v20 :: v_dual_mov_b32 v87, v15
	v_dual_mov_b32 v90, v18 :: v_dual_mov_b32 v85, v13
	v_mov_b32_e32 v88, v16
	v_dual_mov_b32 v86, v14 :: v_dual_mov_b32 v65, v64
	v_dual_mov_b32 v16, v38 :: v_dual_mov_b32 v53, v52
	;; [unrolled: 1-line block ×3, first 2 shown]
.LBB62_113:
	s_or_b32 exec_lo, exec_lo, s2
	v_mov_b32_e32 v13, v6
	s_mov_b32 s2, exec_lo
	v_cmpx_lt_f32_e32 v16, v6
	s_cbranch_execz .LBB62_115
; %bb.114:
	v_dual_mov_b32 v89, v54 :: v_dual_mov_b32 v90, v53
	v_dual_mov_b32 v91, v55 :: v_dual_mov_b32 v92, v122
	v_dual_mov_b32 v93, v57 :: v_dual_mov_b32 v94, v58
	v_dual_mov_b32 v95, v59 :: v_dual_mov_b32 v114, v65
	v_dual_mov_b32 v113, v66 :: v_dual_mov_b32 v116, v121
	v_dual_mov_b32 v115, v67 :: v_dual_mov_b32 v118, v70
	v_dual_mov_b32 v117, v69 :: v_dual_mov_b32 v120, v72
	v_dual_mov_b32 v119, v71 :: v_dual_mov_b32 v96, v60
	v_dual_mov_b32 v73, v109 :: v_dual_mov_b32 v74, v110
	v_dual_mov_b32 v25, v85 :: v_dual_mov_b32 v26, v86
	v_dual_mov_b32 v5, v6 :: v_dual_mov_b32 v6, v16
	v_dual_mov_b32 v75, v111 :: v_dual_mov_b32 v76, v112
	v_dual_mov_b32 v77, v113 :: v_dual_mov_b32 v78, v114
	v_dual_mov_b32 v79, v115 :: v_dual_mov_b32 v80, v116
	v_dual_mov_b32 v81, v117 :: v_dual_mov_b32 v82, v118
	v_dual_mov_b32 v83, v119 :: v_dual_mov_b32 v84, v120
	v_dual_mov_b32 v27, v87 :: v_dual_mov_b32 v28, v88
	v_dual_mov_b32 v29, v89 :: v_dual_mov_b32 v30, v90
	v_dual_mov_b32 v31, v91 :: v_dual_mov_b32 v32, v92
	v_dual_mov_b32 v33, v93 :: v_dual_mov_b32 v34, v94
	v_dual_mov_b32 v35, v95 :: v_dual_mov_b32 v36, v96
	v_mov_b32_e32 v13, v16
.LBB62_115:
	s_or_b32 exec_lo, exec_lo, s2
	s_delay_alu instid0(VALU_DEP_1)
	v_cmp_lt_f32_e32 vcc_lo, v13, v7
	v_dual_mov_b32 v14, v2 :: v_dual_mov_b32 v17, v5
	v_dual_mov_b32 v16, v4 :: v_dual_mov_b32 v21, v9
	v_dual_cndmask_b32 v37, v79, v78 :: v_dual_cndmask_b32 v78, v78, v79
	v_cndmask_b32_e32 v38, v31, v30, vcc_lo
	v_dual_cndmask_b32 v30, v30, v31 :: v_dual_cndmask_b32 v19, v7, v13
	v_dual_cndmask_b32 v18, v6, v7 :: v_dual_mov_b32 v15, v3
	v_dual_mov_b32 v13, v1 :: v_dual_mov_b32 v20, v8
	v_dual_mov_b32 v23, v11 :: v_dual_mov_b32 v22, v10
	v_mov_b32_e32 v24, v12
	s_mov_b32 s2, exec_lo
	v_cmpx_lt_f32_e32 v1, v2
	s_cbranch_execz .LBB62_117
; %bb.116:
	v_dual_mov_b32 v2, v14 :: v_dual_mov_b32 v3, v13
	v_dual_mov_b32 v12, v23 :: v_dual_mov_b32 v13, v24
	;; [unrolled: 1-line block ×6, first 2 shown]
	v_mov_b32_e32 v24, v13
	v_mov_b32_e32 v31, v73
	v_dual_mov_b32 v39, v25 :: v_dual_mov_b32 v18, v7
	v_swap_b32 v73, v74
	v_swap_b32 v25, v26
	v_dual_mov_b32 v23, v12 :: v_dual_mov_b32 v20, v9
	v_dual_mov_b32 v22, v11 :: v_dual_mov_b32 v21, v10
	;; [unrolled: 1-line block ×4, first 2 shown]
	v_mov_b32_e32 v15, v4
	v_dual_mov_b32 v13, v2 :: v_dual_mov_b32 v2, v1
.LBB62_117:
	s_or_b32 exec_lo, exec_lo, s2
	v_mov_b32_e32 v31, v38
	v_dual_mov_b32 v79, v37 :: v_dual_mov_b32 v50, v36
	v_dual_mov_b32 v51, v73 :: v_dual_mov_b32 v52, v74
	;; [unrolled: 1-line block ×24, first 2 shown]
	v_mov_b32_e32 v85, v25
	v_mov_b32_e32 v1, v15
	s_mov_b32 s2, exec_lo
	v_cmpx_lt_f32_e32 v2, v15
	s_cbranch_execz .LBB62_119
; %bb.118:
	v_dual_mov_b32 v96, v36 :: v_dual_mov_b32 v95, v35
	v_dual_mov_b32 v86, v26 :: v_dual_mov_b32 v85, v25
	;; [unrolled: 1-line block ×8, first 2 shown]
	v_mov_b32_e32 v105, v81
	v_dual_mov_b32 v43, v89 :: v_dual_mov_b32 v44, v90
	v_dual_mov_b32 v100, v76 :: v_dual_mov_b32 v97, v73
	;; [unrolled: 1-line block ×6, first 2 shown]
	v_mov_b32_e32 v98, v74
	v_dual_mov_b32 v98, v75 :: v_dual_mov_b32 v99, v74
	v_dual_mov_b32 v49, v95 :: v_dual_mov_b32 v50, v96
	;; [unrolled: 1-line block ×12, first 2 shown]
	v_mov_b32_e32 v40, v86
	v_dual_mov_b32 v42, v28 :: v_dual_mov_b32 v43, v29
	v_dual_mov_b32 v45, v38 :: v_dual_mov_b32 v46, v32
	;; [unrolled: 1-line block ×9, first 2 shown]
	v_mov_b32_e32 v75, v74
	v_mov_b32_e32 v27, v26
.LBB62_119:
	s_or_b32 exec_lo, exec_lo, s2
	v_mov_b32_e32 v2, v16
	s_mov_b32 s2, exec_lo
	v_cmpx_lt_f32_e32 v1, v16
	s_cbranch_execz .LBB62_121
; %bb.120:
	v_mov_b32_e32 v87, v28
	v_mov_b32_e32 v99, v76
	v_dual_mov_b32 v15, v16 :: v_dual_mov_b32 v16, v1
	v_dual_mov_b32 v39, v85 :: v_dual_mov_b32 v42, v88
	;; [unrolled: 1-line block ×13, first 2 shown]
	v_mov_b32_e32 v56, v78
	v_mov_b32_e32 v40, v86
	v_dual_mov_b32 v42, v27 :: v_dual_mov_b32 v43, v29
	v_dual_mov_b32 v45, v38 :: v_dual_mov_b32 v46, v32
	v_dual_mov_b32 v47, v33 :: v_dual_mov_b32 v50, v36
	v_dual_mov_b32 v49, v35 :: v_dual_mov_b32 v52, v98
	v_dual_mov_b32 v54, v75 :: v_dual_mov_b32 v55, v77
	v_dual_mov_b32 v57, v37 :: v_dual_mov_b32 v58, v80
	v_dual_mov_b32 v59, v81 :: v_dual_mov_b32 v60, v82
	v_dual_mov_b32 v61, v83 :: v_dual_mov_b32 v62, v84
	v_mov_b32_e32 v2, v1
	v_mov_b32_e32 v76, v75
	;; [unrolled: 1-line block ×3, first 2 shown]
.LBB62_121:
	s_or_b32 exec_lo, exec_lo, s2
	v_mov_b32_e32 v1, v17
	s_mov_b32 s2, exec_lo
	v_cmpx_lt_f32_e32 v2, v17
	s_cbranch_execz .LBB62_123
; %bb.122:
	v_dual_mov_b32 v106, v82 :: v_dual_mov_b32 v107, v83
	v_dual_mov_b32 v88, v29 :: v_dual_mov_b32 v89, v28
	v_dual_mov_b32 v90, v30 :: v_dual_mov_b32 v93, v33
	v_dual_mov_b32 v91, v38 :: v_dual_mov_b32 v92, v32
	v_dual_mov_b32 v94, v34 :: v_dual_mov_b32 v95, v35
	v_dual_mov_b32 v100, v77 :: v_dual_mov_b32 v101, v76
	v_dual_mov_b32 v102, v78 :: v_dual_mov_b32 v103, v37
	v_dual_mov_b32 v104, v80 :: v_dual_mov_b32 v105, v81
	v_mov_b32_e32 v108, v84
	v_dual_mov_b32 v16, v17 :: v_dual_mov_b32 v17, v2
	v_dual_mov_b32 v96, v36 :: v_dual_mov_b32 v51, v97
	;; [unrolled: 1-line block ×14, first 2 shown]
.LBB62_123:
	s_or_b32 exec_lo, exec_lo, s2
	s_delay_alu instid0(VALU_DEP_1)
	v_cmp_lt_f32_e32 vcc_lo, v1, v18
	v_dual_mov_b32 v27, v13 :: v_dual_mov_b32 v34, v20
	v_dual_mov_b32 v29, v15 :: v_dual_mov_b32 v36, v22
	v_dual_cndmask_b32 v63, v56, v55 :: v_dual_cndmask_b32 v32, v18, v1
	v_dual_cndmask_b32 v55, v55, v56 :: v_dual_cndmask_b32 v64, v44, v43
	v_dual_cndmask_b32 v43, v43, v44 :: v_dual_mov_b32 v28, v14
	v_dual_cndmask_b32 v31, v17, v18 :: v_dual_mov_b32 v30, v16
	v_dual_mov_b32 v33, v19 :: v_dual_mov_b32 v38, v24
	v_mov_b32_e32 v35, v21
	v_mov_b32_e32 v37, v23
	s_mov_b32 s2, exec_lo
	v_cmpx_lt_f32_e32 v13, v14
	s_cbranch_execz .LBB62_125
; %bb.124:
	s_delay_alu instid0(VALU_DEP_2)
	v_dual_mov_b32 v11, v37 :: v_dual_mov_b32 v12, v38
	v_dual_mov_b32 v1, v28 :: v_dual_mov_b32 v2, v27
	;; [unrolled: 1-line block ×7, first 2 shown]
	s_delay_alu instid0(VALU_DEP_2)
	v_dual_mov_b32 v16, v39 :: v_dual_mov_b32 v35, v9
	v_swap_b32 v51, v52
	v_swap_b32 v39, v40
	v_dual_mov_b32 v37, v11 :: v_dual_mov_b32 v36, v10
	v_dual_mov_b32 v34, v8 :: v_dual_mov_b32 v33, v7
	;; [unrolled: 1-line block ×5, first 2 shown]
	v_mov_b32_e32 v14, v13
.LBB62_125:
	s_or_b32 exec_lo, exec_lo, s2
	v_mov_b32_e32 v44, v64
	v_mov_b32_e32 v56, v63
	;; [unrolled: 1-line block ×4, first 2 shown]
	v_dual_mov_b32 v15, v51 :: v_dual_mov_b32 v2, v40
	v_dual_mov_b32 v16, v52 :: v_dual_mov_b32 v17, v53
	;; [unrolled: 1-line block ×11, first 2 shown]
	v_mov_b32_e32 v12, v50
	s_mov_b32 s2, exec_lo
	v_cmpx_lt_f32_e32 v14, v29
	s_cbranch_execz .LBB62_127
; %bb.126:
	v_dual_mov_b32 v1, v39 :: v_dual_mov_b32 v2, v40
	v_dual_mov_b32 v11, v49 :: v_dual_mov_b32 v12, v50
	;; [unrolled: 1-line block ×25, first 2 shown]
	v_mov_b32_e32 v41, v40
.LBB62_127:
	s_or_b32 exec_lo, exec_lo, s2
	v_mov_b32_e32 v39, v30
	s_mov_b32 s2, exec_lo
	v_cmpx_lt_f32_e32 v13, v30
	s_cbranch_execz .LBB62_129
; %bb.128:
	v_dual_mov_b32 v29, v30 :: v_dual_mov_b32 v30, v13
	v_dual_mov_b32 v3, v42 :: v_dual_mov_b32 v4, v41
	v_dual_mov_b32 v5, v43 :: v_dual_mov_b32 v6, v64
	v_dual_mov_b32 v7, v45 :: v_dual_mov_b32 v8, v46
	v_dual_mov_b32 v9, v47 :: v_dual_mov_b32 v10, v48
	v_dual_mov_b32 v11, v49 :: v_dual_mov_b32 v12, v50
	v_dual_mov_b32 v17, v54 :: v_dual_mov_b32 v18, v53
	v_dual_mov_b32 v19, v55 :: v_dual_mov_b32 v22, v58
	v_dual_mov_b32 v20, v63 :: v_dual_mov_b32 v21, v57
	v_dual_mov_b32 v23, v59 :: v_dual_mov_b32 v24, v60
	v_dual_mov_b32 v25, v61 :: v_dual_mov_b32 v26, v62
	v_mov_b32_e32 v39, v13
.LBB62_129:
	s_or_b32 exec_lo, exec_lo, s2
	s_delay_alu instid0(VALU_DEP_1)
	v_cmp_lt_f32_e32 vcc_lo, v39, v31
	v_dual_mov_b32 v40, v28 :: v_dual_mov_b32 v45, v33
	v_dual_mov_b32 v44, v32 :: v_dual_mov_b32 v47, v35
	v_dual_cndmask_b32 v13, v19, v18 :: v_dual_cndmask_b32 v18, v18, v19
	v_dual_cndmask_b32 v14, v5, v4 :: v_dual_cndmask_b32 v43, v31, v39
	v_dual_cndmask_b32 v4, v4, v5 :: v_dual_mov_b32 v39, v27
	v_dual_cndmask_b32 v42, v30, v31 :: v_dual_mov_b32 v41, v29
	v_dual_mov_b32 v46, v34 :: v_dual_mov_b32 v49, v37
	v_mov_b32_e32 v48, v36
	v_mov_b32_e32 v50, v38
	s_mov_b32 s2, exec_lo
	v_cmpx_lt_f32_e32 v27, v28
	s_cbranch_execz .LBB62_131
; %bb.130:
	v_dual_mov_b32 v28, v40 :: v_dual_mov_b32 v29, v39
	v_dual_mov_b32 v38, v49 :: v_dual_mov_b32 v39, v50
	;; [unrolled: 1-line block ×7, first 2 shown]
	v_mov_b32_e32 v5, v15
	v_swap_b32 v15, v16
	s_delay_alu instid0(VALU_DEP_4)
	v_mov_b32_e32 v48, v37
	v_swap_b32 v1, v2
	v_dual_mov_b32 v49, v38 :: v_dual_mov_b32 v46, v35
	v_dual_mov_b32 v47, v36 :: v_dual_mov_b32 v44, v33
	;; [unrolled: 1-line block ×4, first 2 shown]
	v_mov_b32_e32 v41, v30
	v_dual_mov_b32 v39, v28 :: v_dual_mov_b32 v28, v27
.LBB62_131:
	s_or_b32 exec_lo, exec_lo, s2
	v_mov_b32_e32 v5, v14
	v_mov_b32_e32 v19, v13
	;; [unrolled: 1-line block ×3, first 2 shown]
	s_mov_b32 s2, exec_lo
	v_cmpx_lt_f32_e32 v28, v41
	s_cbranch_execz .LBB62_133
; %bb.132:
	v_dual_mov_b32 v74, v26 :: v_dual_mov_b32 v73, v25
	v_dual_mov_b32 v62, v12 :: v_dual_mov_b32 v61, v11
	;; [unrolled: 1-line block ×22, first 2 shown]
	v_mov_b32_e32 v74, v26
	v_dual_mov_b32 v40, v41 :: v_dual_mov_b32 v41, v28
	v_dual_mov_b32 v62, v12 :: v_dual_mov_b32 v15, v63
	;; [unrolled: 1-line block ×14, first 2 shown]
.LBB62_133:
	s_or_b32 exec_lo, exec_lo, s2
	s_delay_alu instid0(VALU_DEP_1)
	v_cmp_lt_f32_e32 vcc_lo, v27, v42
	v_dual_mov_b32 v28, v23 :: v_dual_mov_b32 v29, v24
	v_dual_mov_b32 v30, v25 :: v_dual_mov_b32 v31, v26
	v_dual_cndmask_b32 v13, v18, v17 :: v_dual_cndmask_b32 v14, v4, v3
	v_dual_cndmask_b32 v51, v17, v18 :: v_dual_cndmask_b32 v56, v3, v4
	;; [unrolled: 1-line block ×3, first 2 shown]
	v_cmp_lt_f32_e32 vcc_lo, v39, v40
	v_dual_mov_b32 v4, v19 :: v_dual_mov_b32 v17, v20
	v_dual_mov_b32 v18, v21 :: v_dual_mov_b32 v27, v22
	;; [unrolled: 1-line block ×10, first 2 shown]
	v_mov_b32_e32 v59, v50
	s_and_saveexec_b32 s2, vcc_lo
	s_cbranch_execz .LBB62_135
; %bb.134:
	v_dual_mov_b32 v42, v40 :: v_dual_mov_b32 v27, v22
	v_dual_mov_b32 v4, v15 :: v_dual_mov_b32 v17, v20
	v_dual_mov_b32 v32, v1 :: v_dual_mov_b32 v61, v39
	v_swap_b32 v15, v16
	v_swap_b32 v1, v2
	v_dual_mov_b32 v40, v39 :: v_dual_mov_b32 v29, v24
	v_dual_mov_b32 v4, v19 :: v_dual_mov_b32 v31, v26
	;; [unrolled: 1-line block ×11, first 2 shown]
	v_mov_b32_e32 v54, v46
	v_mov_b32_e32 v58, v49
.LBB62_135:
	s_or_b32 exec_lo, exec_lo, s2
	s_clause 0x1
	s_load_b32 s8, s[0:1], 0x28
	s_load_b128 s[4:7], s[0:1], 0x10
	s_waitcnt lgkmcnt(0)
	s_cmp_lt_i32 s8, 1
	s_cbranch_scc1 .LBB62_141
; %bb.136:
	v_cmp_lt_f32_e32 vcc_lo, v40, v60
	v_dual_mov_b32 v7, 0 :: v_dual_mov_b32 v6, 0
	s_mov_b32 s9, 0x76543210
	s_mov_b32 s10, s8
	v_dual_cndmask_b32 v5, v56, v2 :: v_dual_cndmask_b32 v12, v61, v60
	v_dual_cndmask_b32 v10, v2, v56 :: v_dual_cndmask_b32 v19, v16, v51
	v_cndmask_b32_e32 v2, v60, v40, vcc_lo
	v_cndmask_b32_e32 v8, v51, v16, vcc_lo
	s_delay_alu instid0(VALU_DEP_4) | instskip(NEXT) | instid1(VALU_DEP_1)
	v_cmp_lt_f32_e64 s2, v39, v12
	v_cndmask_b32_e64 v9, v10, v1, s2
	v_cndmask_b32_e64 v10, v1, v10, s2
	v_cndmask_b32_e64 v11, v12, v39, s2
	v_cndmask_b32_e64 v12, v39, v12, s2
	v_cndmask_b32_e64 v16, v19, v15, s2
	v_cndmask_b32_e64 v15, v15, v19, s2
	v_mov_b32_e32 v19, v0
	v_mov_b32_e32 v1, 0
.LBB62_137:                             ; =>This Inner Loop Header: Depth=1
	v_cmp_eq_u32_e32 vcc_lo, 1, v7
	v_cmp_eq_u32_e64 s2, 2, v7
	v_cmp_gt_u32_e64 s3, 12, v7
	v_dual_cndmask_b32 v20, v12, v11 :: v_dual_cndmask_b32 v21, v10, v9
	s_delay_alu instid0(VALU_DEP_1) | instskip(NEXT) | instid1(VALU_DEP_2)
	v_cndmask_b32_e64 v20, v20, v2, s2
	v_cndmask_b32_e64 v21, v21, v5, s2
	v_cndmask_b32_e32 v22, v15, v16, vcc_lo
	v_cmp_eq_u32_e32 vcc_lo, 3, v7
	s_delay_alu instid0(VALU_DEP_3) | instskip(NEXT) | instid1(VALU_DEP_3)
	v_cndmask_b32_e32 v21, v21, v14, vcc_lo
	v_cndmask_b32_e64 v22, v22, v8, s2
	v_cmp_eq_u32_e64 s2, 4, v7
	s_delay_alu instid0(VALU_DEP_2) | instskip(NEXT) | instid1(VALU_DEP_2)
	v_cndmask_b32_e32 v22, v22, v13, vcc_lo
	v_cndmask_b32_e64 v21, v21, v32, s2
	v_cndmask_b32_e32 v20, v20, v3, vcc_lo
	v_cmp_eq_u32_e32 vcc_lo, 5, v7
	s_delay_alu instid0(VALU_DEP_4) | instskip(NEXT) | instid1(VALU_DEP_4)
	v_cndmask_b32_e64 v22, v22, v4, s2
	v_cndmask_b32_e32 v21, v21, v33, vcc_lo
	s_delay_alu instid0(VALU_DEP_4) | instskip(SKIP_1) | instid1(VALU_DEP_4)
	v_cndmask_b32_e64 v20, v20, v42, s2
	v_cmp_eq_u32_e64 s2, 6, v7
	v_cndmask_b32_e32 v22, v22, v17, vcc_lo
	s_delay_alu instid0(VALU_DEP_3) | instskip(SKIP_1) | instid1(VALU_DEP_4)
	v_cndmask_b32_e32 v20, v20, v52, vcc_lo
	v_cmp_eq_u32_e32 vcc_lo, 7, v7
	v_cndmask_b32_e64 v21, v21, v34, s2
	s_delay_alu instid0(VALU_DEP_4) | instskip(NEXT) | instid1(VALU_DEP_4)
	v_cndmask_b32_e64 v22, v22, v18, s2
	v_cndmask_b32_e64 v20, v20, v53, s2
	v_cmp_eq_u32_e64 s2, 8, v7
	s_delay_alu instid0(VALU_DEP_4) | instskip(NEXT) | instid1(VALU_DEP_4)
	v_cndmask_b32_e32 v21, v21, v35, vcc_lo
	v_cndmask_b32_e32 v22, v22, v27, vcc_lo
	s_delay_alu instid0(VALU_DEP_4) | instskip(SKIP_1) | instid1(VALU_DEP_4)
	v_cndmask_b32_e32 v20, v20, v54, vcc_lo
	v_cmp_eq_u32_e32 vcc_lo, 9, v7
	v_cndmask_b32_e64 v21, v21, v36, s2
	s_delay_alu instid0(VALU_DEP_4) | instskip(NEXT) | instid1(VALU_DEP_4)
	v_cndmask_b32_e64 v22, v22, v28, s2
	v_cndmask_b32_e64 v20, v20, v55, s2
	v_cmp_eq_u32_e64 s2, 10, v7
	s_delay_alu instid0(VALU_DEP_4) | instskip(NEXT) | instid1(VALU_DEP_4)
	v_cndmask_b32_e32 v21, v21, v37, vcc_lo
	v_cndmask_b32_e32 v22, v22, v29, vcc_lo
	s_delay_alu instid0(VALU_DEP_4) | instskip(SKIP_1) | instid1(VALU_DEP_4)
	v_cndmask_b32_e32 v20, v20, v57, vcc_lo
	v_cmp_eq_u32_e32 vcc_lo, 11, v7
	v_cndmask_b32_e64 v21, v21, v38, s2
	s_delay_alu instid0(VALU_DEP_3) | instskip(NEXT) | instid1(VALU_DEP_1)
	v_cndmask_b32_e64 v20, v20, v58, s2
	v_dual_cndmask_b32 v21, v21, v41 :: v_dual_cndmask_b32 v20, v20, v59
	s_delay_alu instid0(VALU_DEP_1)
	v_cndmask_b32_e64 v20, 0xff800000, v20, s3
	;;#ASMSTART
	v_max_f32 v23, v20, v20 quad_perm:[1,0,3,2] row_mask:0xf bank_mask:0xf bound_ctrl:1
	;;#ASMEND
	;;#ASMSTART
	v_max_f32 v24, v23, v23 quad_perm:[2,3,0,1] row_mask:0xf bank_mask:0xf bound_ctrl:1
	;;#ASMEND
	;;#ASMSTART
	v_max_f32 v23, v24, v24 row_half_mirror row_mask:0xf bank_mask:0xf bound_ctrl:1
	;;#ASMEND
	;;#ASMSTART
	v_max_f32 v24, v23, v23 row_mirror row_mask:0xf bank_mask:0xf bound_ctrl:1
	;;#ASMEND
	v_permlanex16_b32 v23, v24, s9, 0xfedcba98 op_sel:[1,1]
	s_delay_alu instid0(VALU_DEP_1) | instskip(NEXT) | instid1(VALU_DEP_1)
	v_dual_max_f32 v24, v24, v24 :: v_dual_max_f32 v23, v23, v23
	v_max_f32_e32 v23, v24, v23
	v_cndmask_b32_e64 v22, v22, v30, s2
	s_delay_alu instid0(VALU_DEP_2) | instskip(SKIP_1) | instid1(VALU_DEP_2)
	v_cmp_eq_f32_e64 s2, v20, v23
	v_cndmask_b32_e64 v20, 0, v21, s3
	s_ctz_i32_b32 s11, s2
	s_cmp_lg_u32 s2, 0
	s_cselect_b32 s2, s11, 0
	s_add_i32 s10, s10, -1
	v_readlane_b32 s11, v20, s2
	v_cndmask_b32_e32 v20, v22, v31, vcc_lo
	s_delay_alu instid0(VALU_DEP_2)
	v_cmp_eq_u32_e32 vcc_lo, s11, v21
	s_and_b32 s2, s11, 31
	s_and_b32 vcc_lo, s3, vcc_lo
	s_cmp_eq_u32 s10, 0
	v_cndmask_b32_e32 v20, 0, v20, vcc_lo
	v_add_co_ci_u32_e32 v7, vcc_lo, 0, v7, vcc_lo
	s_delay_alu instid0(VALU_DEP_2) | instskip(SKIP_2) | instid1(VALU_DEP_2)
	v_readlane_b32 s3, v20, s2
	v_cmp_eq_u32_e64 s2, 0, v19
	v_add_nc_u32_e32 v19, -1, v19
	v_cndmask_b32_e64 v6, v6, s3, s2
	v_cndmask_b32_e64 v1, v1, s11, s2
	s_cbranch_scc0 .LBB62_137
; %bb.138:
	s_mov_b32 s2, exec_lo
	v_cmpx_gt_i32_e64 s8, v0
	s_cbranch_execz .LBB62_140
.LBB62_139:
	s_clause 0x1
	s_load_b64 s[2:3], s[0:1], 0x20
	s_load_b32 s8, s[0:1], 0x30
	s_ashr_i32 s0, s15, 31
	s_waitcnt lgkmcnt(0)
	s_mul_i32 s1, s15, s3
	s_mul_hi_u32 s3, s15, s2
	s_mul_i32 s0, s0, s2
	s_add_i32 s1, s3, s1
	v_mul_f32_e32 v0, s8, v6
	s_add_i32 s1, s1, s0
	s_mul_i32 s0, s15, s2
	s_delay_alu instid0(SALU_CYCLE_1) | instskip(NEXT) | instid1(SALU_CYCLE_1)
	s_lshl_b64 s[0:1], s[0:1], 2
	s_add_u32 s2, s4, s0
	s_addc_u32 s3, s5, s1
	s_add_u32 s0, s6, s0
	s_addc_u32 s1, s7, s1
	s_clause 0x1
	global_store_b32 v183, v0, s[2:3]
	global_store_b32 v183, v1, s[0:1]
.LBB62_140:
	s_endpgm
.LBB62_141:
	v_dual_mov_b32 v1, 0 :: v_dual_mov_b32 v6, 0
	s_mov_b32 s2, exec_lo
	v_cmpx_gt_i32_e64 s8, v0
	s_cbranch_execnz .LBB62_139
	s_branch .LBB62_140
	.section	.rodata,"a",@progbits
	.p2align	6, 0x0
	.amdhsa_kernel _ZN5aiter24topk_softplus_kernel_optIf6__halfLi384ELb0ELi0EEEvPKT_PKT0_PfPimiif
		.amdhsa_group_segment_fixed_size 0
		.amdhsa_private_segment_fixed_size 196
		.amdhsa_kernarg_size 52
		.amdhsa_user_sgpr_count 15
		.amdhsa_user_sgpr_dispatch_ptr 0
		.amdhsa_user_sgpr_queue_ptr 0
		.amdhsa_user_sgpr_kernarg_segment_ptr 1
		.amdhsa_user_sgpr_dispatch_id 0
		.amdhsa_user_sgpr_private_segment_size 0
		.amdhsa_wavefront_size32 1
		.amdhsa_uses_dynamic_stack 0
		.amdhsa_enable_private_segment 1
		.amdhsa_system_sgpr_workgroup_id_x 1
		.amdhsa_system_sgpr_workgroup_id_y 0
		.amdhsa_system_sgpr_workgroup_id_z 0
		.amdhsa_system_sgpr_workgroup_info 0
		.amdhsa_system_vgpr_workitem_id 0
		.amdhsa_next_free_vgpr 184
		.amdhsa_next_free_sgpr 16
		.amdhsa_reserve_vcc 1
		.amdhsa_float_round_mode_32 0
		.amdhsa_float_round_mode_16_64 0
		.amdhsa_float_denorm_mode_32 3
		.amdhsa_float_denorm_mode_16_64 3
		.amdhsa_dx10_clamp 1
		.amdhsa_ieee_mode 1
		.amdhsa_fp16_overflow 0
		.amdhsa_workgroup_processor_mode 1
		.amdhsa_memory_ordered 1
		.amdhsa_forward_progress 0
		.amdhsa_shared_vgpr_count 0
		.amdhsa_exception_fp_ieee_invalid_op 0
		.amdhsa_exception_fp_denorm_src 0
		.amdhsa_exception_fp_ieee_div_zero 0
		.amdhsa_exception_fp_ieee_overflow 0
		.amdhsa_exception_fp_ieee_underflow 0
		.amdhsa_exception_fp_ieee_inexact 0
		.amdhsa_exception_int_div_zero 0
	.end_amdhsa_kernel
	.section	.text._ZN5aiter24topk_softplus_kernel_optIf6__halfLi384ELb0ELi0EEEvPKT_PKT0_PfPimiif,"axG",@progbits,_ZN5aiter24topk_softplus_kernel_optIf6__halfLi384ELb0ELi0EEEvPKT_PKT0_PfPimiif,comdat
.Lfunc_end62:
	.size	_ZN5aiter24topk_softplus_kernel_optIf6__halfLi384ELb0ELi0EEEvPKT_PKT0_PfPimiif, .Lfunc_end62-_ZN5aiter24topk_softplus_kernel_optIf6__halfLi384ELb0ELi0EEEvPKT_PKT0_PfPimiif
                                        ; -- End function
	.section	.AMDGPU.csdata,"",@progbits
; Kernel info:
; codeLenInByte = 30384
; NumSgprs: 18
; NumVgprs: 184
; ScratchSize: 196
; MemoryBound: 0
; FloatMode: 240
; IeeeMode: 1
; LDSByteSize: 0 bytes/workgroup (compile time only)
; SGPRBlocks: 2
; VGPRBlocks: 22
; NumSGPRsForWavesPerEU: 18
; NumVGPRsForWavesPerEU: 184
; Occupancy: 8
; WaveLimiterHint : 0
; COMPUTE_PGM_RSRC2:SCRATCH_EN: 1
; COMPUTE_PGM_RSRC2:USER_SGPR: 15
; COMPUTE_PGM_RSRC2:TRAP_HANDLER: 0
; COMPUTE_PGM_RSRC2:TGID_X_EN: 1
; COMPUTE_PGM_RSRC2:TGID_Y_EN: 0
; COMPUTE_PGM_RSRC2:TGID_Z_EN: 0
; COMPUTE_PGM_RSRC2:TIDIG_COMP_CNT: 0
	.section	.text._ZN5aiter20topk_softplus_kernelIf6__halfDv4_fLb1ELi0EEEvPKT_PKT0_PfPimiiif,"axG",@progbits,_ZN5aiter20topk_softplus_kernelIf6__halfDv4_fLb1ELi0EEEvPKT_PKT0_PfPimiiif,comdat
	.protected	_ZN5aiter20topk_softplus_kernelIf6__halfDv4_fLb1ELi0EEEvPKT_PKT0_PfPimiiif ; -- Begin function _ZN5aiter20topk_softplus_kernelIf6__halfDv4_fLb1ELi0EEEvPKT_PKT0_PfPimiiif
	.globl	_ZN5aiter20topk_softplus_kernelIf6__halfDv4_fLb1ELi0EEEvPKT_PKT0_PfPimiiif
	.p2align	8
	.type	_ZN5aiter20topk_softplus_kernelIf6__halfDv4_fLb1ELi0EEEvPKT_PKT0_PfPimiiif,@function
_ZN5aiter20topk_softplus_kernelIf6__halfDv4_fLb1ELi0EEEvPKT_PKT0_PfPimiiif: ; @_ZN5aiter20topk_softplus_kernelIf6__halfDv4_fLb1ELi0EEEvPKT_PKT0_PfPimiiif
; %bb.0:
	s_clause 0x1
	s_load_b64 s[12:13], s[0:1], 0x28
	s_load_b256 s[4:11], s[0:1], 0x0
	v_lshlrev_b32_e32 v11, 2, v0
	s_waitcnt lgkmcnt(0)
	s_ashr_i32 s2, s12, 31
	s_mul_i32 s16, s15, s12
	s_lshr_b32 s2, s2, 30
	s_ashr_i32 s17, s16, 31
	s_add_i32 s2, s12, s2
	s_delay_alu instid0(SALU_CYCLE_1) | instskip(NEXT) | instid1(SALU_CYCLE_1)
	s_ashr_i32 s14, s2, 2
	v_cmp_gt_i32_e64 s2, s14, v0
	s_delay_alu instid0(VALU_DEP_1)
	s_and_saveexec_b32 s18, s2
	s_cbranch_execz .LBB63_11
; %bb.1:
	s_load_b32 s3, s[0:1], 0x44
	s_cmp_lg_u64 s[6:7], 0
	v_dual_mov_b32 v6, 0 :: v_dual_lshlrev_b32 v1, 4, v0
	s_cselect_b32 s19, -1, 0
	v_lshlrev_b32_e32 v5, 2, v0
	s_delay_alu instid0(VALU_DEP_2)
	v_dual_mov_b32 v13, v0 :: v_dual_add_nc_u32 v12, 0, v1
	s_waitcnt lgkmcnt(0)
	s_and_b32 s20, s3, 0xffff
	s_add_u32 s21, s6, 2
	s_addc_u32 s22, s7, 0
	s_add_u32 s23, s6, 4
	s_addc_u32 s24, s7, 0
	;; [unrolled: 2-line block ×3, first 2 shown]
	s_lshl_b64 s[28:29], s[16:17], 2
	s_delay_alu instid0(SALU_CYCLE_1) | instskip(SKIP_2) | instid1(VALU_DEP_1)
	s_add_u32 s3, s4, s28
	s_addc_u32 s27, s5, s29
	v_add_co_u32 v7, s3, s3, v1
	v_add_co_ci_u32_e64 v8, null, s27, 0, s3
	s_mov_b32 s27, 0
	s_lshl_b32 s28, s20, 4
	s_lshl_b32 s29, s20, 2
	s_branch .LBB63_3
.LBB63_2:                               ;   in Loop: Header=BB63_3 Depth=1
	v_add_nc_u32_e32 v13, s20, v13
	v_add_co_u32 v7, s3, v7, s28
	ds_store_b128 v12, v[1:4]
	v_add_co_ci_u32_e64 v8, s3, 0, v8, s3
	v_cmp_le_i32_e32 vcc_lo, s14, v13
	v_add_nc_u32_e32 v5, s29, v5
	v_add_nc_u32_e32 v12, s28, v12
	s_or_b32 s27, vcc_lo, s27
	s_delay_alu instid0(SALU_CYCLE_1)
	s_and_not1_b32 exec_lo, exec_lo, s27
	s_cbranch_execz .LBB63_11
.LBB63_3:                               ; =>This Inner Loop Header: Depth=1
	global_load_b128 v[1:4], v[7:8], off
	s_waitcnt vmcnt(0)
	v_mul_f32_e32 v9, 0x3fb8aa3b, v1
	s_delay_alu instid0(VALU_DEP_1) | instskip(SKIP_2) | instid1(VALU_DEP_2)
	v_cmp_gt_f32_e32 vcc_lo, 0xc2fc0000, v9
	v_cndmask_b32_e64 v10, 0, 0x42800000, vcc_lo
	v_cndmask_b32_e64 v9, 1.0, 0x1f800000, vcc_lo
	v_fmac_f32_e32 v10, 0x3fb8aa3b, v1
	s_delay_alu instid0(VALU_DEP_1) | instskip(SKIP_2) | instid1(VALU_DEP_1)
	v_exp_f32_e32 v10, v10
	s_waitcnt_depctr 0xfff
	v_fma_f32 v9, v10, v9, 1.0
	v_cmp_gt_f32_e32 vcc_lo, 0x800000, v9
	v_cndmask_b32_e64 v10, 1.0, 0x4f800000, vcc_lo
	s_delay_alu instid0(VALU_DEP_1) | instskip(SKIP_2) | instid1(VALU_DEP_3)
	v_mul_f32_e32 v9, v9, v10
	v_cndmask_b32_e64 v10, 0, 0x42000000, vcc_lo
	v_cmp_lt_f32_e32 vcc_lo, 0x41a00000, v1
	v_log_f32_e32 v9, v9
	s_waitcnt_depctr 0xfff
	v_sub_f32_e32 v9, v9, v10
	s_delay_alu instid0(VALU_DEP_1) | instskip(NEXT) | instid1(VALU_DEP_1)
	v_mul_f32_e32 v9, 0x3f317218, v9
	v_cndmask_b32_e32 v1, v9, v1, vcc_lo
	s_delay_alu instid0(VALU_DEP_1) | instskip(SKIP_1) | instid1(VALU_DEP_2)
	v_mul_f32_e32 v9, 0x4f800000, v1
	v_cmp_gt_f32_e32 vcc_lo, 0xf800000, v1
	v_cndmask_b32_e32 v1, v1, v9, vcc_lo
	s_delay_alu instid0(VALU_DEP_1) | instskip(SKIP_3) | instid1(VALU_DEP_2)
	v_sqrt_f32_e32 v9, v1
	s_waitcnt_depctr 0xfff
	v_add_nc_u32_e32 v10, -1, v9
	v_add_nc_u32_e32 v14, 1, v9
	v_fma_f32 v15, -v10, v9, v1
	s_delay_alu instid0(VALU_DEP_2) | instskip(NEXT) | instid1(VALU_DEP_2)
	v_fma_f32 v16, -v14, v9, v1
	v_cmp_ge_f32_e64 s3, 0, v15
	s_delay_alu instid0(VALU_DEP_1) | instskip(NEXT) | instid1(VALU_DEP_3)
	v_cndmask_b32_e64 v9, v9, v10, s3
	v_cmp_lt_f32_e64 s3, 0, v16
	s_delay_alu instid0(VALU_DEP_1) | instskip(NEXT) | instid1(VALU_DEP_1)
	v_cndmask_b32_e64 v9, v9, v14, s3
	v_mul_f32_e32 v10, 0x37800000, v9
	s_delay_alu instid0(VALU_DEP_1) | instskip(SKIP_2) | instid1(VALU_DEP_3)
	v_cndmask_b32_e32 v14, v9, v10, vcc_lo
	v_cmp_class_f32_e64 vcc_lo, v1, 0x260
	v_lshlrev_b64 v[9:10], 1, v[5:6]
	v_cndmask_b32_e32 v1, v14, v1, vcc_lo
	s_and_not1_b32 vcc_lo, exec_lo, s19
	s_cbranch_vccnz .LBB63_5
; %bb.4:                                ;   in Loop: Header=BB63_3 Depth=1
	s_delay_alu instid0(VALU_DEP_2) | instskip(NEXT) | instid1(VALU_DEP_3)
	v_add_co_u32 v14, vcc_lo, s6, v9
	v_add_co_ci_u32_e32 v15, vcc_lo, s7, v10, vcc_lo
	global_load_u16 v14, v[14:15], off
	s_waitcnt vmcnt(0)
	v_cvt_f32_f16_e32 v14, v14
	s_delay_alu instid0(VALU_DEP_1)
	v_add_f32_e32 v1, v1, v14
.LBB63_5:                               ;   in Loop: Header=BB63_3 Depth=1
	v_mul_f32_e32 v14, 0x3fb8aa3b, v2
	s_delay_alu instid0(VALU_DEP_1) | instskip(SKIP_2) | instid1(VALU_DEP_2)
	v_cmp_gt_f32_e32 vcc_lo, 0xc2fc0000, v14
	v_cndmask_b32_e64 v15, 0, 0x42800000, vcc_lo
	v_cndmask_b32_e64 v14, 1.0, 0x1f800000, vcc_lo
	v_fmac_f32_e32 v15, 0x3fb8aa3b, v2
	s_delay_alu instid0(VALU_DEP_1) | instskip(SKIP_2) | instid1(VALU_DEP_1)
	v_exp_f32_e32 v15, v15
	s_waitcnt_depctr 0xfff
	v_fma_f32 v14, v15, v14, 1.0
	v_cmp_gt_f32_e32 vcc_lo, 0x800000, v14
	v_cndmask_b32_e64 v15, 1.0, 0x4f800000, vcc_lo
	s_delay_alu instid0(VALU_DEP_1) | instskip(SKIP_2) | instid1(VALU_DEP_3)
	v_mul_f32_e32 v14, v14, v15
	v_cndmask_b32_e64 v15, 0, 0x42000000, vcc_lo
	v_cmp_lt_f32_e32 vcc_lo, 0x41a00000, v2
	v_log_f32_e32 v14, v14
	s_waitcnt_depctr 0xfff
	v_sub_f32_e32 v14, v14, v15
	s_delay_alu instid0(VALU_DEP_1) | instskip(NEXT) | instid1(VALU_DEP_1)
	v_mul_f32_e32 v14, 0x3f317218, v14
	v_cndmask_b32_e32 v2, v14, v2, vcc_lo
	s_delay_alu instid0(VALU_DEP_1) | instskip(SKIP_1) | instid1(VALU_DEP_2)
	v_mul_f32_e32 v14, 0x4f800000, v2
	v_cmp_gt_f32_e32 vcc_lo, 0xf800000, v2
	v_cndmask_b32_e32 v2, v2, v14, vcc_lo
	s_delay_alu instid0(VALU_DEP_1) | instskip(SKIP_3) | instid1(VALU_DEP_2)
	v_sqrt_f32_e32 v14, v2
	s_waitcnt_depctr 0xfff
	v_add_nc_u32_e32 v15, -1, v14
	v_add_nc_u32_e32 v16, 1, v14
	v_fma_f32 v17, -v15, v14, v2
	s_delay_alu instid0(VALU_DEP_2) | instskip(NEXT) | instid1(VALU_DEP_2)
	v_fma_f32 v18, -v16, v14, v2
	v_cmp_ge_f32_e64 s3, 0, v17
	s_delay_alu instid0(VALU_DEP_1) | instskip(NEXT) | instid1(VALU_DEP_3)
	v_cndmask_b32_e64 v14, v14, v15, s3
	v_cmp_lt_f32_e64 s3, 0, v18
	s_delay_alu instid0(VALU_DEP_1) | instskip(NEXT) | instid1(VALU_DEP_1)
	v_cndmask_b32_e64 v14, v14, v16, s3
	v_mul_f32_e32 v15, 0x37800000, v14
	s_delay_alu instid0(VALU_DEP_1) | instskip(SKIP_1) | instid1(VALU_DEP_2)
	v_cndmask_b32_e32 v14, v14, v15, vcc_lo
	v_cmp_class_f32_e64 vcc_lo, v2, 0x260
	v_cndmask_b32_e32 v2, v14, v2, vcc_lo
	s_and_not1_b32 vcc_lo, exec_lo, s19
	s_cbranch_vccnz .LBB63_7
; %bb.6:                                ;   in Loop: Header=BB63_3 Depth=1
	v_add_co_u32 v14, vcc_lo, s21, v9
	v_add_co_ci_u32_e32 v15, vcc_lo, s22, v10, vcc_lo
	global_load_u16 v14, v[14:15], off
	s_waitcnt vmcnt(0)
	v_cvt_f32_f16_e32 v14, v14
	s_delay_alu instid0(VALU_DEP_1)
	v_add_f32_e32 v2, v2, v14
.LBB63_7:                               ;   in Loop: Header=BB63_3 Depth=1
	v_mul_f32_e32 v14, 0x3fb8aa3b, v3
	s_delay_alu instid0(VALU_DEP_1) | instskip(SKIP_2) | instid1(VALU_DEP_2)
	v_cmp_gt_f32_e32 vcc_lo, 0xc2fc0000, v14
	v_cndmask_b32_e64 v15, 0, 0x42800000, vcc_lo
	v_cndmask_b32_e64 v14, 1.0, 0x1f800000, vcc_lo
	v_fmac_f32_e32 v15, 0x3fb8aa3b, v3
	s_delay_alu instid0(VALU_DEP_1) | instskip(SKIP_2) | instid1(VALU_DEP_1)
	v_exp_f32_e32 v15, v15
	s_waitcnt_depctr 0xfff
	v_fma_f32 v14, v15, v14, 1.0
	v_cmp_gt_f32_e32 vcc_lo, 0x800000, v14
	v_cndmask_b32_e64 v15, 1.0, 0x4f800000, vcc_lo
	s_delay_alu instid0(VALU_DEP_1) | instskip(SKIP_2) | instid1(VALU_DEP_3)
	v_mul_f32_e32 v14, v14, v15
	v_cndmask_b32_e64 v15, 0, 0x42000000, vcc_lo
	v_cmp_lt_f32_e32 vcc_lo, 0x41a00000, v3
	v_log_f32_e32 v14, v14
	s_waitcnt_depctr 0xfff
	v_sub_f32_e32 v14, v14, v15
	s_delay_alu instid0(VALU_DEP_1) | instskip(NEXT) | instid1(VALU_DEP_1)
	v_mul_f32_e32 v14, 0x3f317218, v14
	v_cndmask_b32_e32 v3, v14, v3, vcc_lo
	s_delay_alu instid0(VALU_DEP_1) | instskip(SKIP_1) | instid1(VALU_DEP_2)
	v_mul_f32_e32 v14, 0x4f800000, v3
	v_cmp_gt_f32_e32 vcc_lo, 0xf800000, v3
	v_cndmask_b32_e32 v3, v3, v14, vcc_lo
	s_delay_alu instid0(VALU_DEP_1) | instskip(SKIP_3) | instid1(VALU_DEP_2)
	v_sqrt_f32_e32 v14, v3
	s_waitcnt_depctr 0xfff
	v_add_nc_u32_e32 v15, -1, v14
	v_add_nc_u32_e32 v16, 1, v14
	v_fma_f32 v17, -v15, v14, v3
	s_delay_alu instid0(VALU_DEP_2) | instskip(NEXT) | instid1(VALU_DEP_2)
	v_fma_f32 v18, -v16, v14, v3
	v_cmp_ge_f32_e64 s3, 0, v17
	s_delay_alu instid0(VALU_DEP_1) | instskip(NEXT) | instid1(VALU_DEP_3)
	v_cndmask_b32_e64 v14, v14, v15, s3
	v_cmp_lt_f32_e64 s3, 0, v18
	s_delay_alu instid0(VALU_DEP_1) | instskip(NEXT) | instid1(VALU_DEP_1)
	v_cndmask_b32_e64 v14, v14, v16, s3
	v_mul_f32_e32 v15, 0x37800000, v14
	s_delay_alu instid0(VALU_DEP_1) | instskip(SKIP_1) | instid1(VALU_DEP_2)
	v_cndmask_b32_e32 v14, v14, v15, vcc_lo
	v_cmp_class_f32_e64 vcc_lo, v3, 0x260
	v_cndmask_b32_e32 v3, v14, v3, vcc_lo
	s_and_not1_b32 vcc_lo, exec_lo, s19
	s_cbranch_vccnz .LBB63_9
; %bb.8:                                ;   in Loop: Header=BB63_3 Depth=1
	v_add_co_u32 v14, vcc_lo, s23, v9
	v_add_co_ci_u32_e32 v15, vcc_lo, s24, v10, vcc_lo
	global_load_u16 v14, v[14:15], off
	s_waitcnt vmcnt(0)
	v_cvt_f32_f16_e32 v14, v14
	s_delay_alu instid0(VALU_DEP_1)
	v_add_f32_e32 v3, v3, v14
.LBB63_9:                               ;   in Loop: Header=BB63_3 Depth=1
	v_mul_f32_e32 v14, 0x3fb8aa3b, v4
	s_delay_alu instid0(VALU_DEP_1) | instskip(SKIP_2) | instid1(VALU_DEP_2)
	v_cmp_gt_f32_e32 vcc_lo, 0xc2fc0000, v14
	v_cndmask_b32_e64 v15, 0, 0x42800000, vcc_lo
	v_cndmask_b32_e64 v14, 1.0, 0x1f800000, vcc_lo
	v_fmac_f32_e32 v15, 0x3fb8aa3b, v4
	s_delay_alu instid0(VALU_DEP_1) | instskip(SKIP_2) | instid1(VALU_DEP_1)
	v_exp_f32_e32 v15, v15
	s_waitcnt_depctr 0xfff
	v_fma_f32 v14, v15, v14, 1.0
	v_cmp_gt_f32_e32 vcc_lo, 0x800000, v14
	v_cndmask_b32_e64 v15, 1.0, 0x4f800000, vcc_lo
	s_delay_alu instid0(VALU_DEP_1) | instskip(SKIP_2) | instid1(VALU_DEP_3)
	v_mul_f32_e32 v14, v14, v15
	v_cndmask_b32_e64 v15, 0, 0x42000000, vcc_lo
	v_cmp_lt_f32_e32 vcc_lo, 0x41a00000, v4
	v_log_f32_e32 v14, v14
	s_waitcnt_depctr 0xfff
	v_sub_f32_e32 v14, v14, v15
	s_delay_alu instid0(VALU_DEP_1) | instskip(NEXT) | instid1(VALU_DEP_1)
	v_mul_f32_e32 v14, 0x3f317218, v14
	v_cndmask_b32_e32 v4, v14, v4, vcc_lo
	s_delay_alu instid0(VALU_DEP_1) | instskip(SKIP_1) | instid1(VALU_DEP_2)
	v_mul_f32_e32 v14, 0x4f800000, v4
	v_cmp_gt_f32_e32 vcc_lo, 0xf800000, v4
	v_cndmask_b32_e32 v4, v4, v14, vcc_lo
	s_delay_alu instid0(VALU_DEP_1) | instskip(SKIP_3) | instid1(VALU_DEP_2)
	v_sqrt_f32_e32 v14, v4
	s_waitcnt_depctr 0xfff
	v_add_nc_u32_e32 v15, -1, v14
	v_add_nc_u32_e32 v16, 1, v14
	v_fma_f32 v17, -v15, v14, v4
	s_delay_alu instid0(VALU_DEP_2) | instskip(NEXT) | instid1(VALU_DEP_2)
	v_fma_f32 v18, -v16, v14, v4
	v_cmp_ge_f32_e64 s3, 0, v17
	s_delay_alu instid0(VALU_DEP_1) | instskip(NEXT) | instid1(VALU_DEP_3)
	v_cndmask_b32_e64 v14, v14, v15, s3
	v_cmp_lt_f32_e64 s3, 0, v18
	s_delay_alu instid0(VALU_DEP_1) | instskip(NEXT) | instid1(VALU_DEP_1)
	v_cndmask_b32_e64 v14, v14, v16, s3
	v_mul_f32_e32 v15, 0x37800000, v14
	s_delay_alu instid0(VALU_DEP_1) | instskip(SKIP_1) | instid1(VALU_DEP_2)
	v_cndmask_b32_e32 v14, v14, v15, vcc_lo
	v_cmp_class_f32_e64 vcc_lo, v4, 0x260
	v_cndmask_b32_e32 v4, v14, v4, vcc_lo
	s_and_not1_b32 vcc_lo, exec_lo, s19
	s_cbranch_vccnz .LBB63_2
; %bb.10:                               ;   in Loop: Header=BB63_3 Depth=1
	v_add_co_u32 v9, vcc_lo, s25, v9
	v_add_co_ci_u32_e32 v10, vcc_lo, s26, v10, vcc_lo
	global_load_u16 v9, v[9:10], off
	s_waitcnt vmcnt(0)
	v_cvt_f32_f16_e32 v9, v9
	s_delay_alu instid0(VALU_DEP_1)
	v_add_f32_e32 v4, v4, v9
	s_branch .LBB63_2
.LBB63_11:
	s_or_b32 exec_lo, exec_lo, s18
	v_lshl_add_u32 v1, s14, 2, v0
	s_mov_b32 s18, exec_lo
	s_delay_alu instid0(VALU_DEP_1)
	v_cmpx_gt_i32_e64 s12, v1
	s_cbranch_execz .LBB63_16
; %bb.12:
	s_load_b32 s3, s[0:1], 0x44
	s_lshl_b64 s[16:17], s[16:17], 2
	v_lshlrev_b32_e32 v2, 2, v0
	s_add_u32 s4, s4, s16
	s_addc_u32 s5, s5, s17
	s_cmp_lg_u64 s[6:7], 0
	s_mov_b32 s19, 0
	s_cselect_b32 s16, -1, 0
	s_lshl_b32 s17, s14, 4
	s_delay_alu instid0(SALU_CYCLE_1) | instskip(SKIP_2) | instid1(SALU_CYCLE_1)
	v_add3_u32 v3, 0, s17, v2
	s_waitcnt lgkmcnt(0)
	s_and_b32 s17, s3, 0xffff
	s_lshl_b32 s20, s17, 2
	s_branch .LBB63_14
.LBB63_13:                              ;   in Loop: Header=BB63_14 Depth=1
	v_add_nc_u32_e32 v1, s17, v1
	v_add_nc_u32_e32 v3, s20, v3
	s_delay_alu instid0(VALU_DEP_2) | instskip(SKIP_1) | instid1(SALU_CYCLE_1)
	v_cmp_le_i32_e32 vcc_lo, s12, v1
	s_or_b32 s19, vcc_lo, s19
	s_and_not1_b32 exec_lo, exec_lo, s19
	s_cbranch_execz .LBB63_16
.LBB63_14:                              ; =>This Inner Loop Header: Depth=1
	v_ashrrev_i32_e32 v2, 31, v1
	s_delay_alu instid0(VALU_DEP_1) | instskip(NEXT) | instid1(VALU_DEP_1)
	v_lshlrev_b64 v[4:5], 2, v[1:2]
	v_add_co_u32 v4, vcc_lo, s4, v4
	s_delay_alu instid0(VALU_DEP_2) | instskip(SKIP_3) | instid1(VALU_DEP_1)
	v_add_co_ci_u32_e32 v5, vcc_lo, s5, v5, vcc_lo
	global_load_b32 v4, v[4:5], off
	s_waitcnt vmcnt(0)
	v_mul_f32_e32 v5, 0x3fb8aa3b, v4
	v_cmp_gt_f32_e32 vcc_lo, 0xc2fc0000, v5
	v_cndmask_b32_e64 v5, 0, 0x42800000, vcc_lo
	v_cndmask_b32_e64 v6, 1.0, 0x1f800000, vcc_lo
	s_delay_alu instid0(VALU_DEP_2) | instskip(NEXT) | instid1(VALU_DEP_1)
	v_fmac_f32_e32 v5, 0x3fb8aa3b, v4
	v_exp_f32_e32 v5, v5
	s_waitcnt_depctr 0xfff
	v_fma_f32 v5, v5, v6, 1.0
	s_delay_alu instid0(VALU_DEP_1) | instskip(SKIP_1) | instid1(VALU_DEP_1)
	v_cmp_gt_f32_e32 vcc_lo, 0x800000, v5
	v_cndmask_b32_e64 v6, 1.0, 0x4f800000, vcc_lo
	v_mul_f32_e32 v5, v5, v6
	v_cndmask_b32_e64 v6, 0, 0x42000000, vcc_lo
	v_cmp_lt_f32_e32 vcc_lo, 0x41a00000, v4
	s_delay_alu instid0(VALU_DEP_3) | instskip(SKIP_2) | instid1(VALU_DEP_1)
	v_log_f32_e32 v5, v5
	s_waitcnt_depctr 0xfff
	v_sub_f32_e32 v5, v5, v6
	v_mul_f32_e32 v5, 0x3f317218, v5
	s_delay_alu instid0(VALU_DEP_1) | instskip(NEXT) | instid1(VALU_DEP_1)
	v_cndmask_b32_e32 v4, v5, v4, vcc_lo
	v_mul_f32_e32 v5, 0x4f800000, v4
	v_cmp_gt_f32_e32 vcc_lo, 0xf800000, v4
	s_delay_alu instid0(VALU_DEP_2) | instskip(NEXT) | instid1(VALU_DEP_1)
	v_cndmask_b32_e32 v4, v4, v5, vcc_lo
	v_sqrt_f32_e32 v5, v4
	s_waitcnt_depctr 0xfff
	v_add_nc_u32_e32 v6, -1, v5
	v_add_nc_u32_e32 v7, 1, v5
	s_delay_alu instid0(VALU_DEP_2) | instskip(NEXT) | instid1(VALU_DEP_2)
	v_fma_f32 v8, -v6, v5, v4
	v_fma_f32 v9, -v7, v5, v4
	s_delay_alu instid0(VALU_DEP_2) | instskip(NEXT) | instid1(VALU_DEP_1)
	v_cmp_ge_f32_e64 s3, 0, v8
	v_cndmask_b32_e64 v5, v5, v6, s3
	s_delay_alu instid0(VALU_DEP_3) | instskip(NEXT) | instid1(VALU_DEP_1)
	v_cmp_lt_f32_e64 s3, 0, v9
	v_cndmask_b32_e64 v5, v5, v7, s3
	s_delay_alu instid0(VALU_DEP_1) | instskip(NEXT) | instid1(VALU_DEP_1)
	v_mul_f32_e32 v6, 0x37800000, v5
	v_cndmask_b32_e32 v5, v5, v6, vcc_lo
	v_cmp_class_f32_e64 vcc_lo, v4, 0x260
	s_delay_alu instid0(VALU_DEP_2)
	v_cndmask_b32_e32 v4, v5, v4, vcc_lo
	s_and_not1_b32 vcc_lo, exec_lo, s16
	ds_store_b32 v3, v4
	s_cbranch_vccnz .LBB63_13
; %bb.15:                               ;   in Loop: Header=BB63_14 Depth=1
	v_lshlrev_b64 v[5:6], 1, v[1:2]
	s_delay_alu instid0(VALU_DEP_1) | instskip(NEXT) | instid1(VALU_DEP_2)
	v_add_co_u32 v5, vcc_lo, s6, v5
	v_add_co_ci_u32_e32 v6, vcc_lo, s7, v6, vcc_lo
	global_load_u16 v2, v[5:6], off
	s_waitcnt vmcnt(0)
	v_cvt_f32_f16_e32 v2, v2
	s_delay_alu instid0(VALU_DEP_1)
	v_add_f32_e32 v2, v4, v2
	ds_store_b32 v3, v2
	s_branch .LBB63_13
.LBB63_16:
	s_or_b32 exec_lo, exec_lo, s18
	v_mov_b32_e32 v2, 0
	s_cmp_lt_i32 s13, 1
	s_waitcnt lgkmcnt(0)
	s_barrier
	buffer_gl0_inv
	s_cbranch_scc1 .LBB63_25
; %bb.17:
	s_add_u32 s4, s0, 56
	s_addc_u32 s5, s1, 0
	v_lshl_add_u32 v4, v0, 4, 0
	v_dual_mov_b32 v2, 0 :: v_dual_mov_b32 v5, 0
	v_dual_mov_b32 v6, 0xff800000 :: v_dual_mov_b32 v1, 0
	v_mov_b32_e32 v3, 0
	s_cmp_lg_u64 s[6:7], 0
	s_mov_b32 s18, 0
	s_cselect_b32 s12, -1, 0
	s_mov_b32 s19, 0x76543210
	s_branch .LBB63_19
.LBB63_18:                              ;   in Loop: Header=BB63_19 Depth=1
	v_cmp_eq_u32_e32 vcc_lo, s18, v0
	s_delay_alu instid0(VALU_DEP_2) | instskip(NEXT) | instid1(VALU_DEP_2)
	s_lshl_b32 s3, s16, 2
	v_add_f32_e32 v3, v3, v9
	s_add_i32 s3, s3, 0
	s_add_i32 s18, s18, 1
	v_cndmask_b32_e64 v1, v1, s16, vcc_lo
	v_dual_mov_b32 v7, s3 :: v_dual_cndmask_b32 v2, v2, v9
	s_cmp_eq_u32 s18, s13
	ds_store_b32 v7, v6
	s_cbranch_scc1 .LBB63_26
.LBB63_19:                              ; =>This Loop Header: Depth=1
                                        ;     Child Loop BB63_21 Depth 2
	v_dual_mov_b32 v7, s18 :: v_dual_mov_b32 v8, 0xff800000
	s_and_saveexec_b32 s16, s2
	s_cbranch_execz .LBB63_23
; %bb.20:                               ;   in Loop: Header=BB63_19 Depth=1
	s_load_b32 s3, s[4:5], 0xc
	v_dual_mov_b32 v7, s18 :: v_dual_mov_b32 v8, 0xff800000
	v_dual_mov_b32 v9, v4 :: v_dual_mov_b32 v10, v11
	v_mov_b32_e32 v12, v0
	s_mov_b32 s21, 0
	s_waitcnt lgkmcnt(0)
	s_and_b32 s17, s3, 0xffff
	s_delay_alu instid0(SALU_CYCLE_1)
	s_lshl_b32 s20, s17, 2
	s_lshl_b32 s22, s17, 4
	.p2align	6
.LBB63_21:                              ;   Parent Loop BB63_19 Depth=1
                                        ; =>  This Inner Loop Header: Depth=2
	ds_load_b128 v[13:16], v9
	v_add_nc_u32_e32 v9, s22, v9
	s_waitcnt lgkmcnt(0)
	v_cmp_gt_f32_e32 vcc_lo, v13, v8
	v_dual_cndmask_b32 v8, v8, v13 :: v_dual_add_nc_u32 v13, 1, v10
	v_cndmask_b32_e32 v7, v7, v10, vcc_lo
	s_delay_alu instid0(VALU_DEP_2) | instskip(NEXT) | instid1(VALU_DEP_2)
	v_cmp_gt_f32_e32 vcc_lo, v14, v8
	v_dual_cndmask_b32 v8, v8, v14 :: v_dual_cndmask_b32 v7, v7, v13
	s_delay_alu instid0(VALU_DEP_1) | instskip(SKIP_4) | instid1(VALU_DEP_3)
	v_cmp_gt_f32_e32 vcc_lo, v15, v8
	v_dual_cndmask_b32 v8, v8, v15 :: v_dual_add_nc_u32 v13, 3, v10
	v_add_nc_u32_e32 v14, 2, v10
	v_add_nc_u32_e32 v12, s17, v12
	;; [unrolled: 1-line block ×3, first 2 shown]
	v_cndmask_b32_e32 v7, v7, v14, vcc_lo
	v_cmp_gt_f32_e32 vcc_lo, v16, v8
	s_delay_alu instid0(VALU_DEP_4) | instskip(NEXT) | instid1(VALU_DEP_3)
	v_cmp_le_i32_e64 s3, s14, v12
	v_dual_cndmask_b32 v8, v8, v16 :: v_dual_cndmask_b32 v7, v7, v13
	s_delay_alu instid0(VALU_DEP_2) | instskip(NEXT) | instid1(SALU_CYCLE_1)
	s_or_b32 s21, s3, s21
	s_and_not1_b32 exec_lo, exec_lo, s21
	s_cbranch_execnz .LBB63_21
; %bb.22:                               ;   in Loop: Header=BB63_19 Depth=1
	s_or_b32 exec_lo, exec_lo, s21
.LBB63_23:                              ;   in Loop: Header=BB63_19 Depth=1
	s_delay_alu instid0(SALU_CYCLE_1)
	s_or_b32 exec_lo, exec_lo, s16
	;;#ASMSTART
	v_max_f32 v9, v8, v8 quad_perm:[1,0,3,2] row_mask:0xf bank_mask:0xf bound_ctrl:1
	;;#ASMEND
	;;#ASMSTART
	v_max_f32 v10, v9, v9 quad_perm:[2,3,0,1] row_mask:0xf bank_mask:0xf bound_ctrl:1
	;;#ASMEND
	;;#ASMSTART
	v_max_f32 v9, v10, v10 row_half_mirror row_mask:0xf bank_mask:0xf bound_ctrl:1
	;;#ASMEND
	;;#ASMSTART
	v_max_f32 v10, v9, v9 row_mirror row_mask:0xf bank_mask:0xf bound_ctrl:1
	;;#ASMEND
	v_permlanex16_b32 v9, v10, s19, 0xfedcba98 op_sel:[1,1]
	s_delay_alu instid0(VALU_DEP_1) | instskip(NEXT) | instid1(VALU_DEP_1)
	v_dual_max_f32 v10, v10, v10 :: v_dual_max_f32 v9, v9, v9
	v_max_f32_e32 v9, v10, v9
	s_delay_alu instid0(VALU_DEP_1)
	v_cmp_eq_f32_e32 vcc_lo, v8, v9
	s_ctz_i32_b32 s3, vcc_lo
	s_cmp_lg_u32 vcc_lo, 0
	s_cselect_b32 s3, s3, 0
	s_and_b32 vcc_lo, exec_lo, s12
	v_readlane_b32 s16, v7, s3
	s_cbranch_vccz .LBB63_18
; %bb.24:                               ;   in Loop: Header=BB63_19 Depth=1
	s_delay_alu instid0(VALU_DEP_1) | instskip(NEXT) | instid1(SALU_CYCLE_1)
	s_ashr_i32 s17, s16, 31
	s_lshl_b64 s[20:21], s[16:17], 1
	s_delay_alu instid0(SALU_CYCLE_1) | instskip(SKIP_4) | instid1(VALU_DEP_1)
	s_add_u32 s20, s6, s20
	s_addc_u32 s21, s7, s21
	global_load_u16 v7, v5, s[20:21]
	s_waitcnt vmcnt(0)
	v_cvt_f32_f16_e32 v7, v7
	v_sub_f32_e32 v9, v9, v7
	s_branch .LBB63_18
.LBB63_25:
	v_mov_b32_e32 v1, 0
	v_mov_b32_e32 v3, 0
.LBB63_26:
	s_mov_b32 s2, exec_lo
	v_cmpx_gt_i32_e64 s13, v0
	s_cbranch_execz .LBB63_29
; %bb.27:
	s_clause 0x1
	s_load_b32 s2, s[0:1], 0x34
	s_load_b32 s3, s[0:1], 0x44
	v_max_f32_e32 v3, v3, v3
	s_load_b64 s[0:1], s[0:1], 0x20
	s_ashr_i32 s4, s15, 31
	s_delay_alu instid0(VALU_DEP_1) | instskip(SKIP_1) | instid1(VALU_DEP_1)
	v_max_f32_e32 v3, 0x1e3ce508, v3
	s_waitcnt lgkmcnt(0)
	v_div_scale_f32 v4, null, v3, v3, s2
	v_div_scale_f32 v7, vcc_lo, s2, v3, s2
	s_mul_i32 s1, s15, s1
	s_delay_alu instid0(VALU_DEP_2) | instskip(SKIP_4) | instid1(VALU_DEP_1)
	v_rcp_f32_e32 v5, v4
	s_mul_i32 s4, s4, s0
	s_and_b32 s3, s3, 0xffff
	s_waitcnt_depctr 0xfff
	v_fma_f32 v6, -v4, v5, 1.0
	v_fmac_f32_e32 v5, v6, v5
	s_delay_alu instid0(VALU_DEP_1) | instskip(NEXT) | instid1(VALU_DEP_1)
	v_mul_f32_e32 v6, v7, v5
	v_fma_f32 v8, -v4, v6, v7
	s_delay_alu instid0(VALU_DEP_1) | instskip(NEXT) | instid1(VALU_DEP_1)
	v_fmac_f32_e32 v6, v8, v5
	v_fma_f32 v4, -v4, v6, v7
	s_delay_alu instid0(VALU_DEP_1) | instskip(NEXT) | instid1(VALU_DEP_1)
	v_div_fmas_f32 v4, v4, v5, v6
	v_div_fixup_f32 v3, v4, v3, s2
	s_mul_hi_u32 s2, s15, s0
	s_delay_alu instid0(SALU_CYCLE_1) | instskip(SKIP_1) | instid1(VALU_DEP_1)
	s_add_i32 s1, s2, s1
	s_mul_i32 s2, s15, s0
	v_mul_f32_e32 v2, v2, v3
	s_add_i32 s1, s1, s4
	s_mov_b32 s4, 0
	.p2align	6
.LBB63_28:                              ; =>This Inner Loop Header: Depth=1
	v_ashrrev_i32_e32 v4, 31, v0
	v_add_co_u32 v3, vcc_lo, s2, v0
	v_add_nc_u32_e32 v0, s3, v0
	s_delay_alu instid0(VALU_DEP_3) | instskip(NEXT) | instid1(VALU_DEP_2)
	v_add_co_ci_u32_e32 v4, vcc_lo, s1, v4, vcc_lo
	v_cmp_le_i32_e32 vcc_lo, s13, v0
	s_delay_alu instid0(VALU_DEP_2) | instskip(SKIP_1) | instid1(VALU_DEP_1)
	v_lshlrev_b64 v[3:4], 2, v[3:4]
	s_or_b32 s4, vcc_lo, s4
	v_add_co_u32 v5, s0, s8, v3
	s_delay_alu instid0(VALU_DEP_1) | instskip(SKIP_1) | instid1(VALU_DEP_1)
	v_add_co_ci_u32_e64 v6, s0, s9, v4, s0
	v_add_co_u32 v3, s0, s10, v3
	v_add_co_ci_u32_e64 v4, s0, s11, v4, s0
	global_store_b32 v[5:6], v2, off
	global_store_b32 v[3:4], v1, off
	s_and_not1_b32 exec_lo, exec_lo, s4
	s_cbranch_execnz .LBB63_28
.LBB63_29:
	s_nop 0
	s_sendmsg sendmsg(MSG_DEALLOC_VGPRS)
	s_endpgm
	.section	.rodata,"a",@progbits
	.p2align	6, 0x0
	.amdhsa_kernel _ZN5aiter20topk_softplus_kernelIf6__halfDv4_fLb1ELi0EEEvPKT_PKT0_PfPimiiif
		.amdhsa_group_segment_fixed_size 0
		.amdhsa_private_segment_fixed_size 0
		.amdhsa_kernarg_size 312
		.amdhsa_user_sgpr_count 15
		.amdhsa_user_sgpr_dispatch_ptr 0
		.amdhsa_user_sgpr_queue_ptr 0
		.amdhsa_user_sgpr_kernarg_segment_ptr 1
		.amdhsa_user_sgpr_dispatch_id 0
		.amdhsa_user_sgpr_private_segment_size 0
		.amdhsa_wavefront_size32 1
		.amdhsa_uses_dynamic_stack 0
		.amdhsa_enable_private_segment 0
		.amdhsa_system_sgpr_workgroup_id_x 1
		.amdhsa_system_sgpr_workgroup_id_y 0
		.amdhsa_system_sgpr_workgroup_id_z 0
		.amdhsa_system_sgpr_workgroup_info 0
		.amdhsa_system_vgpr_workitem_id 0
		.amdhsa_next_free_vgpr 19
		.amdhsa_next_free_sgpr 30
		.amdhsa_reserve_vcc 1
		.amdhsa_float_round_mode_32 0
		.amdhsa_float_round_mode_16_64 0
		.amdhsa_float_denorm_mode_32 3
		.amdhsa_float_denorm_mode_16_64 3
		.amdhsa_dx10_clamp 1
		.amdhsa_ieee_mode 1
		.amdhsa_fp16_overflow 0
		.amdhsa_workgroup_processor_mode 1
		.amdhsa_memory_ordered 1
		.amdhsa_forward_progress 0
		.amdhsa_shared_vgpr_count 0
		.amdhsa_exception_fp_ieee_invalid_op 0
		.amdhsa_exception_fp_denorm_src 0
		.amdhsa_exception_fp_ieee_div_zero 0
		.amdhsa_exception_fp_ieee_overflow 0
		.amdhsa_exception_fp_ieee_underflow 0
		.amdhsa_exception_fp_ieee_inexact 0
		.amdhsa_exception_int_div_zero 0
	.end_amdhsa_kernel
	.section	.text._ZN5aiter20topk_softplus_kernelIf6__halfDv4_fLb1ELi0EEEvPKT_PKT0_PfPimiiif,"axG",@progbits,_ZN5aiter20topk_softplus_kernelIf6__halfDv4_fLb1ELi0EEEvPKT_PKT0_PfPimiiif,comdat
.Lfunc_end63:
	.size	_ZN5aiter20topk_softplus_kernelIf6__halfDv4_fLb1ELi0EEEvPKT_PKT0_PfPimiiif, .Lfunc_end63-_ZN5aiter20topk_softplus_kernelIf6__halfDv4_fLb1ELi0EEEvPKT_PKT0_PfPimiiif
                                        ; -- End function
	.section	.AMDGPU.csdata,"",@progbits
; Kernel info:
; codeLenInByte = 3016
; NumSgprs: 32
; NumVgprs: 19
; ScratchSize: 0
; MemoryBound: 0
; FloatMode: 240
; IeeeMode: 1
; LDSByteSize: 0 bytes/workgroup (compile time only)
; SGPRBlocks: 3
; VGPRBlocks: 2
; NumSGPRsForWavesPerEU: 32
; NumVGPRsForWavesPerEU: 19
; Occupancy: 16
; WaveLimiterHint : 0
; COMPUTE_PGM_RSRC2:SCRATCH_EN: 0
; COMPUTE_PGM_RSRC2:USER_SGPR: 15
; COMPUTE_PGM_RSRC2:TRAP_HANDLER: 0
; COMPUTE_PGM_RSRC2:TGID_X_EN: 1
; COMPUTE_PGM_RSRC2:TGID_Y_EN: 0
; COMPUTE_PGM_RSRC2:TGID_Z_EN: 0
; COMPUTE_PGM_RSRC2:TIDIG_COMP_CNT: 0
	.section	.text._ZN5aiter20topk_softplus_kernelIf6__halfDv4_fLb0ELi0EEEvPKT_PKT0_PfPimiiif,"axG",@progbits,_ZN5aiter20topk_softplus_kernelIf6__halfDv4_fLb0ELi0EEEvPKT_PKT0_PfPimiiif,comdat
	.protected	_ZN5aiter20topk_softplus_kernelIf6__halfDv4_fLb0ELi0EEEvPKT_PKT0_PfPimiiif ; -- Begin function _ZN5aiter20topk_softplus_kernelIf6__halfDv4_fLb0ELi0EEEvPKT_PKT0_PfPimiiif
	.globl	_ZN5aiter20topk_softplus_kernelIf6__halfDv4_fLb0ELi0EEEvPKT_PKT0_PfPimiiif
	.p2align	8
	.type	_ZN5aiter20topk_softplus_kernelIf6__halfDv4_fLb0ELi0EEEvPKT_PKT0_PfPimiiif,@function
_ZN5aiter20topk_softplus_kernelIf6__halfDv4_fLb0ELi0EEEvPKT_PKT0_PfPimiiif: ; @_ZN5aiter20topk_softplus_kernelIf6__halfDv4_fLb0ELi0EEEvPKT_PKT0_PfPimiiif
; %bb.0:
	s_clause 0x1
	s_load_b64 s[12:13], s[0:1], 0x28
	s_load_b256 s[4:11], s[0:1], 0x0
	v_lshlrev_b32_e32 v11, 2, v0
	s_waitcnt lgkmcnt(0)
	s_ashr_i32 s2, s12, 31
	s_mul_i32 s16, s15, s12
	s_lshr_b32 s2, s2, 30
	s_ashr_i32 s17, s16, 31
	s_add_i32 s2, s12, s2
	s_delay_alu instid0(SALU_CYCLE_1) | instskip(NEXT) | instid1(SALU_CYCLE_1)
	s_ashr_i32 s14, s2, 2
	v_cmp_gt_i32_e64 s2, s14, v0
	s_delay_alu instid0(VALU_DEP_1)
	s_and_saveexec_b32 s18, s2
	s_cbranch_execz .LBB64_11
; %bb.1:
	s_load_b32 s3, s[0:1], 0x44
	s_cmp_lg_u64 s[6:7], 0
	v_dual_mov_b32 v6, 0 :: v_dual_lshlrev_b32 v1, 4, v0
	s_cselect_b32 s19, -1, 0
	v_lshlrev_b32_e32 v5, 2, v0
	s_delay_alu instid0(VALU_DEP_2)
	v_dual_mov_b32 v13, v0 :: v_dual_add_nc_u32 v12, 0, v1
	s_waitcnt lgkmcnt(0)
	s_and_b32 s20, s3, 0xffff
	s_add_u32 s21, s6, 2
	s_addc_u32 s22, s7, 0
	s_add_u32 s23, s6, 4
	s_addc_u32 s24, s7, 0
	;; [unrolled: 2-line block ×3, first 2 shown]
	s_lshl_b64 s[28:29], s[16:17], 2
	s_delay_alu instid0(SALU_CYCLE_1) | instskip(SKIP_2) | instid1(VALU_DEP_1)
	s_add_u32 s3, s4, s28
	s_addc_u32 s27, s5, s29
	v_add_co_u32 v7, s3, s3, v1
	v_add_co_ci_u32_e64 v8, null, s27, 0, s3
	s_mov_b32 s27, 0
	s_lshl_b32 s28, s20, 4
	s_lshl_b32 s29, s20, 2
	s_branch .LBB64_3
.LBB64_2:                               ;   in Loop: Header=BB64_3 Depth=1
	v_add_nc_u32_e32 v13, s20, v13
	v_add_co_u32 v7, s3, v7, s28
	ds_store_b128 v12, v[1:4]
	v_add_co_ci_u32_e64 v8, s3, 0, v8, s3
	v_cmp_le_i32_e32 vcc_lo, s14, v13
	v_add_nc_u32_e32 v5, s29, v5
	v_add_nc_u32_e32 v12, s28, v12
	s_or_b32 s27, vcc_lo, s27
	s_delay_alu instid0(SALU_CYCLE_1)
	s_and_not1_b32 exec_lo, exec_lo, s27
	s_cbranch_execz .LBB64_11
.LBB64_3:                               ; =>This Inner Loop Header: Depth=1
	global_load_b128 v[1:4], v[7:8], off
	s_waitcnt vmcnt(0)
	v_mul_f32_e32 v9, 0x3fb8aa3b, v1
	s_delay_alu instid0(VALU_DEP_1) | instskip(SKIP_2) | instid1(VALU_DEP_2)
	v_cmp_gt_f32_e32 vcc_lo, 0xc2fc0000, v9
	v_cndmask_b32_e64 v10, 0, 0x42800000, vcc_lo
	v_cndmask_b32_e64 v9, 1.0, 0x1f800000, vcc_lo
	v_fmac_f32_e32 v10, 0x3fb8aa3b, v1
	s_delay_alu instid0(VALU_DEP_1) | instskip(SKIP_2) | instid1(VALU_DEP_1)
	v_exp_f32_e32 v10, v10
	s_waitcnt_depctr 0xfff
	v_fma_f32 v9, v10, v9, 1.0
	v_cmp_gt_f32_e32 vcc_lo, 0x800000, v9
	v_cndmask_b32_e64 v10, 1.0, 0x4f800000, vcc_lo
	s_delay_alu instid0(VALU_DEP_1) | instskip(SKIP_2) | instid1(VALU_DEP_3)
	v_mul_f32_e32 v9, v9, v10
	v_cndmask_b32_e64 v10, 0, 0x42000000, vcc_lo
	v_cmp_lt_f32_e32 vcc_lo, 0x41a00000, v1
	v_log_f32_e32 v9, v9
	s_waitcnt_depctr 0xfff
	v_sub_f32_e32 v9, v9, v10
	s_delay_alu instid0(VALU_DEP_1) | instskip(NEXT) | instid1(VALU_DEP_1)
	v_mul_f32_e32 v9, 0x3f317218, v9
	v_cndmask_b32_e32 v1, v9, v1, vcc_lo
	s_delay_alu instid0(VALU_DEP_1) | instskip(SKIP_1) | instid1(VALU_DEP_2)
	v_mul_f32_e32 v9, 0x4f800000, v1
	v_cmp_gt_f32_e32 vcc_lo, 0xf800000, v1
	v_cndmask_b32_e32 v1, v1, v9, vcc_lo
	s_delay_alu instid0(VALU_DEP_1) | instskip(SKIP_3) | instid1(VALU_DEP_2)
	v_sqrt_f32_e32 v9, v1
	s_waitcnt_depctr 0xfff
	v_add_nc_u32_e32 v10, -1, v9
	v_add_nc_u32_e32 v14, 1, v9
	v_fma_f32 v15, -v10, v9, v1
	s_delay_alu instid0(VALU_DEP_2) | instskip(NEXT) | instid1(VALU_DEP_2)
	v_fma_f32 v16, -v14, v9, v1
	v_cmp_ge_f32_e64 s3, 0, v15
	s_delay_alu instid0(VALU_DEP_1) | instskip(NEXT) | instid1(VALU_DEP_3)
	v_cndmask_b32_e64 v9, v9, v10, s3
	v_cmp_lt_f32_e64 s3, 0, v16
	s_delay_alu instid0(VALU_DEP_1) | instskip(NEXT) | instid1(VALU_DEP_1)
	v_cndmask_b32_e64 v9, v9, v14, s3
	v_mul_f32_e32 v10, 0x37800000, v9
	s_delay_alu instid0(VALU_DEP_1) | instskip(SKIP_2) | instid1(VALU_DEP_3)
	v_cndmask_b32_e32 v14, v9, v10, vcc_lo
	v_cmp_class_f32_e64 vcc_lo, v1, 0x260
	v_lshlrev_b64 v[9:10], 1, v[5:6]
	v_cndmask_b32_e32 v1, v14, v1, vcc_lo
	s_and_not1_b32 vcc_lo, exec_lo, s19
	s_cbranch_vccnz .LBB64_5
; %bb.4:                                ;   in Loop: Header=BB64_3 Depth=1
	s_delay_alu instid0(VALU_DEP_2) | instskip(NEXT) | instid1(VALU_DEP_3)
	v_add_co_u32 v14, vcc_lo, s6, v9
	v_add_co_ci_u32_e32 v15, vcc_lo, s7, v10, vcc_lo
	global_load_u16 v14, v[14:15], off
	s_waitcnt vmcnt(0)
	v_cvt_f32_f16_e32 v14, v14
	s_delay_alu instid0(VALU_DEP_1)
	v_add_f32_e32 v1, v1, v14
.LBB64_5:                               ;   in Loop: Header=BB64_3 Depth=1
	v_mul_f32_e32 v14, 0x3fb8aa3b, v2
	s_delay_alu instid0(VALU_DEP_1) | instskip(SKIP_2) | instid1(VALU_DEP_2)
	v_cmp_gt_f32_e32 vcc_lo, 0xc2fc0000, v14
	v_cndmask_b32_e64 v15, 0, 0x42800000, vcc_lo
	v_cndmask_b32_e64 v14, 1.0, 0x1f800000, vcc_lo
	v_fmac_f32_e32 v15, 0x3fb8aa3b, v2
	s_delay_alu instid0(VALU_DEP_1) | instskip(SKIP_2) | instid1(VALU_DEP_1)
	v_exp_f32_e32 v15, v15
	s_waitcnt_depctr 0xfff
	v_fma_f32 v14, v15, v14, 1.0
	v_cmp_gt_f32_e32 vcc_lo, 0x800000, v14
	v_cndmask_b32_e64 v15, 1.0, 0x4f800000, vcc_lo
	s_delay_alu instid0(VALU_DEP_1) | instskip(SKIP_2) | instid1(VALU_DEP_3)
	v_mul_f32_e32 v14, v14, v15
	v_cndmask_b32_e64 v15, 0, 0x42000000, vcc_lo
	v_cmp_lt_f32_e32 vcc_lo, 0x41a00000, v2
	v_log_f32_e32 v14, v14
	s_waitcnt_depctr 0xfff
	v_sub_f32_e32 v14, v14, v15
	s_delay_alu instid0(VALU_DEP_1) | instskip(NEXT) | instid1(VALU_DEP_1)
	v_mul_f32_e32 v14, 0x3f317218, v14
	v_cndmask_b32_e32 v2, v14, v2, vcc_lo
	s_delay_alu instid0(VALU_DEP_1) | instskip(SKIP_1) | instid1(VALU_DEP_2)
	v_mul_f32_e32 v14, 0x4f800000, v2
	v_cmp_gt_f32_e32 vcc_lo, 0xf800000, v2
	v_cndmask_b32_e32 v2, v2, v14, vcc_lo
	s_delay_alu instid0(VALU_DEP_1) | instskip(SKIP_3) | instid1(VALU_DEP_2)
	v_sqrt_f32_e32 v14, v2
	s_waitcnt_depctr 0xfff
	v_add_nc_u32_e32 v15, -1, v14
	v_add_nc_u32_e32 v16, 1, v14
	v_fma_f32 v17, -v15, v14, v2
	s_delay_alu instid0(VALU_DEP_2) | instskip(NEXT) | instid1(VALU_DEP_2)
	v_fma_f32 v18, -v16, v14, v2
	v_cmp_ge_f32_e64 s3, 0, v17
	s_delay_alu instid0(VALU_DEP_1) | instskip(NEXT) | instid1(VALU_DEP_3)
	v_cndmask_b32_e64 v14, v14, v15, s3
	v_cmp_lt_f32_e64 s3, 0, v18
	s_delay_alu instid0(VALU_DEP_1) | instskip(NEXT) | instid1(VALU_DEP_1)
	v_cndmask_b32_e64 v14, v14, v16, s3
	v_mul_f32_e32 v15, 0x37800000, v14
	s_delay_alu instid0(VALU_DEP_1) | instskip(SKIP_1) | instid1(VALU_DEP_2)
	v_cndmask_b32_e32 v14, v14, v15, vcc_lo
	v_cmp_class_f32_e64 vcc_lo, v2, 0x260
	v_cndmask_b32_e32 v2, v14, v2, vcc_lo
	s_and_not1_b32 vcc_lo, exec_lo, s19
	s_cbranch_vccnz .LBB64_7
; %bb.6:                                ;   in Loop: Header=BB64_3 Depth=1
	v_add_co_u32 v14, vcc_lo, s21, v9
	v_add_co_ci_u32_e32 v15, vcc_lo, s22, v10, vcc_lo
	global_load_u16 v14, v[14:15], off
	s_waitcnt vmcnt(0)
	v_cvt_f32_f16_e32 v14, v14
	s_delay_alu instid0(VALU_DEP_1)
	v_add_f32_e32 v2, v2, v14
.LBB64_7:                               ;   in Loop: Header=BB64_3 Depth=1
	v_mul_f32_e32 v14, 0x3fb8aa3b, v3
	s_delay_alu instid0(VALU_DEP_1) | instskip(SKIP_2) | instid1(VALU_DEP_2)
	v_cmp_gt_f32_e32 vcc_lo, 0xc2fc0000, v14
	v_cndmask_b32_e64 v15, 0, 0x42800000, vcc_lo
	v_cndmask_b32_e64 v14, 1.0, 0x1f800000, vcc_lo
	v_fmac_f32_e32 v15, 0x3fb8aa3b, v3
	s_delay_alu instid0(VALU_DEP_1) | instskip(SKIP_2) | instid1(VALU_DEP_1)
	v_exp_f32_e32 v15, v15
	s_waitcnt_depctr 0xfff
	v_fma_f32 v14, v15, v14, 1.0
	v_cmp_gt_f32_e32 vcc_lo, 0x800000, v14
	v_cndmask_b32_e64 v15, 1.0, 0x4f800000, vcc_lo
	s_delay_alu instid0(VALU_DEP_1) | instskip(SKIP_2) | instid1(VALU_DEP_3)
	v_mul_f32_e32 v14, v14, v15
	v_cndmask_b32_e64 v15, 0, 0x42000000, vcc_lo
	v_cmp_lt_f32_e32 vcc_lo, 0x41a00000, v3
	v_log_f32_e32 v14, v14
	s_waitcnt_depctr 0xfff
	v_sub_f32_e32 v14, v14, v15
	s_delay_alu instid0(VALU_DEP_1) | instskip(NEXT) | instid1(VALU_DEP_1)
	v_mul_f32_e32 v14, 0x3f317218, v14
	v_cndmask_b32_e32 v3, v14, v3, vcc_lo
	s_delay_alu instid0(VALU_DEP_1) | instskip(SKIP_1) | instid1(VALU_DEP_2)
	v_mul_f32_e32 v14, 0x4f800000, v3
	v_cmp_gt_f32_e32 vcc_lo, 0xf800000, v3
	v_cndmask_b32_e32 v3, v3, v14, vcc_lo
	s_delay_alu instid0(VALU_DEP_1) | instskip(SKIP_3) | instid1(VALU_DEP_2)
	v_sqrt_f32_e32 v14, v3
	s_waitcnt_depctr 0xfff
	v_add_nc_u32_e32 v15, -1, v14
	v_add_nc_u32_e32 v16, 1, v14
	v_fma_f32 v17, -v15, v14, v3
	s_delay_alu instid0(VALU_DEP_2) | instskip(NEXT) | instid1(VALU_DEP_2)
	v_fma_f32 v18, -v16, v14, v3
	v_cmp_ge_f32_e64 s3, 0, v17
	s_delay_alu instid0(VALU_DEP_1) | instskip(NEXT) | instid1(VALU_DEP_3)
	v_cndmask_b32_e64 v14, v14, v15, s3
	v_cmp_lt_f32_e64 s3, 0, v18
	s_delay_alu instid0(VALU_DEP_1) | instskip(NEXT) | instid1(VALU_DEP_1)
	v_cndmask_b32_e64 v14, v14, v16, s3
	v_mul_f32_e32 v15, 0x37800000, v14
	s_delay_alu instid0(VALU_DEP_1) | instskip(SKIP_1) | instid1(VALU_DEP_2)
	v_cndmask_b32_e32 v14, v14, v15, vcc_lo
	v_cmp_class_f32_e64 vcc_lo, v3, 0x260
	v_cndmask_b32_e32 v3, v14, v3, vcc_lo
	s_and_not1_b32 vcc_lo, exec_lo, s19
	s_cbranch_vccnz .LBB64_9
; %bb.8:                                ;   in Loop: Header=BB64_3 Depth=1
	v_add_co_u32 v14, vcc_lo, s23, v9
	v_add_co_ci_u32_e32 v15, vcc_lo, s24, v10, vcc_lo
	global_load_u16 v14, v[14:15], off
	s_waitcnt vmcnt(0)
	v_cvt_f32_f16_e32 v14, v14
	s_delay_alu instid0(VALU_DEP_1)
	v_add_f32_e32 v3, v3, v14
.LBB64_9:                               ;   in Loop: Header=BB64_3 Depth=1
	v_mul_f32_e32 v14, 0x3fb8aa3b, v4
	s_delay_alu instid0(VALU_DEP_1) | instskip(SKIP_2) | instid1(VALU_DEP_2)
	v_cmp_gt_f32_e32 vcc_lo, 0xc2fc0000, v14
	v_cndmask_b32_e64 v15, 0, 0x42800000, vcc_lo
	v_cndmask_b32_e64 v14, 1.0, 0x1f800000, vcc_lo
	v_fmac_f32_e32 v15, 0x3fb8aa3b, v4
	s_delay_alu instid0(VALU_DEP_1) | instskip(SKIP_2) | instid1(VALU_DEP_1)
	v_exp_f32_e32 v15, v15
	s_waitcnt_depctr 0xfff
	v_fma_f32 v14, v15, v14, 1.0
	v_cmp_gt_f32_e32 vcc_lo, 0x800000, v14
	v_cndmask_b32_e64 v15, 1.0, 0x4f800000, vcc_lo
	s_delay_alu instid0(VALU_DEP_1) | instskip(SKIP_2) | instid1(VALU_DEP_3)
	v_mul_f32_e32 v14, v14, v15
	v_cndmask_b32_e64 v15, 0, 0x42000000, vcc_lo
	v_cmp_lt_f32_e32 vcc_lo, 0x41a00000, v4
	v_log_f32_e32 v14, v14
	s_waitcnt_depctr 0xfff
	v_sub_f32_e32 v14, v14, v15
	s_delay_alu instid0(VALU_DEP_1) | instskip(NEXT) | instid1(VALU_DEP_1)
	v_mul_f32_e32 v14, 0x3f317218, v14
	v_cndmask_b32_e32 v4, v14, v4, vcc_lo
	s_delay_alu instid0(VALU_DEP_1) | instskip(SKIP_1) | instid1(VALU_DEP_2)
	v_mul_f32_e32 v14, 0x4f800000, v4
	v_cmp_gt_f32_e32 vcc_lo, 0xf800000, v4
	v_cndmask_b32_e32 v4, v4, v14, vcc_lo
	s_delay_alu instid0(VALU_DEP_1) | instskip(SKIP_3) | instid1(VALU_DEP_2)
	v_sqrt_f32_e32 v14, v4
	s_waitcnt_depctr 0xfff
	v_add_nc_u32_e32 v15, -1, v14
	v_add_nc_u32_e32 v16, 1, v14
	v_fma_f32 v17, -v15, v14, v4
	s_delay_alu instid0(VALU_DEP_2) | instskip(NEXT) | instid1(VALU_DEP_2)
	v_fma_f32 v18, -v16, v14, v4
	v_cmp_ge_f32_e64 s3, 0, v17
	s_delay_alu instid0(VALU_DEP_1) | instskip(NEXT) | instid1(VALU_DEP_3)
	v_cndmask_b32_e64 v14, v14, v15, s3
	v_cmp_lt_f32_e64 s3, 0, v18
	s_delay_alu instid0(VALU_DEP_1) | instskip(NEXT) | instid1(VALU_DEP_1)
	v_cndmask_b32_e64 v14, v14, v16, s3
	v_mul_f32_e32 v15, 0x37800000, v14
	s_delay_alu instid0(VALU_DEP_1) | instskip(SKIP_1) | instid1(VALU_DEP_2)
	v_cndmask_b32_e32 v14, v14, v15, vcc_lo
	v_cmp_class_f32_e64 vcc_lo, v4, 0x260
	v_cndmask_b32_e32 v4, v14, v4, vcc_lo
	s_and_not1_b32 vcc_lo, exec_lo, s19
	s_cbranch_vccnz .LBB64_2
; %bb.10:                               ;   in Loop: Header=BB64_3 Depth=1
	v_add_co_u32 v9, vcc_lo, s25, v9
	v_add_co_ci_u32_e32 v10, vcc_lo, s26, v10, vcc_lo
	global_load_u16 v9, v[9:10], off
	s_waitcnt vmcnt(0)
	v_cvt_f32_f16_e32 v9, v9
	s_delay_alu instid0(VALU_DEP_1)
	v_add_f32_e32 v4, v4, v9
	s_branch .LBB64_2
.LBB64_11:
	s_or_b32 exec_lo, exec_lo, s18
	v_lshl_add_u32 v1, s14, 2, v0
	s_mov_b32 s18, exec_lo
	s_delay_alu instid0(VALU_DEP_1)
	v_cmpx_gt_i32_e64 s12, v1
	s_cbranch_execz .LBB64_16
; %bb.12:
	s_load_b32 s3, s[0:1], 0x44
	s_lshl_b64 s[16:17], s[16:17], 2
	v_lshlrev_b32_e32 v2, 2, v0
	s_add_u32 s4, s4, s16
	s_addc_u32 s5, s5, s17
	s_cmp_lg_u64 s[6:7], 0
	s_mov_b32 s19, 0
	s_cselect_b32 s16, -1, 0
	s_lshl_b32 s17, s14, 4
	s_delay_alu instid0(SALU_CYCLE_1) | instskip(SKIP_2) | instid1(SALU_CYCLE_1)
	v_add3_u32 v3, 0, s17, v2
	s_waitcnt lgkmcnt(0)
	s_and_b32 s17, s3, 0xffff
	s_lshl_b32 s20, s17, 2
	s_branch .LBB64_14
.LBB64_13:                              ;   in Loop: Header=BB64_14 Depth=1
	v_add_nc_u32_e32 v1, s17, v1
	v_add_nc_u32_e32 v3, s20, v3
	s_delay_alu instid0(VALU_DEP_2) | instskip(SKIP_1) | instid1(SALU_CYCLE_1)
	v_cmp_le_i32_e32 vcc_lo, s12, v1
	s_or_b32 s19, vcc_lo, s19
	s_and_not1_b32 exec_lo, exec_lo, s19
	s_cbranch_execz .LBB64_16
.LBB64_14:                              ; =>This Inner Loop Header: Depth=1
	v_ashrrev_i32_e32 v2, 31, v1
	s_delay_alu instid0(VALU_DEP_1) | instskip(NEXT) | instid1(VALU_DEP_1)
	v_lshlrev_b64 v[4:5], 2, v[1:2]
	v_add_co_u32 v4, vcc_lo, s4, v4
	s_delay_alu instid0(VALU_DEP_2) | instskip(SKIP_3) | instid1(VALU_DEP_1)
	v_add_co_ci_u32_e32 v5, vcc_lo, s5, v5, vcc_lo
	global_load_b32 v4, v[4:5], off
	s_waitcnt vmcnt(0)
	v_mul_f32_e32 v5, 0x3fb8aa3b, v4
	v_cmp_gt_f32_e32 vcc_lo, 0xc2fc0000, v5
	v_cndmask_b32_e64 v5, 0, 0x42800000, vcc_lo
	v_cndmask_b32_e64 v6, 1.0, 0x1f800000, vcc_lo
	s_delay_alu instid0(VALU_DEP_2) | instskip(NEXT) | instid1(VALU_DEP_1)
	v_fmac_f32_e32 v5, 0x3fb8aa3b, v4
	v_exp_f32_e32 v5, v5
	s_waitcnt_depctr 0xfff
	v_fma_f32 v5, v5, v6, 1.0
	s_delay_alu instid0(VALU_DEP_1) | instskip(SKIP_1) | instid1(VALU_DEP_1)
	v_cmp_gt_f32_e32 vcc_lo, 0x800000, v5
	v_cndmask_b32_e64 v6, 1.0, 0x4f800000, vcc_lo
	v_mul_f32_e32 v5, v5, v6
	v_cndmask_b32_e64 v6, 0, 0x42000000, vcc_lo
	v_cmp_lt_f32_e32 vcc_lo, 0x41a00000, v4
	s_delay_alu instid0(VALU_DEP_3) | instskip(SKIP_2) | instid1(VALU_DEP_1)
	v_log_f32_e32 v5, v5
	s_waitcnt_depctr 0xfff
	v_sub_f32_e32 v5, v5, v6
	v_mul_f32_e32 v5, 0x3f317218, v5
	s_delay_alu instid0(VALU_DEP_1) | instskip(NEXT) | instid1(VALU_DEP_1)
	v_cndmask_b32_e32 v4, v5, v4, vcc_lo
	v_mul_f32_e32 v5, 0x4f800000, v4
	v_cmp_gt_f32_e32 vcc_lo, 0xf800000, v4
	s_delay_alu instid0(VALU_DEP_2) | instskip(NEXT) | instid1(VALU_DEP_1)
	v_cndmask_b32_e32 v4, v4, v5, vcc_lo
	v_sqrt_f32_e32 v5, v4
	s_waitcnt_depctr 0xfff
	v_add_nc_u32_e32 v6, -1, v5
	v_add_nc_u32_e32 v7, 1, v5
	s_delay_alu instid0(VALU_DEP_2) | instskip(NEXT) | instid1(VALU_DEP_2)
	v_fma_f32 v8, -v6, v5, v4
	v_fma_f32 v9, -v7, v5, v4
	s_delay_alu instid0(VALU_DEP_2) | instskip(NEXT) | instid1(VALU_DEP_1)
	v_cmp_ge_f32_e64 s3, 0, v8
	v_cndmask_b32_e64 v5, v5, v6, s3
	s_delay_alu instid0(VALU_DEP_3) | instskip(NEXT) | instid1(VALU_DEP_1)
	v_cmp_lt_f32_e64 s3, 0, v9
	v_cndmask_b32_e64 v5, v5, v7, s3
	s_delay_alu instid0(VALU_DEP_1) | instskip(NEXT) | instid1(VALU_DEP_1)
	v_mul_f32_e32 v6, 0x37800000, v5
	v_cndmask_b32_e32 v5, v5, v6, vcc_lo
	v_cmp_class_f32_e64 vcc_lo, v4, 0x260
	s_delay_alu instid0(VALU_DEP_2)
	v_cndmask_b32_e32 v4, v5, v4, vcc_lo
	s_and_not1_b32 vcc_lo, exec_lo, s16
	ds_store_b32 v3, v4
	s_cbranch_vccnz .LBB64_13
; %bb.15:                               ;   in Loop: Header=BB64_14 Depth=1
	v_lshlrev_b64 v[5:6], 1, v[1:2]
	s_delay_alu instid0(VALU_DEP_1) | instskip(NEXT) | instid1(VALU_DEP_2)
	v_add_co_u32 v5, vcc_lo, s6, v5
	v_add_co_ci_u32_e32 v6, vcc_lo, s7, v6, vcc_lo
	global_load_u16 v2, v[5:6], off
	s_waitcnt vmcnt(0)
	v_cvt_f32_f16_e32 v2, v2
	s_delay_alu instid0(VALU_DEP_1)
	v_add_f32_e32 v2, v4, v2
	ds_store_b32 v3, v2
	s_branch .LBB64_13
.LBB64_16:
	s_or_b32 exec_lo, exec_lo, s18
	s_cmp_lt_i32 s13, 1
	s_waitcnt lgkmcnt(0)
	s_barrier
	buffer_gl0_inv
	s_cbranch_scc1 .LBB64_25
; %bb.17:
	s_add_u32 s4, s0, 56
	s_addc_u32 s5, s1, 0
	v_lshl_add_u32 v3, v0, 4, 0
	v_dual_mov_b32 v4, 0 :: v_dual_mov_b32 v1, 0
	v_dual_mov_b32 v5, 0xff800000 :: v_dual_mov_b32 v2, 0
	s_cmp_lg_u64 s[6:7], 0
	s_mov_b32 s18, 0
	s_cselect_b32 s12, -1, 0
	s_mov_b32 s19, 0x76543210
	s_branch .LBB64_19
.LBB64_18:                              ;   in Loop: Header=BB64_19 Depth=1
	v_cmp_eq_u32_e32 vcc_lo, s18, v0
	s_delay_alu instid0(VALU_DEP_2)
	s_lshl_b32 s3, s16, 2
	s_add_i32 s18, s18, 1
	s_add_i32 s3, s3, 0
	s_cmp_eq_u32 s18, s13
	v_cndmask_b32_e64 v1, v1, s16, vcc_lo
	v_mov_b32_e32 v6, s3
	v_cndmask_b32_e32 v2, v2, v8, vcc_lo
	ds_store_b32 v6, v5
	s_cbranch_scc1 .LBB64_26
.LBB64_19:                              ; =>This Loop Header: Depth=1
                                        ;     Child Loop BB64_21 Depth 2
	v_dual_mov_b32 v6, s18 :: v_dual_mov_b32 v7, 0xff800000
	s_and_saveexec_b32 s16, s2
	s_cbranch_execz .LBB64_23
; %bb.20:                               ;   in Loop: Header=BB64_19 Depth=1
	s_load_b32 s3, s[4:5], 0xc
	v_dual_mov_b32 v6, s18 :: v_dual_mov_b32 v7, 0xff800000
	v_mov_b32_e32 v8, v3
	v_dual_mov_b32 v9, v11 :: v_dual_mov_b32 v10, v0
	s_mov_b32 s21, 0
	s_waitcnt lgkmcnt(0)
	s_and_b32 s17, s3, 0xffff
	s_delay_alu instid0(SALU_CYCLE_1)
	s_lshl_b32 s20, s17, 2
	s_lshl_b32 s22, s17, 4
	.p2align	6
.LBB64_21:                              ;   Parent Loop BB64_19 Depth=1
                                        ; =>  This Inner Loop Header: Depth=2
	ds_load_b128 v[12:15], v8
	v_add_nc_u32_e32 v8, s22, v8
	s_waitcnt lgkmcnt(0)
	v_cmp_gt_f32_e32 vcc_lo, v12, v7
	v_dual_cndmask_b32 v7, v7, v12 :: v_dual_add_nc_u32 v12, 1, v9
	v_cndmask_b32_e32 v6, v6, v9, vcc_lo
	s_delay_alu instid0(VALU_DEP_2) | instskip(NEXT) | instid1(VALU_DEP_2)
	v_cmp_gt_f32_e32 vcc_lo, v13, v7
	v_dual_cndmask_b32 v7, v7, v13 :: v_dual_cndmask_b32 v6, v6, v12
	v_add_nc_u32_e32 v12, 3, v9
	v_add_nc_u32_e32 v13, 2, v9
	;; [unrolled: 1-line block ×3, first 2 shown]
	s_delay_alu instid0(VALU_DEP_4) | instskip(NEXT) | instid1(VALU_DEP_3)
	v_cmp_gt_f32_e32 vcc_lo, v14, v7
	v_dual_cndmask_b32 v7, v7, v14 :: v_dual_cndmask_b32 v6, v6, v13
	s_delay_alu instid0(VALU_DEP_1) | instskip(SKIP_1) | instid1(VALU_DEP_1)
	v_cmp_gt_f32_e32 vcc_lo, v15, v7
	v_dual_cndmask_b32 v7, v7, v15 :: v_dual_add_nc_u32 v10, s17, v10
	v_cmp_le_i32_e64 s3, s14, v10
	s_delay_alu instid0(VALU_DEP_4) | instskip(NEXT) | instid1(VALU_DEP_2)
	v_cndmask_b32_e32 v6, v6, v12, vcc_lo
	s_or_b32 s21, s3, s21
	s_delay_alu instid0(SALU_CYCLE_1)
	s_and_not1_b32 exec_lo, exec_lo, s21
	s_cbranch_execnz .LBB64_21
; %bb.22:                               ;   in Loop: Header=BB64_19 Depth=1
	s_or_b32 exec_lo, exec_lo, s21
.LBB64_23:                              ;   in Loop: Header=BB64_19 Depth=1
	s_delay_alu instid0(SALU_CYCLE_1)
	s_or_b32 exec_lo, exec_lo, s16
	;;#ASMSTART
	v_max_f32 v8, v7, v7 quad_perm:[1,0,3,2] row_mask:0xf bank_mask:0xf bound_ctrl:1
	;;#ASMEND
	;;#ASMSTART
	v_max_f32 v9, v8, v8 quad_perm:[2,3,0,1] row_mask:0xf bank_mask:0xf bound_ctrl:1
	;;#ASMEND
	;;#ASMSTART
	v_max_f32 v8, v9, v9 row_half_mirror row_mask:0xf bank_mask:0xf bound_ctrl:1
	;;#ASMEND
	;;#ASMSTART
	v_max_f32 v9, v8, v8 row_mirror row_mask:0xf bank_mask:0xf bound_ctrl:1
	;;#ASMEND
	v_permlanex16_b32 v8, v9, s19, 0xfedcba98 op_sel:[1,1]
	s_delay_alu instid0(VALU_DEP_1) | instskip(NEXT) | instid1(VALU_DEP_1)
	v_dual_max_f32 v9, v9, v9 :: v_dual_max_f32 v8, v8, v8
	v_max_f32_e32 v8, v9, v8
	s_delay_alu instid0(VALU_DEP_1)
	v_cmp_eq_f32_e32 vcc_lo, v7, v8
	s_ctz_i32_b32 s3, vcc_lo
	s_cmp_lg_u32 vcc_lo, 0
	s_cselect_b32 s3, s3, 0
	s_and_b32 vcc_lo, exec_lo, s12
	v_readlane_b32 s16, v6, s3
	s_cbranch_vccz .LBB64_18
; %bb.24:                               ;   in Loop: Header=BB64_19 Depth=1
	s_delay_alu instid0(VALU_DEP_1) | instskip(NEXT) | instid1(SALU_CYCLE_1)
	s_ashr_i32 s17, s16, 31
	s_lshl_b64 s[20:21], s[16:17], 1
	s_delay_alu instid0(SALU_CYCLE_1) | instskip(SKIP_4) | instid1(VALU_DEP_1)
	s_add_u32 s20, s6, s20
	s_addc_u32 s21, s7, s21
	global_load_u16 v6, v4, s[20:21]
	s_waitcnt vmcnt(0)
	v_cvt_f32_f16_e32 v6, v6
	v_sub_f32_e32 v8, v8, v6
	s_branch .LBB64_18
.LBB64_25:
	v_dual_mov_b32 v2, 0 :: v_dual_mov_b32 v1, 0
.LBB64_26:
	s_mov_b32 s2, exec_lo
	v_cmpx_gt_i32_e64 s13, v0
	s_cbranch_execz .LBB64_29
; %bb.27:
	s_clause 0x2
	s_load_b32 s4, s[0:1], 0x34
	s_load_b64 s[2:3], s[0:1], 0x20
	s_load_b32 s0, s[0:1], 0x44
	s_ashr_i32 s1, s15, 31
	s_waitcnt lgkmcnt(0)
	v_mul_f32_e32 v2, s4, v2
	s_mul_i32 s3, s15, s3
	s_mul_hi_u32 s4, s15, s2
	s_mul_i32 s5, s1, s2
	s_add_i32 s3, s4, s3
	s_mul_i32 s1, s15, s2
	s_and_b32 s2, s0, 0xffff
	s_add_i32 s3, s3, s5
	s_mov_b32 s4, 0
	.p2align	6
.LBB64_28:                              ; =>This Inner Loop Header: Depth=1
	v_ashrrev_i32_e32 v4, 31, v0
	v_add_co_u32 v3, vcc_lo, s1, v0
	v_add_nc_u32_e32 v0, s2, v0
	s_delay_alu instid0(VALU_DEP_3) | instskip(NEXT) | instid1(VALU_DEP_2)
	v_add_co_ci_u32_e32 v4, vcc_lo, s3, v4, vcc_lo
	v_cmp_le_i32_e32 vcc_lo, s13, v0
	s_delay_alu instid0(VALU_DEP_2) | instskip(SKIP_1) | instid1(VALU_DEP_1)
	v_lshlrev_b64 v[3:4], 2, v[3:4]
	s_or_b32 s4, vcc_lo, s4
	v_add_co_u32 v5, s0, s8, v3
	s_delay_alu instid0(VALU_DEP_1) | instskip(SKIP_1) | instid1(VALU_DEP_1)
	v_add_co_ci_u32_e64 v6, s0, s9, v4, s0
	v_add_co_u32 v3, s0, s10, v3
	v_add_co_ci_u32_e64 v4, s0, s11, v4, s0
	global_store_b32 v[5:6], v2, off
	global_store_b32 v[3:4], v1, off
	s_and_not1_b32 exec_lo, exec_lo, s4
	s_cbranch_execnz .LBB64_28
.LBB64_29:
	s_nop 0
	s_sendmsg sendmsg(MSG_DEALLOC_VGPRS)
	s_endpgm
	.section	.rodata,"a",@progbits
	.p2align	6, 0x0
	.amdhsa_kernel _ZN5aiter20topk_softplus_kernelIf6__halfDv4_fLb0ELi0EEEvPKT_PKT0_PfPimiiif
		.amdhsa_group_segment_fixed_size 0
		.amdhsa_private_segment_fixed_size 0
		.amdhsa_kernarg_size 312
		.amdhsa_user_sgpr_count 15
		.amdhsa_user_sgpr_dispatch_ptr 0
		.amdhsa_user_sgpr_queue_ptr 0
		.amdhsa_user_sgpr_kernarg_segment_ptr 1
		.amdhsa_user_sgpr_dispatch_id 0
		.amdhsa_user_sgpr_private_segment_size 0
		.amdhsa_wavefront_size32 1
		.amdhsa_uses_dynamic_stack 0
		.amdhsa_enable_private_segment 0
		.amdhsa_system_sgpr_workgroup_id_x 1
		.amdhsa_system_sgpr_workgroup_id_y 0
		.amdhsa_system_sgpr_workgroup_id_z 0
		.amdhsa_system_sgpr_workgroup_info 0
		.amdhsa_system_vgpr_workitem_id 0
		.amdhsa_next_free_vgpr 19
		.amdhsa_next_free_sgpr 30
		.amdhsa_reserve_vcc 1
		.amdhsa_float_round_mode_32 0
		.amdhsa_float_round_mode_16_64 0
		.amdhsa_float_denorm_mode_32 3
		.amdhsa_float_denorm_mode_16_64 3
		.amdhsa_dx10_clamp 1
		.amdhsa_ieee_mode 1
		.amdhsa_fp16_overflow 0
		.amdhsa_workgroup_processor_mode 1
		.amdhsa_memory_ordered 1
		.amdhsa_forward_progress 0
		.amdhsa_shared_vgpr_count 0
		.amdhsa_exception_fp_ieee_invalid_op 0
		.amdhsa_exception_fp_denorm_src 0
		.amdhsa_exception_fp_ieee_div_zero 0
		.amdhsa_exception_fp_ieee_overflow 0
		.amdhsa_exception_fp_ieee_underflow 0
		.amdhsa_exception_fp_ieee_inexact 0
		.amdhsa_exception_int_div_zero 0
	.end_amdhsa_kernel
	.section	.text._ZN5aiter20topk_softplus_kernelIf6__halfDv4_fLb0ELi0EEEvPKT_PKT0_PfPimiiif,"axG",@progbits,_ZN5aiter20topk_softplus_kernelIf6__halfDv4_fLb0ELi0EEEvPKT_PKT0_PfPimiiif,comdat
.Lfunc_end64:
	.size	_ZN5aiter20topk_softplus_kernelIf6__halfDv4_fLb0ELi0EEEvPKT_PKT0_PfPimiiif, .Lfunc_end64-_ZN5aiter20topk_softplus_kernelIf6__halfDv4_fLb0ELi0EEEvPKT_PKT0_PfPimiiif
                                        ; -- End function
	.section	.AMDGPU.csdata,"",@progbits
; Kernel info:
; codeLenInByte = 2896
; NumSgprs: 32
; NumVgprs: 19
; ScratchSize: 0
; MemoryBound: 0
; FloatMode: 240
; IeeeMode: 1
; LDSByteSize: 0 bytes/workgroup (compile time only)
; SGPRBlocks: 3
; VGPRBlocks: 2
; NumSGPRsForWavesPerEU: 32
; NumVGPRsForWavesPerEU: 19
; Occupancy: 16
; WaveLimiterHint : 0
; COMPUTE_PGM_RSRC2:SCRATCH_EN: 0
; COMPUTE_PGM_RSRC2:USER_SGPR: 15
; COMPUTE_PGM_RSRC2:TRAP_HANDLER: 0
; COMPUTE_PGM_RSRC2:TGID_X_EN: 1
; COMPUTE_PGM_RSRC2:TGID_Y_EN: 0
; COMPUTE_PGM_RSRC2:TGID_Z_EN: 0
; COMPUTE_PGM_RSRC2:TIDIG_COMP_CNT: 0
	.section	.text._ZN5aiter20topk_softplus_kernelIf6__halfDv2_fLb1ELi0EEEvPKT_PKT0_PfPimiiif,"axG",@progbits,_ZN5aiter20topk_softplus_kernelIf6__halfDv2_fLb1ELi0EEEvPKT_PKT0_PfPimiiif,comdat
	.protected	_ZN5aiter20topk_softplus_kernelIf6__halfDv2_fLb1ELi0EEEvPKT_PKT0_PfPimiiif ; -- Begin function _ZN5aiter20topk_softplus_kernelIf6__halfDv2_fLb1ELi0EEEvPKT_PKT0_PfPimiiif
	.globl	_ZN5aiter20topk_softplus_kernelIf6__halfDv2_fLb1ELi0EEEvPKT_PKT0_PfPimiiif
	.p2align	8
	.type	_ZN5aiter20topk_softplus_kernelIf6__halfDv2_fLb1ELi0EEEvPKT_PKT0_PfPimiiif,@function
_ZN5aiter20topk_softplus_kernelIf6__halfDv2_fLb1ELi0EEEvPKT_PKT0_PfPimiiif: ; @_ZN5aiter20topk_softplus_kernelIf6__halfDv2_fLb1ELi0EEEvPKT_PKT0_PfPimiiif
; %bb.0:
	s_clause 0x1
	s_load_b64 s[12:13], s[0:1], 0x28
	s_load_b256 s[4:11], s[0:1], 0x0
	s_waitcnt lgkmcnt(0)
	s_lshr_b32 s2, s12, 31
	s_mul_i32 s16, s15, s12
	s_add_i32 s2, s12, s2
	s_ashr_i32 s17, s16, 31
	s_ashr_i32 s14, s2, 1
	s_delay_alu instid0(SALU_CYCLE_1) | instskip(NEXT) | instid1(VALU_DEP_1)
	v_cmp_gt_i32_e64 s2, s14, v0
	s_and_saveexec_b32 s18, s2
	s_cbranch_execz .LBB65_7
; %bb.1:
	s_load_b32 s3, s[0:1], 0x44
	v_lshlrev_b32_e32 v1, 2, v0
	s_cmp_lg_u64 s[6:7], 0
	v_dual_mov_b32 v8, v0 :: v_dual_lshlrev_b32 v3, 3, v0
	s_cselect_b32 s19, -1, 0
	s_delay_alu instid0(VALU_DEP_2) | instskip(SKIP_3) | instid1(VALU_DEP_3)
	v_add_co_u32 v1, s20, v1, s6
	s_lshl_b64 s[22:23], s[16:17], 2
	v_add_co_ci_u32_e64 v2, null, 0, s7, s20
	v_add_nc_u32_e32 v7, 0, v3
	v_add_co_u32 v1, vcc_lo, v1, 2
	s_delay_alu instid0(VALU_DEP_3)
	v_add_co_ci_u32_e32 v2, vcc_lo, 0, v2, vcc_lo
	s_waitcnt lgkmcnt(0)
	s_and_b32 s20, s3, 0xffff
	s_add_u32 s3, s4, s22
	s_addc_u32 s21, s5, s23
	v_add_co_u32 v3, s3, s3, v3
	s_delay_alu instid0(VALU_DEP_1)
	v_add_co_ci_u32_e64 v4, null, s21, 0, s3
	s_mov_b32 s21, 0
	s_lshl_b32 s22, s20, 3
	s_lshl_b32 s23, s20, 2
	s_branch .LBB65_3
.LBB65_2:                               ;   in Loop: Header=BB65_3 Depth=1
	v_add_nc_u32_e32 v8, s20, v8
	v_add_co_u32 v3, vcc_lo, v3, s22
	v_add_co_ci_u32_e32 v4, vcc_lo, 0, v4, vcc_lo
	s_delay_alu instid0(VALU_DEP_3)
	v_cmp_le_i32_e32 vcc_lo, s14, v8
	v_add_co_u32 v1, s3, v1, s23
	ds_store_b64 v7, v[5:6]
	v_add_co_ci_u32_e64 v2, s3, 0, v2, s3
	v_add_nc_u32_e32 v7, s22, v7
	s_or_b32 s21, vcc_lo, s21
	s_delay_alu instid0(SALU_CYCLE_1)
	s_and_not1_b32 exec_lo, exec_lo, s21
	s_cbranch_execz .LBB65_7
.LBB65_3:                               ; =>This Inner Loop Header: Depth=1
	global_load_b64 v[5:6], v[3:4], off
	s_waitcnt vmcnt(0)
	v_mul_f32_e32 v9, 0x3fb8aa3b, v5
	s_delay_alu instid0(VALU_DEP_1) | instskip(SKIP_2) | instid1(VALU_DEP_2)
	v_cmp_gt_f32_e32 vcc_lo, 0xc2fc0000, v9
	v_cndmask_b32_e64 v10, 0, 0x42800000, vcc_lo
	v_cndmask_b32_e64 v9, 1.0, 0x1f800000, vcc_lo
	v_fmac_f32_e32 v10, 0x3fb8aa3b, v5
	s_delay_alu instid0(VALU_DEP_1) | instskip(SKIP_2) | instid1(VALU_DEP_1)
	v_exp_f32_e32 v10, v10
	s_waitcnt_depctr 0xfff
	v_fma_f32 v9, v10, v9, 1.0
	v_cmp_gt_f32_e32 vcc_lo, 0x800000, v9
	v_cndmask_b32_e64 v10, 1.0, 0x4f800000, vcc_lo
	s_delay_alu instid0(VALU_DEP_1) | instskip(SKIP_2) | instid1(VALU_DEP_3)
	v_mul_f32_e32 v9, v9, v10
	v_cndmask_b32_e64 v10, 0, 0x42000000, vcc_lo
	v_cmp_lt_f32_e32 vcc_lo, 0x41a00000, v5
	v_log_f32_e32 v9, v9
	s_waitcnt_depctr 0xfff
	v_sub_f32_e32 v9, v9, v10
	s_delay_alu instid0(VALU_DEP_1) | instskip(NEXT) | instid1(VALU_DEP_1)
	v_mul_f32_e32 v9, 0x3f317218, v9
	v_cndmask_b32_e32 v5, v9, v5, vcc_lo
	s_delay_alu instid0(VALU_DEP_1) | instskip(SKIP_1) | instid1(VALU_DEP_2)
	v_mul_f32_e32 v9, 0x4f800000, v5
	v_cmp_gt_f32_e32 vcc_lo, 0xf800000, v5
	v_cndmask_b32_e32 v5, v5, v9, vcc_lo
	s_delay_alu instid0(VALU_DEP_1) | instskip(SKIP_3) | instid1(VALU_DEP_2)
	v_sqrt_f32_e32 v9, v5
	s_waitcnt_depctr 0xfff
	v_add_nc_u32_e32 v10, -1, v9
	v_add_nc_u32_e32 v11, 1, v9
	v_fma_f32 v12, -v10, v9, v5
	s_delay_alu instid0(VALU_DEP_2) | instskip(NEXT) | instid1(VALU_DEP_2)
	v_fma_f32 v13, -v11, v9, v5
	v_cmp_ge_f32_e64 s3, 0, v12
	s_delay_alu instid0(VALU_DEP_1) | instskip(NEXT) | instid1(VALU_DEP_3)
	v_cndmask_b32_e64 v9, v9, v10, s3
	v_cmp_lt_f32_e64 s3, 0, v13
	s_delay_alu instid0(VALU_DEP_1) | instskip(NEXT) | instid1(VALU_DEP_1)
	v_cndmask_b32_e64 v9, v9, v11, s3
	v_mul_f32_e32 v10, 0x37800000, v9
	s_delay_alu instid0(VALU_DEP_1) | instskip(SKIP_1) | instid1(VALU_DEP_2)
	v_cndmask_b32_e32 v9, v9, v10, vcc_lo
	v_cmp_class_f32_e64 vcc_lo, v5, 0x260
	v_cndmask_b32_e32 v5, v9, v5, vcc_lo
	s_and_not1_b32 vcc_lo, exec_lo, s19
	s_cbranch_vccnz .LBB65_5
; %bb.4:                                ;   in Loop: Header=BB65_3 Depth=1
	global_load_u16 v9, v[1:2], off offset:-2
	s_waitcnt vmcnt(0)
	v_cvt_f32_f16_e32 v9, v9
	s_delay_alu instid0(VALU_DEP_1)
	v_add_f32_e32 v5, v5, v9
.LBB65_5:                               ;   in Loop: Header=BB65_3 Depth=1
	v_mul_f32_e32 v9, 0x3fb8aa3b, v6
	s_delay_alu instid0(VALU_DEP_1) | instskip(SKIP_2) | instid1(VALU_DEP_2)
	v_cmp_gt_f32_e32 vcc_lo, 0xc2fc0000, v9
	v_cndmask_b32_e64 v10, 0, 0x42800000, vcc_lo
	v_cndmask_b32_e64 v9, 1.0, 0x1f800000, vcc_lo
	v_fmac_f32_e32 v10, 0x3fb8aa3b, v6
	s_delay_alu instid0(VALU_DEP_1) | instskip(SKIP_2) | instid1(VALU_DEP_1)
	v_exp_f32_e32 v10, v10
	s_waitcnt_depctr 0xfff
	v_fma_f32 v9, v10, v9, 1.0
	v_cmp_gt_f32_e32 vcc_lo, 0x800000, v9
	v_cndmask_b32_e64 v10, 1.0, 0x4f800000, vcc_lo
	s_delay_alu instid0(VALU_DEP_1) | instskip(SKIP_2) | instid1(VALU_DEP_3)
	v_mul_f32_e32 v9, v9, v10
	v_cndmask_b32_e64 v10, 0, 0x42000000, vcc_lo
	v_cmp_lt_f32_e32 vcc_lo, 0x41a00000, v6
	v_log_f32_e32 v9, v9
	s_waitcnt_depctr 0xfff
	v_sub_f32_e32 v9, v9, v10
	s_delay_alu instid0(VALU_DEP_1) | instskip(NEXT) | instid1(VALU_DEP_1)
	v_mul_f32_e32 v9, 0x3f317218, v9
	v_cndmask_b32_e32 v6, v9, v6, vcc_lo
	s_delay_alu instid0(VALU_DEP_1) | instskip(SKIP_1) | instid1(VALU_DEP_2)
	v_mul_f32_e32 v9, 0x4f800000, v6
	v_cmp_gt_f32_e32 vcc_lo, 0xf800000, v6
	v_cndmask_b32_e32 v6, v6, v9, vcc_lo
	s_delay_alu instid0(VALU_DEP_1) | instskip(SKIP_3) | instid1(VALU_DEP_2)
	v_sqrt_f32_e32 v9, v6
	s_waitcnt_depctr 0xfff
	v_add_nc_u32_e32 v10, -1, v9
	v_add_nc_u32_e32 v11, 1, v9
	v_fma_f32 v12, -v10, v9, v6
	s_delay_alu instid0(VALU_DEP_2) | instskip(NEXT) | instid1(VALU_DEP_2)
	v_fma_f32 v13, -v11, v9, v6
	v_cmp_ge_f32_e64 s3, 0, v12
	s_delay_alu instid0(VALU_DEP_1) | instskip(NEXT) | instid1(VALU_DEP_3)
	v_cndmask_b32_e64 v9, v9, v10, s3
	v_cmp_lt_f32_e64 s3, 0, v13
	s_delay_alu instid0(VALU_DEP_1) | instskip(NEXT) | instid1(VALU_DEP_1)
	v_cndmask_b32_e64 v9, v9, v11, s3
	v_mul_f32_e32 v10, 0x37800000, v9
	s_delay_alu instid0(VALU_DEP_1) | instskip(SKIP_1) | instid1(VALU_DEP_2)
	v_cndmask_b32_e32 v9, v9, v10, vcc_lo
	v_cmp_class_f32_e64 vcc_lo, v6, 0x260
	v_cndmask_b32_e32 v6, v9, v6, vcc_lo
	s_and_not1_b32 vcc_lo, exec_lo, s19
	s_cbranch_vccnz .LBB65_2
; %bb.6:                                ;   in Loop: Header=BB65_3 Depth=1
	global_load_u16 v9, v[1:2], off
	s_waitcnt vmcnt(0)
	v_cvt_f32_f16_e32 v9, v9
	s_delay_alu instid0(VALU_DEP_1)
	v_add_f32_e32 v6, v6, v9
	s_branch .LBB65_2
.LBB65_7:
	s_or_b32 exec_lo, exec_lo, s18
	v_lshl_add_u32 v1, s14, 1, v0
	s_mov_b32 s18, exec_lo
	s_delay_alu instid0(VALU_DEP_1)
	v_cmpx_gt_i32_e64 s12, v1
	s_cbranch_execz .LBB65_12
; %bb.8:
	s_load_b32 s3, s[0:1], 0x44
	s_lshl_b64 s[16:17], s[16:17], 2
	v_lshlrev_b32_e32 v2, 2, v0
	s_add_u32 s4, s4, s16
	s_addc_u32 s5, s5, s17
	s_cmp_lg_u64 s[6:7], 0
	s_mov_b32 s19, 0
	s_cselect_b32 s16, -1, 0
	s_lshl_b32 s17, s14, 3
	s_delay_alu instid0(SALU_CYCLE_1) | instskip(SKIP_2) | instid1(SALU_CYCLE_1)
	v_add3_u32 v3, 0, s17, v2
	s_waitcnt lgkmcnt(0)
	s_and_b32 s17, s3, 0xffff
	s_lshl_b32 s20, s17, 2
	s_branch .LBB65_10
.LBB65_9:                               ;   in Loop: Header=BB65_10 Depth=1
	v_add_nc_u32_e32 v1, s17, v1
	v_add_nc_u32_e32 v3, s20, v3
	s_delay_alu instid0(VALU_DEP_2) | instskip(SKIP_1) | instid1(SALU_CYCLE_1)
	v_cmp_le_i32_e32 vcc_lo, s12, v1
	s_or_b32 s19, vcc_lo, s19
	s_and_not1_b32 exec_lo, exec_lo, s19
	s_cbranch_execz .LBB65_12
.LBB65_10:                              ; =>This Inner Loop Header: Depth=1
	v_ashrrev_i32_e32 v2, 31, v1
	s_delay_alu instid0(VALU_DEP_1) | instskip(NEXT) | instid1(VALU_DEP_1)
	v_lshlrev_b64 v[4:5], 2, v[1:2]
	v_add_co_u32 v4, vcc_lo, s4, v4
	s_delay_alu instid0(VALU_DEP_2) | instskip(SKIP_3) | instid1(VALU_DEP_1)
	v_add_co_ci_u32_e32 v5, vcc_lo, s5, v5, vcc_lo
	global_load_b32 v4, v[4:5], off
	s_waitcnt vmcnt(0)
	v_mul_f32_e32 v5, 0x3fb8aa3b, v4
	v_cmp_gt_f32_e32 vcc_lo, 0xc2fc0000, v5
	v_cndmask_b32_e64 v5, 0, 0x42800000, vcc_lo
	v_cndmask_b32_e64 v6, 1.0, 0x1f800000, vcc_lo
	s_delay_alu instid0(VALU_DEP_2) | instskip(NEXT) | instid1(VALU_DEP_1)
	v_fmac_f32_e32 v5, 0x3fb8aa3b, v4
	v_exp_f32_e32 v5, v5
	s_waitcnt_depctr 0xfff
	v_fma_f32 v5, v5, v6, 1.0
	s_delay_alu instid0(VALU_DEP_1) | instskip(SKIP_1) | instid1(VALU_DEP_1)
	v_cmp_gt_f32_e32 vcc_lo, 0x800000, v5
	v_cndmask_b32_e64 v6, 1.0, 0x4f800000, vcc_lo
	v_mul_f32_e32 v5, v5, v6
	v_cndmask_b32_e64 v6, 0, 0x42000000, vcc_lo
	v_cmp_lt_f32_e32 vcc_lo, 0x41a00000, v4
	s_delay_alu instid0(VALU_DEP_3) | instskip(SKIP_2) | instid1(VALU_DEP_1)
	v_log_f32_e32 v5, v5
	s_waitcnt_depctr 0xfff
	v_sub_f32_e32 v5, v5, v6
	v_mul_f32_e32 v5, 0x3f317218, v5
	s_delay_alu instid0(VALU_DEP_1) | instskip(NEXT) | instid1(VALU_DEP_1)
	v_cndmask_b32_e32 v4, v5, v4, vcc_lo
	v_mul_f32_e32 v5, 0x4f800000, v4
	v_cmp_gt_f32_e32 vcc_lo, 0xf800000, v4
	s_delay_alu instid0(VALU_DEP_2) | instskip(NEXT) | instid1(VALU_DEP_1)
	v_cndmask_b32_e32 v4, v4, v5, vcc_lo
	v_sqrt_f32_e32 v5, v4
	s_waitcnt_depctr 0xfff
	v_add_nc_u32_e32 v6, -1, v5
	v_add_nc_u32_e32 v7, 1, v5
	s_delay_alu instid0(VALU_DEP_2) | instskip(NEXT) | instid1(VALU_DEP_2)
	v_fma_f32 v8, -v6, v5, v4
	v_fma_f32 v9, -v7, v5, v4
	s_delay_alu instid0(VALU_DEP_2) | instskip(NEXT) | instid1(VALU_DEP_1)
	v_cmp_ge_f32_e64 s3, 0, v8
	v_cndmask_b32_e64 v5, v5, v6, s3
	s_delay_alu instid0(VALU_DEP_3) | instskip(NEXT) | instid1(VALU_DEP_1)
	v_cmp_lt_f32_e64 s3, 0, v9
	v_cndmask_b32_e64 v5, v5, v7, s3
	s_delay_alu instid0(VALU_DEP_1) | instskip(NEXT) | instid1(VALU_DEP_1)
	v_mul_f32_e32 v6, 0x37800000, v5
	v_cndmask_b32_e32 v5, v5, v6, vcc_lo
	v_cmp_class_f32_e64 vcc_lo, v4, 0x260
	s_delay_alu instid0(VALU_DEP_2)
	v_cndmask_b32_e32 v4, v5, v4, vcc_lo
	s_and_not1_b32 vcc_lo, exec_lo, s16
	ds_store_b32 v3, v4
	s_cbranch_vccnz .LBB65_9
; %bb.11:                               ;   in Loop: Header=BB65_10 Depth=1
	v_lshlrev_b64 v[5:6], 1, v[1:2]
	s_delay_alu instid0(VALU_DEP_1) | instskip(NEXT) | instid1(VALU_DEP_2)
	v_add_co_u32 v5, vcc_lo, s6, v5
	v_add_co_ci_u32_e32 v6, vcc_lo, s7, v6, vcc_lo
	global_load_u16 v2, v[5:6], off
	s_waitcnt vmcnt(0)
	v_cvt_f32_f16_e32 v2, v2
	s_delay_alu instid0(VALU_DEP_1)
	v_add_f32_e32 v2, v4, v2
	ds_store_b32 v3, v2
	s_branch .LBB65_9
.LBB65_12:
	s_or_b32 exec_lo, exec_lo, s18
	v_mov_b32_e32 v2, 0
	s_cmp_lt_i32 s13, 1
	s_waitcnt lgkmcnt(0)
	s_barrier
	buffer_gl0_inv
	s_cbranch_scc1 .LBB65_21
; %bb.13:
	s_add_u32 s4, s0, 56
	s_addc_u32 s5, s1, 0
	v_dual_mov_b32 v7, 0xff800000 :: v_dual_lshlrev_b32 v4, 1, v0
	v_lshl_add_u32 v5, v0, 3, 0
	v_dual_mov_b32 v2, 0 :: v_dual_mov_b32 v1, 0
	v_dual_mov_b32 v6, 0 :: v_dual_mov_b32 v3, 0
	s_cmp_lg_u64 s[6:7], 0
	s_mov_b32 s18, 0
	s_cselect_b32 s12, -1, 0
	s_mov_b32 s19, 0x76543210
	s_branch .LBB65_15
.LBB65_14:                              ;   in Loop: Header=BB65_15 Depth=1
	v_cmp_eq_u32_e32 vcc_lo, s18, v0
	s_delay_alu instid0(VALU_DEP_2)
	s_lshl_b32 s3, s16, 2
	s_add_i32 s18, s18, 1
	s_add_i32 s3, s3, 0
	v_add_f32_e32 v3, v3, v10
	v_cndmask_b32_e64 v1, v1, s16, vcc_lo
	v_mov_b32_e32 v8, s3
	v_cndmask_b32_e32 v2, v2, v10, vcc_lo
	s_cmp_eq_u32 s18, s13
	ds_store_b32 v8, v7
	s_cbranch_scc1 .LBB65_22
.LBB65_15:                              ; =>This Loop Header: Depth=1
                                        ;     Child Loop BB65_17 Depth 2
	v_dual_mov_b32 v8, s18 :: v_dual_mov_b32 v9, 0xff800000
	s_and_saveexec_b32 s16, s2
	s_cbranch_execz .LBB65_19
; %bb.16:                               ;   in Loop: Header=BB65_15 Depth=1
	s_load_b32 s3, s[4:5], 0xc
	v_dual_mov_b32 v8, s18 :: v_dual_mov_b32 v9, 0xff800000
	v_dual_mov_b32 v10, v5 :: v_dual_mov_b32 v11, v4
	v_mov_b32_e32 v12, v0
	s_mov_b32 s21, 0
	s_waitcnt lgkmcnt(0)
	s_and_b32 s17, s3, 0xffff
	s_delay_alu instid0(SALU_CYCLE_1)
	s_lshl_b32 s20, s17, 1
	s_lshl_b32 s22, s17, 3
	.p2align	6
.LBB65_17:                              ;   Parent Loop BB65_15 Depth=1
                                        ; =>  This Inner Loop Header: Depth=2
	ds_load_b64 v[13:14], v10
	v_add_nc_u32_e32 v10, s22, v10
	v_add_nc_u32_e32 v12, s17, v12
	s_delay_alu instid0(VALU_DEP_1) | instskip(NEXT) | instid1(VALU_DEP_1)
	v_cmp_le_i32_e64 s3, s14, v12
	s_or_b32 s21, s3, s21
	s_waitcnt lgkmcnt(0)
	v_cmp_gt_f32_e32 vcc_lo, v13, v9
	v_cndmask_b32_e32 v9, v9, v13, vcc_lo
	v_add_nc_u32_e32 v13, 1, v11
	v_cndmask_b32_e32 v8, v8, v11, vcc_lo
	s_delay_alu instid0(VALU_DEP_3) | instskip(SKIP_1) | instid1(VALU_DEP_3)
	v_cmp_gt_f32_e32 vcc_lo, v14, v9
	v_cndmask_b32_e32 v9, v9, v14, vcc_lo
	v_dual_cndmask_b32 v8, v8, v13 :: v_dual_add_nc_u32 v11, s20, v11
	s_and_not1_b32 exec_lo, exec_lo, s21
	s_cbranch_execnz .LBB65_17
; %bb.18:                               ;   in Loop: Header=BB65_15 Depth=1
	s_or_b32 exec_lo, exec_lo, s21
.LBB65_19:                              ;   in Loop: Header=BB65_15 Depth=1
	s_delay_alu instid0(SALU_CYCLE_1)
	s_or_b32 exec_lo, exec_lo, s16
	;;#ASMSTART
	v_max_f32 v10, v9, v9 quad_perm:[1,0,3,2] row_mask:0xf bank_mask:0xf bound_ctrl:1
	;;#ASMEND
	;;#ASMSTART
	v_max_f32 v11, v10, v10 quad_perm:[2,3,0,1] row_mask:0xf bank_mask:0xf bound_ctrl:1
	;;#ASMEND
	;;#ASMSTART
	v_max_f32 v10, v11, v11 row_half_mirror row_mask:0xf bank_mask:0xf bound_ctrl:1
	;;#ASMEND
	;;#ASMSTART
	v_max_f32 v11, v10, v10 row_mirror row_mask:0xf bank_mask:0xf bound_ctrl:1
	;;#ASMEND
	v_permlanex16_b32 v10, v11, s19, 0xfedcba98 op_sel:[1,1]
	s_delay_alu instid0(VALU_DEP_1) | instskip(NEXT) | instid1(VALU_DEP_1)
	v_dual_max_f32 v11, v11, v11 :: v_dual_max_f32 v10, v10, v10
	v_max_f32_e32 v10, v11, v10
	s_delay_alu instid0(VALU_DEP_1)
	v_cmp_eq_f32_e32 vcc_lo, v9, v10
	s_ctz_i32_b32 s3, vcc_lo
	s_cmp_lg_u32 vcc_lo, 0
	s_cselect_b32 s3, s3, 0
	s_and_b32 vcc_lo, exec_lo, s12
	v_readlane_b32 s16, v8, s3
	s_cbranch_vccz .LBB65_14
; %bb.20:                               ;   in Loop: Header=BB65_15 Depth=1
	s_delay_alu instid0(VALU_DEP_1) | instskip(NEXT) | instid1(SALU_CYCLE_1)
	s_ashr_i32 s17, s16, 31
	s_lshl_b64 s[20:21], s[16:17], 1
	s_delay_alu instid0(SALU_CYCLE_1) | instskip(SKIP_4) | instid1(VALU_DEP_1)
	s_add_u32 s20, s6, s20
	s_addc_u32 s21, s7, s21
	global_load_u16 v8, v6, s[20:21]
	s_waitcnt vmcnt(0)
	v_cvt_f32_f16_e32 v8, v8
	v_sub_f32_e32 v10, v10, v8
	s_branch .LBB65_14
.LBB65_21:
	v_mov_b32_e32 v1, 0
	v_mov_b32_e32 v3, 0
.LBB65_22:
	s_mov_b32 s2, exec_lo
	v_cmpx_gt_i32_e64 s13, v0
	s_cbranch_execz .LBB65_25
; %bb.23:
	s_clause 0x1
	s_load_b32 s2, s[0:1], 0x34
	s_load_b32 s3, s[0:1], 0x44
	v_max_f32_e32 v3, v3, v3
	s_load_b64 s[0:1], s[0:1], 0x20
	s_ashr_i32 s4, s15, 31
	s_delay_alu instid0(VALU_DEP_1) | instskip(SKIP_1) | instid1(VALU_DEP_1)
	v_max_f32_e32 v3, 0x1e3ce508, v3
	s_waitcnt lgkmcnt(0)
	v_div_scale_f32 v4, null, v3, v3, s2
	v_div_scale_f32 v7, vcc_lo, s2, v3, s2
	s_mul_i32 s1, s15, s1
	s_delay_alu instid0(VALU_DEP_2) | instskip(SKIP_4) | instid1(VALU_DEP_1)
	v_rcp_f32_e32 v5, v4
	s_mul_i32 s4, s4, s0
	s_and_b32 s3, s3, 0xffff
	s_waitcnt_depctr 0xfff
	v_fma_f32 v6, -v4, v5, 1.0
	v_fmac_f32_e32 v5, v6, v5
	s_delay_alu instid0(VALU_DEP_1) | instskip(NEXT) | instid1(VALU_DEP_1)
	v_mul_f32_e32 v6, v7, v5
	v_fma_f32 v8, -v4, v6, v7
	s_delay_alu instid0(VALU_DEP_1) | instskip(NEXT) | instid1(VALU_DEP_1)
	v_fmac_f32_e32 v6, v8, v5
	v_fma_f32 v4, -v4, v6, v7
	s_delay_alu instid0(VALU_DEP_1) | instskip(NEXT) | instid1(VALU_DEP_1)
	v_div_fmas_f32 v4, v4, v5, v6
	v_div_fixup_f32 v3, v4, v3, s2
	s_mul_hi_u32 s2, s15, s0
	s_delay_alu instid0(SALU_CYCLE_1) | instskip(SKIP_1) | instid1(VALU_DEP_1)
	s_add_i32 s1, s2, s1
	s_mul_i32 s2, s15, s0
	v_mul_f32_e32 v2, v2, v3
	s_add_i32 s1, s1, s4
	s_mov_b32 s4, 0
	.p2align	6
.LBB65_24:                              ; =>This Inner Loop Header: Depth=1
	v_ashrrev_i32_e32 v4, 31, v0
	v_add_co_u32 v3, vcc_lo, s2, v0
	v_add_nc_u32_e32 v0, s3, v0
	s_delay_alu instid0(VALU_DEP_3) | instskip(NEXT) | instid1(VALU_DEP_2)
	v_add_co_ci_u32_e32 v4, vcc_lo, s1, v4, vcc_lo
	v_cmp_le_i32_e32 vcc_lo, s13, v0
	s_delay_alu instid0(VALU_DEP_2) | instskip(SKIP_1) | instid1(VALU_DEP_1)
	v_lshlrev_b64 v[3:4], 2, v[3:4]
	s_or_b32 s4, vcc_lo, s4
	v_add_co_u32 v5, s0, s8, v3
	s_delay_alu instid0(VALU_DEP_1) | instskip(SKIP_1) | instid1(VALU_DEP_1)
	v_add_co_ci_u32_e64 v6, s0, s9, v4, s0
	v_add_co_u32 v3, s0, s10, v3
	v_add_co_ci_u32_e64 v4, s0, s11, v4, s0
	global_store_b32 v[5:6], v2, off
	global_store_b32 v[3:4], v1, off
	s_and_not1_b32 exec_lo, exec_lo, s4
	s_cbranch_execnz .LBB65_24
.LBB65_25:
	s_nop 0
	s_sendmsg sendmsg(MSG_DEALLOC_VGPRS)
	s_endpgm
	.section	.rodata,"a",@progbits
	.p2align	6, 0x0
	.amdhsa_kernel _ZN5aiter20topk_softplus_kernelIf6__halfDv2_fLb1ELi0EEEvPKT_PKT0_PfPimiiif
		.amdhsa_group_segment_fixed_size 0
		.amdhsa_private_segment_fixed_size 0
		.amdhsa_kernarg_size 312
		.amdhsa_user_sgpr_count 15
		.amdhsa_user_sgpr_dispatch_ptr 0
		.amdhsa_user_sgpr_queue_ptr 0
		.amdhsa_user_sgpr_kernarg_segment_ptr 1
		.amdhsa_user_sgpr_dispatch_id 0
		.amdhsa_user_sgpr_private_segment_size 0
		.amdhsa_wavefront_size32 1
		.amdhsa_uses_dynamic_stack 0
		.amdhsa_enable_private_segment 0
		.amdhsa_system_sgpr_workgroup_id_x 1
		.amdhsa_system_sgpr_workgroup_id_y 0
		.amdhsa_system_sgpr_workgroup_id_z 0
		.amdhsa_system_sgpr_workgroup_info 0
		.amdhsa_system_vgpr_workitem_id 0
		.amdhsa_next_free_vgpr 15
		.amdhsa_next_free_sgpr 24
		.amdhsa_reserve_vcc 1
		.amdhsa_float_round_mode_32 0
		.amdhsa_float_round_mode_16_64 0
		.amdhsa_float_denorm_mode_32 3
		.amdhsa_float_denorm_mode_16_64 3
		.amdhsa_dx10_clamp 1
		.amdhsa_ieee_mode 1
		.amdhsa_fp16_overflow 0
		.amdhsa_workgroup_processor_mode 1
		.amdhsa_memory_ordered 1
		.amdhsa_forward_progress 0
		.amdhsa_shared_vgpr_count 0
		.amdhsa_exception_fp_ieee_invalid_op 0
		.amdhsa_exception_fp_denorm_src 0
		.amdhsa_exception_fp_ieee_div_zero 0
		.amdhsa_exception_fp_ieee_overflow 0
		.amdhsa_exception_fp_ieee_underflow 0
		.amdhsa_exception_fp_ieee_inexact 0
		.amdhsa_exception_int_div_zero 0
	.end_amdhsa_kernel
	.section	.text._ZN5aiter20topk_softplus_kernelIf6__halfDv2_fLb1ELi0EEEvPKT_PKT0_PfPimiiif,"axG",@progbits,_ZN5aiter20topk_softplus_kernelIf6__halfDv2_fLb1ELi0EEEvPKT_PKT0_PfPimiiif,comdat
.Lfunc_end65:
	.size	_ZN5aiter20topk_softplus_kernelIf6__halfDv2_fLb1ELi0EEEvPKT_PKT0_PfPimiiif, .Lfunc_end65-_ZN5aiter20topk_softplus_kernelIf6__halfDv2_fLb1ELi0EEEvPKT_PKT0_PfPimiiif
                                        ; -- End function
	.section	.AMDGPU.csdata,"",@progbits
; Kernel info:
; codeLenInByte = 2292
; NumSgprs: 26
; NumVgprs: 15
; ScratchSize: 0
; MemoryBound: 0
; FloatMode: 240
; IeeeMode: 1
; LDSByteSize: 0 bytes/workgroup (compile time only)
; SGPRBlocks: 3
; VGPRBlocks: 1
; NumSGPRsForWavesPerEU: 26
; NumVGPRsForWavesPerEU: 15
; Occupancy: 16
; WaveLimiterHint : 0
; COMPUTE_PGM_RSRC2:SCRATCH_EN: 0
; COMPUTE_PGM_RSRC2:USER_SGPR: 15
; COMPUTE_PGM_RSRC2:TRAP_HANDLER: 0
; COMPUTE_PGM_RSRC2:TGID_X_EN: 1
; COMPUTE_PGM_RSRC2:TGID_Y_EN: 0
; COMPUTE_PGM_RSRC2:TGID_Z_EN: 0
; COMPUTE_PGM_RSRC2:TIDIG_COMP_CNT: 0
	.section	.text._ZN5aiter20topk_softplus_kernelIf6__halfDv2_fLb0ELi0EEEvPKT_PKT0_PfPimiiif,"axG",@progbits,_ZN5aiter20topk_softplus_kernelIf6__halfDv2_fLb0ELi0EEEvPKT_PKT0_PfPimiiif,comdat
	.protected	_ZN5aiter20topk_softplus_kernelIf6__halfDv2_fLb0ELi0EEEvPKT_PKT0_PfPimiiif ; -- Begin function _ZN5aiter20topk_softplus_kernelIf6__halfDv2_fLb0ELi0EEEvPKT_PKT0_PfPimiiif
	.globl	_ZN5aiter20topk_softplus_kernelIf6__halfDv2_fLb0ELi0EEEvPKT_PKT0_PfPimiiif
	.p2align	8
	.type	_ZN5aiter20topk_softplus_kernelIf6__halfDv2_fLb0ELi0EEEvPKT_PKT0_PfPimiiif,@function
_ZN5aiter20topk_softplus_kernelIf6__halfDv2_fLb0ELi0EEEvPKT_PKT0_PfPimiiif: ; @_ZN5aiter20topk_softplus_kernelIf6__halfDv2_fLb0ELi0EEEvPKT_PKT0_PfPimiiif
; %bb.0:
	s_clause 0x1
	s_load_b64 s[12:13], s[0:1], 0x28
	s_load_b256 s[4:11], s[0:1], 0x0
	s_waitcnt lgkmcnt(0)
	s_lshr_b32 s2, s12, 31
	s_mul_i32 s16, s15, s12
	s_add_i32 s2, s12, s2
	s_ashr_i32 s17, s16, 31
	s_ashr_i32 s14, s2, 1
	s_delay_alu instid0(SALU_CYCLE_1) | instskip(NEXT) | instid1(VALU_DEP_1)
	v_cmp_gt_i32_e64 s2, s14, v0
	s_and_saveexec_b32 s18, s2
	s_cbranch_execz .LBB66_7
; %bb.1:
	s_load_b32 s3, s[0:1], 0x44
	v_lshlrev_b32_e32 v1, 2, v0
	s_cmp_lg_u64 s[6:7], 0
	v_dual_mov_b32 v8, v0 :: v_dual_lshlrev_b32 v3, 3, v0
	s_cselect_b32 s19, -1, 0
	s_delay_alu instid0(VALU_DEP_2) | instskip(SKIP_3) | instid1(VALU_DEP_3)
	v_add_co_u32 v1, s20, v1, s6
	s_lshl_b64 s[22:23], s[16:17], 2
	v_add_co_ci_u32_e64 v2, null, 0, s7, s20
	v_add_nc_u32_e32 v7, 0, v3
	v_add_co_u32 v1, vcc_lo, v1, 2
	s_delay_alu instid0(VALU_DEP_3)
	v_add_co_ci_u32_e32 v2, vcc_lo, 0, v2, vcc_lo
	s_waitcnt lgkmcnt(0)
	s_and_b32 s20, s3, 0xffff
	s_add_u32 s3, s4, s22
	s_addc_u32 s21, s5, s23
	v_add_co_u32 v3, s3, s3, v3
	s_delay_alu instid0(VALU_DEP_1)
	v_add_co_ci_u32_e64 v4, null, s21, 0, s3
	s_mov_b32 s21, 0
	s_lshl_b32 s22, s20, 3
	s_lshl_b32 s23, s20, 2
	s_branch .LBB66_3
.LBB66_2:                               ;   in Loop: Header=BB66_3 Depth=1
	v_add_nc_u32_e32 v8, s20, v8
	v_add_co_u32 v3, vcc_lo, v3, s22
	v_add_co_ci_u32_e32 v4, vcc_lo, 0, v4, vcc_lo
	s_delay_alu instid0(VALU_DEP_3)
	v_cmp_le_i32_e32 vcc_lo, s14, v8
	v_add_co_u32 v1, s3, v1, s23
	ds_store_b64 v7, v[5:6]
	v_add_co_ci_u32_e64 v2, s3, 0, v2, s3
	v_add_nc_u32_e32 v7, s22, v7
	s_or_b32 s21, vcc_lo, s21
	s_delay_alu instid0(SALU_CYCLE_1)
	s_and_not1_b32 exec_lo, exec_lo, s21
	s_cbranch_execz .LBB66_7
.LBB66_3:                               ; =>This Inner Loop Header: Depth=1
	global_load_b64 v[5:6], v[3:4], off
	s_waitcnt vmcnt(0)
	v_mul_f32_e32 v9, 0x3fb8aa3b, v5
	s_delay_alu instid0(VALU_DEP_1) | instskip(SKIP_2) | instid1(VALU_DEP_2)
	v_cmp_gt_f32_e32 vcc_lo, 0xc2fc0000, v9
	v_cndmask_b32_e64 v10, 0, 0x42800000, vcc_lo
	v_cndmask_b32_e64 v9, 1.0, 0x1f800000, vcc_lo
	v_fmac_f32_e32 v10, 0x3fb8aa3b, v5
	s_delay_alu instid0(VALU_DEP_1) | instskip(SKIP_2) | instid1(VALU_DEP_1)
	v_exp_f32_e32 v10, v10
	s_waitcnt_depctr 0xfff
	v_fma_f32 v9, v10, v9, 1.0
	v_cmp_gt_f32_e32 vcc_lo, 0x800000, v9
	v_cndmask_b32_e64 v10, 1.0, 0x4f800000, vcc_lo
	s_delay_alu instid0(VALU_DEP_1) | instskip(SKIP_2) | instid1(VALU_DEP_3)
	v_mul_f32_e32 v9, v9, v10
	v_cndmask_b32_e64 v10, 0, 0x42000000, vcc_lo
	v_cmp_lt_f32_e32 vcc_lo, 0x41a00000, v5
	v_log_f32_e32 v9, v9
	s_waitcnt_depctr 0xfff
	v_sub_f32_e32 v9, v9, v10
	s_delay_alu instid0(VALU_DEP_1) | instskip(NEXT) | instid1(VALU_DEP_1)
	v_mul_f32_e32 v9, 0x3f317218, v9
	v_cndmask_b32_e32 v5, v9, v5, vcc_lo
	s_delay_alu instid0(VALU_DEP_1) | instskip(SKIP_1) | instid1(VALU_DEP_2)
	v_mul_f32_e32 v9, 0x4f800000, v5
	v_cmp_gt_f32_e32 vcc_lo, 0xf800000, v5
	v_cndmask_b32_e32 v5, v5, v9, vcc_lo
	s_delay_alu instid0(VALU_DEP_1) | instskip(SKIP_3) | instid1(VALU_DEP_2)
	v_sqrt_f32_e32 v9, v5
	s_waitcnt_depctr 0xfff
	v_add_nc_u32_e32 v10, -1, v9
	v_add_nc_u32_e32 v11, 1, v9
	v_fma_f32 v12, -v10, v9, v5
	s_delay_alu instid0(VALU_DEP_2) | instskip(NEXT) | instid1(VALU_DEP_2)
	v_fma_f32 v13, -v11, v9, v5
	v_cmp_ge_f32_e64 s3, 0, v12
	s_delay_alu instid0(VALU_DEP_1) | instskip(NEXT) | instid1(VALU_DEP_3)
	v_cndmask_b32_e64 v9, v9, v10, s3
	v_cmp_lt_f32_e64 s3, 0, v13
	s_delay_alu instid0(VALU_DEP_1) | instskip(NEXT) | instid1(VALU_DEP_1)
	v_cndmask_b32_e64 v9, v9, v11, s3
	v_mul_f32_e32 v10, 0x37800000, v9
	s_delay_alu instid0(VALU_DEP_1) | instskip(SKIP_1) | instid1(VALU_DEP_2)
	v_cndmask_b32_e32 v9, v9, v10, vcc_lo
	v_cmp_class_f32_e64 vcc_lo, v5, 0x260
	v_cndmask_b32_e32 v5, v9, v5, vcc_lo
	s_and_not1_b32 vcc_lo, exec_lo, s19
	s_cbranch_vccnz .LBB66_5
; %bb.4:                                ;   in Loop: Header=BB66_3 Depth=1
	global_load_u16 v9, v[1:2], off offset:-2
	s_waitcnt vmcnt(0)
	v_cvt_f32_f16_e32 v9, v9
	s_delay_alu instid0(VALU_DEP_1)
	v_add_f32_e32 v5, v5, v9
.LBB66_5:                               ;   in Loop: Header=BB66_3 Depth=1
	v_mul_f32_e32 v9, 0x3fb8aa3b, v6
	s_delay_alu instid0(VALU_DEP_1) | instskip(SKIP_2) | instid1(VALU_DEP_2)
	v_cmp_gt_f32_e32 vcc_lo, 0xc2fc0000, v9
	v_cndmask_b32_e64 v10, 0, 0x42800000, vcc_lo
	v_cndmask_b32_e64 v9, 1.0, 0x1f800000, vcc_lo
	v_fmac_f32_e32 v10, 0x3fb8aa3b, v6
	s_delay_alu instid0(VALU_DEP_1) | instskip(SKIP_2) | instid1(VALU_DEP_1)
	v_exp_f32_e32 v10, v10
	s_waitcnt_depctr 0xfff
	v_fma_f32 v9, v10, v9, 1.0
	v_cmp_gt_f32_e32 vcc_lo, 0x800000, v9
	v_cndmask_b32_e64 v10, 1.0, 0x4f800000, vcc_lo
	s_delay_alu instid0(VALU_DEP_1) | instskip(SKIP_2) | instid1(VALU_DEP_3)
	v_mul_f32_e32 v9, v9, v10
	v_cndmask_b32_e64 v10, 0, 0x42000000, vcc_lo
	v_cmp_lt_f32_e32 vcc_lo, 0x41a00000, v6
	v_log_f32_e32 v9, v9
	s_waitcnt_depctr 0xfff
	v_sub_f32_e32 v9, v9, v10
	s_delay_alu instid0(VALU_DEP_1) | instskip(NEXT) | instid1(VALU_DEP_1)
	v_mul_f32_e32 v9, 0x3f317218, v9
	v_cndmask_b32_e32 v6, v9, v6, vcc_lo
	s_delay_alu instid0(VALU_DEP_1) | instskip(SKIP_1) | instid1(VALU_DEP_2)
	v_mul_f32_e32 v9, 0x4f800000, v6
	v_cmp_gt_f32_e32 vcc_lo, 0xf800000, v6
	v_cndmask_b32_e32 v6, v6, v9, vcc_lo
	s_delay_alu instid0(VALU_DEP_1) | instskip(SKIP_3) | instid1(VALU_DEP_2)
	v_sqrt_f32_e32 v9, v6
	s_waitcnt_depctr 0xfff
	v_add_nc_u32_e32 v10, -1, v9
	v_add_nc_u32_e32 v11, 1, v9
	v_fma_f32 v12, -v10, v9, v6
	s_delay_alu instid0(VALU_DEP_2) | instskip(NEXT) | instid1(VALU_DEP_2)
	v_fma_f32 v13, -v11, v9, v6
	v_cmp_ge_f32_e64 s3, 0, v12
	s_delay_alu instid0(VALU_DEP_1) | instskip(NEXT) | instid1(VALU_DEP_3)
	v_cndmask_b32_e64 v9, v9, v10, s3
	v_cmp_lt_f32_e64 s3, 0, v13
	s_delay_alu instid0(VALU_DEP_1) | instskip(NEXT) | instid1(VALU_DEP_1)
	v_cndmask_b32_e64 v9, v9, v11, s3
	v_mul_f32_e32 v10, 0x37800000, v9
	s_delay_alu instid0(VALU_DEP_1) | instskip(SKIP_1) | instid1(VALU_DEP_2)
	v_cndmask_b32_e32 v9, v9, v10, vcc_lo
	v_cmp_class_f32_e64 vcc_lo, v6, 0x260
	v_cndmask_b32_e32 v6, v9, v6, vcc_lo
	s_and_not1_b32 vcc_lo, exec_lo, s19
	s_cbranch_vccnz .LBB66_2
; %bb.6:                                ;   in Loop: Header=BB66_3 Depth=1
	global_load_u16 v9, v[1:2], off
	s_waitcnt vmcnt(0)
	v_cvt_f32_f16_e32 v9, v9
	s_delay_alu instid0(VALU_DEP_1)
	v_add_f32_e32 v6, v6, v9
	s_branch .LBB66_2
.LBB66_7:
	s_or_b32 exec_lo, exec_lo, s18
	v_lshl_add_u32 v1, s14, 1, v0
	s_mov_b32 s18, exec_lo
	s_delay_alu instid0(VALU_DEP_1)
	v_cmpx_gt_i32_e64 s12, v1
	s_cbranch_execz .LBB66_12
; %bb.8:
	s_load_b32 s3, s[0:1], 0x44
	s_lshl_b64 s[16:17], s[16:17], 2
	v_lshlrev_b32_e32 v2, 2, v0
	s_add_u32 s4, s4, s16
	s_addc_u32 s5, s5, s17
	s_cmp_lg_u64 s[6:7], 0
	s_mov_b32 s19, 0
	s_cselect_b32 s16, -1, 0
	s_lshl_b32 s17, s14, 3
	s_delay_alu instid0(SALU_CYCLE_1) | instskip(SKIP_2) | instid1(SALU_CYCLE_1)
	v_add3_u32 v3, 0, s17, v2
	s_waitcnt lgkmcnt(0)
	s_and_b32 s17, s3, 0xffff
	s_lshl_b32 s20, s17, 2
	s_branch .LBB66_10
.LBB66_9:                               ;   in Loop: Header=BB66_10 Depth=1
	v_add_nc_u32_e32 v1, s17, v1
	v_add_nc_u32_e32 v3, s20, v3
	s_delay_alu instid0(VALU_DEP_2) | instskip(SKIP_1) | instid1(SALU_CYCLE_1)
	v_cmp_le_i32_e32 vcc_lo, s12, v1
	s_or_b32 s19, vcc_lo, s19
	s_and_not1_b32 exec_lo, exec_lo, s19
	s_cbranch_execz .LBB66_12
.LBB66_10:                              ; =>This Inner Loop Header: Depth=1
	v_ashrrev_i32_e32 v2, 31, v1
	s_delay_alu instid0(VALU_DEP_1) | instskip(NEXT) | instid1(VALU_DEP_1)
	v_lshlrev_b64 v[4:5], 2, v[1:2]
	v_add_co_u32 v4, vcc_lo, s4, v4
	s_delay_alu instid0(VALU_DEP_2) | instskip(SKIP_3) | instid1(VALU_DEP_1)
	v_add_co_ci_u32_e32 v5, vcc_lo, s5, v5, vcc_lo
	global_load_b32 v4, v[4:5], off
	s_waitcnt vmcnt(0)
	v_mul_f32_e32 v5, 0x3fb8aa3b, v4
	v_cmp_gt_f32_e32 vcc_lo, 0xc2fc0000, v5
	v_cndmask_b32_e64 v5, 0, 0x42800000, vcc_lo
	v_cndmask_b32_e64 v6, 1.0, 0x1f800000, vcc_lo
	s_delay_alu instid0(VALU_DEP_2) | instskip(NEXT) | instid1(VALU_DEP_1)
	v_fmac_f32_e32 v5, 0x3fb8aa3b, v4
	v_exp_f32_e32 v5, v5
	s_waitcnt_depctr 0xfff
	v_fma_f32 v5, v5, v6, 1.0
	s_delay_alu instid0(VALU_DEP_1) | instskip(SKIP_1) | instid1(VALU_DEP_1)
	v_cmp_gt_f32_e32 vcc_lo, 0x800000, v5
	v_cndmask_b32_e64 v6, 1.0, 0x4f800000, vcc_lo
	v_mul_f32_e32 v5, v5, v6
	v_cndmask_b32_e64 v6, 0, 0x42000000, vcc_lo
	v_cmp_lt_f32_e32 vcc_lo, 0x41a00000, v4
	s_delay_alu instid0(VALU_DEP_3) | instskip(SKIP_2) | instid1(VALU_DEP_1)
	v_log_f32_e32 v5, v5
	s_waitcnt_depctr 0xfff
	v_sub_f32_e32 v5, v5, v6
	v_mul_f32_e32 v5, 0x3f317218, v5
	s_delay_alu instid0(VALU_DEP_1) | instskip(NEXT) | instid1(VALU_DEP_1)
	v_cndmask_b32_e32 v4, v5, v4, vcc_lo
	v_mul_f32_e32 v5, 0x4f800000, v4
	v_cmp_gt_f32_e32 vcc_lo, 0xf800000, v4
	s_delay_alu instid0(VALU_DEP_2) | instskip(NEXT) | instid1(VALU_DEP_1)
	v_cndmask_b32_e32 v4, v4, v5, vcc_lo
	v_sqrt_f32_e32 v5, v4
	s_waitcnt_depctr 0xfff
	v_add_nc_u32_e32 v6, -1, v5
	v_add_nc_u32_e32 v7, 1, v5
	s_delay_alu instid0(VALU_DEP_2) | instskip(NEXT) | instid1(VALU_DEP_2)
	v_fma_f32 v8, -v6, v5, v4
	v_fma_f32 v9, -v7, v5, v4
	s_delay_alu instid0(VALU_DEP_2) | instskip(NEXT) | instid1(VALU_DEP_1)
	v_cmp_ge_f32_e64 s3, 0, v8
	v_cndmask_b32_e64 v5, v5, v6, s3
	s_delay_alu instid0(VALU_DEP_3) | instskip(NEXT) | instid1(VALU_DEP_1)
	v_cmp_lt_f32_e64 s3, 0, v9
	v_cndmask_b32_e64 v5, v5, v7, s3
	s_delay_alu instid0(VALU_DEP_1) | instskip(NEXT) | instid1(VALU_DEP_1)
	v_mul_f32_e32 v6, 0x37800000, v5
	v_cndmask_b32_e32 v5, v5, v6, vcc_lo
	v_cmp_class_f32_e64 vcc_lo, v4, 0x260
	s_delay_alu instid0(VALU_DEP_2)
	v_cndmask_b32_e32 v4, v5, v4, vcc_lo
	s_and_not1_b32 vcc_lo, exec_lo, s16
	ds_store_b32 v3, v4
	s_cbranch_vccnz .LBB66_9
; %bb.11:                               ;   in Loop: Header=BB66_10 Depth=1
	v_lshlrev_b64 v[5:6], 1, v[1:2]
	s_delay_alu instid0(VALU_DEP_1) | instskip(NEXT) | instid1(VALU_DEP_2)
	v_add_co_u32 v5, vcc_lo, s6, v5
	v_add_co_ci_u32_e32 v6, vcc_lo, s7, v6, vcc_lo
	global_load_u16 v2, v[5:6], off
	s_waitcnt vmcnt(0)
	v_cvt_f32_f16_e32 v2, v2
	s_delay_alu instid0(VALU_DEP_1)
	v_add_f32_e32 v2, v4, v2
	ds_store_b32 v3, v2
	s_branch .LBB66_9
.LBB66_12:
	s_or_b32 exec_lo, exec_lo, s18
	s_cmp_lt_i32 s13, 1
	s_waitcnt lgkmcnt(0)
	s_barrier
	buffer_gl0_inv
	s_cbranch_scc1 .LBB66_21
; %bb.13:
	s_add_u32 s4, s0, 56
	s_addc_u32 s5, s1, 0
	v_dual_mov_b32 v6, 0xff800000 :: v_dual_lshlrev_b32 v3, 1, v0
	v_lshl_add_u32 v4, v0, 3, 0
	v_dual_mov_b32 v5, 0 :: v_dual_mov_b32 v2, 0
	v_mov_b32_e32 v1, 0
	s_cmp_lg_u64 s[6:7], 0
	s_mov_b32 s18, 0
	s_cselect_b32 s12, -1, 0
	s_mov_b32 s19, 0x76543210
	s_branch .LBB66_15
.LBB66_14:                              ;   in Loop: Header=BB66_15 Depth=1
	v_cmp_eq_u32_e32 vcc_lo, s18, v0
	s_delay_alu instid0(VALU_DEP_2)
	s_lshl_b32 s3, s16, 2
	s_add_i32 s18, s18, 1
	s_add_i32 s3, s3, 0
	s_cmp_eq_u32 s18, s13
	v_cndmask_b32_e64 v1, v1, s16, vcc_lo
	v_dual_mov_b32 v7, s3 :: v_dual_cndmask_b32 v2, v2, v9
	ds_store_b32 v7, v6
	s_cbranch_scc1 .LBB66_22
.LBB66_15:                              ; =>This Loop Header: Depth=1
                                        ;     Child Loop BB66_17 Depth 2
	v_dual_mov_b32 v7, s18 :: v_dual_mov_b32 v8, 0xff800000
	s_and_saveexec_b32 s16, s2
	s_cbranch_execz .LBB66_19
; %bb.16:                               ;   in Loop: Header=BB66_15 Depth=1
	s_load_b32 s3, s[4:5], 0xc
	v_dual_mov_b32 v7, s18 :: v_dual_mov_b32 v8, 0xff800000
	v_dual_mov_b32 v9, v4 :: v_dual_mov_b32 v10, v3
	v_mov_b32_e32 v11, v0
	s_mov_b32 s21, 0
	s_waitcnt lgkmcnt(0)
	s_and_b32 s17, s3, 0xffff
	s_delay_alu instid0(SALU_CYCLE_1)
	s_lshl_b32 s20, s17, 1
	s_lshl_b32 s22, s17, 3
	.p2align	6
.LBB66_17:                              ;   Parent Loop BB66_15 Depth=1
                                        ; =>  This Inner Loop Header: Depth=2
	ds_load_b64 v[12:13], v9
	v_add_nc_u32_e32 v9, s22, v9
	v_add_nc_u32_e32 v11, s17, v11
	s_delay_alu instid0(VALU_DEP_1) | instskip(NEXT) | instid1(VALU_DEP_1)
	v_cmp_le_i32_e64 s3, s14, v11
	s_or_b32 s21, s3, s21
	s_waitcnt lgkmcnt(0)
	v_cmp_gt_f32_e32 vcc_lo, v12, v8
	v_cndmask_b32_e32 v8, v8, v12, vcc_lo
	v_add_nc_u32_e32 v12, 1, v10
	v_cndmask_b32_e32 v7, v7, v10, vcc_lo
	s_delay_alu instid0(VALU_DEP_3) | instskip(SKIP_1) | instid1(VALU_DEP_3)
	v_cmp_gt_f32_e32 vcc_lo, v13, v8
	v_cndmask_b32_e32 v8, v8, v13, vcc_lo
	v_dual_cndmask_b32 v7, v7, v12 :: v_dual_add_nc_u32 v10, s20, v10
	s_and_not1_b32 exec_lo, exec_lo, s21
	s_cbranch_execnz .LBB66_17
; %bb.18:                               ;   in Loop: Header=BB66_15 Depth=1
	s_or_b32 exec_lo, exec_lo, s21
.LBB66_19:                              ;   in Loop: Header=BB66_15 Depth=1
	s_delay_alu instid0(SALU_CYCLE_1)
	s_or_b32 exec_lo, exec_lo, s16
	;;#ASMSTART
	v_max_f32 v9, v8, v8 quad_perm:[1,0,3,2] row_mask:0xf bank_mask:0xf bound_ctrl:1
	;;#ASMEND
	;;#ASMSTART
	v_max_f32 v10, v9, v9 quad_perm:[2,3,0,1] row_mask:0xf bank_mask:0xf bound_ctrl:1
	;;#ASMEND
	;;#ASMSTART
	v_max_f32 v9, v10, v10 row_half_mirror row_mask:0xf bank_mask:0xf bound_ctrl:1
	;;#ASMEND
	;;#ASMSTART
	v_max_f32 v10, v9, v9 row_mirror row_mask:0xf bank_mask:0xf bound_ctrl:1
	;;#ASMEND
	v_permlanex16_b32 v9, v10, s19, 0xfedcba98 op_sel:[1,1]
	s_delay_alu instid0(VALU_DEP_1) | instskip(NEXT) | instid1(VALU_DEP_1)
	v_dual_max_f32 v10, v10, v10 :: v_dual_max_f32 v9, v9, v9
	v_max_f32_e32 v9, v10, v9
	s_delay_alu instid0(VALU_DEP_1)
	v_cmp_eq_f32_e32 vcc_lo, v8, v9
	s_ctz_i32_b32 s3, vcc_lo
	s_cmp_lg_u32 vcc_lo, 0
	s_cselect_b32 s3, s3, 0
	s_and_b32 vcc_lo, exec_lo, s12
	v_readlane_b32 s16, v7, s3
	s_cbranch_vccz .LBB66_14
; %bb.20:                               ;   in Loop: Header=BB66_15 Depth=1
	s_delay_alu instid0(VALU_DEP_1) | instskip(NEXT) | instid1(SALU_CYCLE_1)
	s_ashr_i32 s17, s16, 31
	s_lshl_b64 s[20:21], s[16:17], 1
	s_delay_alu instid0(SALU_CYCLE_1) | instskip(SKIP_4) | instid1(VALU_DEP_1)
	s_add_u32 s20, s6, s20
	s_addc_u32 s21, s7, s21
	global_load_u16 v7, v5, s[20:21]
	s_waitcnt vmcnt(0)
	v_cvt_f32_f16_e32 v7, v7
	v_sub_f32_e32 v9, v9, v7
	s_branch .LBB66_14
.LBB66_21:
	v_dual_mov_b32 v2, 0 :: v_dual_mov_b32 v1, 0
.LBB66_22:
	s_mov_b32 s2, exec_lo
	v_cmpx_gt_i32_e64 s13, v0
	s_cbranch_execz .LBB66_25
; %bb.23:
	s_clause 0x2
	s_load_b32 s4, s[0:1], 0x34
	s_load_b64 s[2:3], s[0:1], 0x20
	s_load_b32 s0, s[0:1], 0x44
	s_ashr_i32 s1, s15, 31
	s_waitcnt lgkmcnt(0)
	v_mul_f32_e32 v2, s4, v2
	s_mul_i32 s3, s15, s3
	s_mul_hi_u32 s4, s15, s2
	s_mul_i32 s5, s1, s2
	s_add_i32 s3, s4, s3
	s_mul_i32 s1, s15, s2
	s_and_b32 s2, s0, 0xffff
	s_add_i32 s3, s3, s5
	s_mov_b32 s4, 0
	.p2align	6
.LBB66_24:                              ; =>This Inner Loop Header: Depth=1
	v_ashrrev_i32_e32 v4, 31, v0
	v_add_co_u32 v3, vcc_lo, s1, v0
	v_add_nc_u32_e32 v0, s2, v0
	s_delay_alu instid0(VALU_DEP_3) | instskip(NEXT) | instid1(VALU_DEP_2)
	v_add_co_ci_u32_e32 v4, vcc_lo, s3, v4, vcc_lo
	v_cmp_le_i32_e32 vcc_lo, s13, v0
	s_delay_alu instid0(VALU_DEP_2) | instskip(SKIP_1) | instid1(VALU_DEP_1)
	v_lshlrev_b64 v[3:4], 2, v[3:4]
	s_or_b32 s4, vcc_lo, s4
	v_add_co_u32 v5, s0, s8, v3
	s_delay_alu instid0(VALU_DEP_1) | instskip(SKIP_1) | instid1(VALU_DEP_1)
	v_add_co_ci_u32_e64 v6, s0, s9, v4, s0
	v_add_co_u32 v3, s0, s10, v3
	v_add_co_ci_u32_e64 v4, s0, s11, v4, s0
	global_store_b32 v[5:6], v2, off
	global_store_b32 v[3:4], v1, off
	s_and_not1_b32 exec_lo, exec_lo, s4
	s_cbranch_execnz .LBB66_24
.LBB66_25:
	s_nop 0
	s_sendmsg sendmsg(MSG_DEALLOC_VGPRS)
	s_endpgm
	.section	.rodata,"a",@progbits
	.p2align	6, 0x0
	.amdhsa_kernel _ZN5aiter20topk_softplus_kernelIf6__halfDv2_fLb0ELi0EEEvPKT_PKT0_PfPimiiif
		.amdhsa_group_segment_fixed_size 0
		.amdhsa_private_segment_fixed_size 0
		.amdhsa_kernarg_size 312
		.amdhsa_user_sgpr_count 15
		.amdhsa_user_sgpr_dispatch_ptr 0
		.amdhsa_user_sgpr_queue_ptr 0
		.amdhsa_user_sgpr_kernarg_segment_ptr 1
		.amdhsa_user_sgpr_dispatch_id 0
		.amdhsa_user_sgpr_private_segment_size 0
		.amdhsa_wavefront_size32 1
		.amdhsa_uses_dynamic_stack 0
		.amdhsa_enable_private_segment 0
		.amdhsa_system_sgpr_workgroup_id_x 1
		.amdhsa_system_sgpr_workgroup_id_y 0
		.amdhsa_system_sgpr_workgroup_id_z 0
		.amdhsa_system_sgpr_workgroup_info 0
		.amdhsa_system_vgpr_workitem_id 0
		.amdhsa_next_free_vgpr 14
		.amdhsa_next_free_sgpr 24
		.amdhsa_reserve_vcc 1
		.amdhsa_float_round_mode_32 0
		.amdhsa_float_round_mode_16_64 0
		.amdhsa_float_denorm_mode_32 3
		.amdhsa_float_denorm_mode_16_64 3
		.amdhsa_dx10_clamp 1
		.amdhsa_ieee_mode 1
		.amdhsa_fp16_overflow 0
		.amdhsa_workgroup_processor_mode 1
		.amdhsa_memory_ordered 1
		.amdhsa_forward_progress 0
		.amdhsa_shared_vgpr_count 0
		.amdhsa_exception_fp_ieee_invalid_op 0
		.amdhsa_exception_fp_denorm_src 0
		.amdhsa_exception_fp_ieee_div_zero 0
		.amdhsa_exception_fp_ieee_overflow 0
		.amdhsa_exception_fp_ieee_underflow 0
		.amdhsa_exception_fp_ieee_inexact 0
		.amdhsa_exception_int_div_zero 0
	.end_amdhsa_kernel
	.section	.text._ZN5aiter20topk_softplus_kernelIf6__halfDv2_fLb0ELi0EEEvPKT_PKT0_PfPimiiif,"axG",@progbits,_ZN5aiter20topk_softplus_kernelIf6__halfDv2_fLb0ELi0EEEvPKT_PKT0_PfPimiiif,comdat
.Lfunc_end66:
	.size	_ZN5aiter20topk_softplus_kernelIf6__halfDv2_fLb0ELi0EEEvPKT_PKT0_PfPimiiif, .Lfunc_end66-_ZN5aiter20topk_softplus_kernelIf6__halfDv2_fLb0ELi0EEEvPKT_PKT0_PfPimiiif
                                        ; -- End function
	.section	.AMDGPU.csdata,"",@progbits
; Kernel info:
; codeLenInByte = 2168
; NumSgprs: 26
; NumVgprs: 14
; ScratchSize: 0
; MemoryBound: 0
; FloatMode: 240
; IeeeMode: 1
; LDSByteSize: 0 bytes/workgroup (compile time only)
; SGPRBlocks: 3
; VGPRBlocks: 1
; NumSGPRsForWavesPerEU: 26
; NumVGPRsForWavesPerEU: 14
; Occupancy: 16
; WaveLimiterHint : 0
; COMPUTE_PGM_RSRC2:SCRATCH_EN: 0
; COMPUTE_PGM_RSRC2:USER_SGPR: 15
; COMPUTE_PGM_RSRC2:TRAP_HANDLER: 0
; COMPUTE_PGM_RSRC2:TGID_X_EN: 1
; COMPUTE_PGM_RSRC2:TGID_Y_EN: 0
; COMPUTE_PGM_RSRC2:TGID_Z_EN: 0
; COMPUTE_PGM_RSRC2:TIDIG_COMP_CNT: 0
	.section	.text._ZN5aiter20topk_softplus_kernelIf6__halfDv1_fLb1ELi0EEEvPKT_PKT0_PfPimiiif,"axG",@progbits,_ZN5aiter20topk_softplus_kernelIf6__halfDv1_fLb1ELi0EEEvPKT_PKT0_PfPimiiif,comdat
	.protected	_ZN5aiter20topk_softplus_kernelIf6__halfDv1_fLb1ELi0EEEvPKT_PKT0_PfPimiiif ; -- Begin function _ZN5aiter20topk_softplus_kernelIf6__halfDv1_fLb1ELi0EEEvPKT_PKT0_PfPimiiif
	.globl	_ZN5aiter20topk_softplus_kernelIf6__halfDv1_fLb1ELi0EEEvPKT_PKT0_PfPimiiif
	.p2align	8
	.type	_ZN5aiter20topk_softplus_kernelIf6__halfDv1_fLb1ELi0EEEvPKT_PKT0_PfPimiiif,@function
_ZN5aiter20topk_softplus_kernelIf6__halfDv1_fLb1ELi0EEEvPKT_PKT0_PfPimiiif: ; @_ZN5aiter20topk_softplus_kernelIf6__halfDv1_fLb1ELi0EEEvPKT_PKT0_PfPimiiif
; %bb.0:
	s_clause 0x1
	s_load_b64 s[12:13], s[0:1], 0x28
	s_load_b256 s[4:11], s[0:1], 0x0
	v_lshl_add_u32 v3, v0, 2, 0
	s_waitcnt lgkmcnt(0)
	s_mul_i32 s16, s15, s12
	v_cmp_gt_i32_e64 s2, s12, v0
	s_ashr_i32 s17, s16, 31
	s_delay_alu instid0(SALU_CYCLE_1) | instskip(NEXT) | instid1(SALU_CYCLE_1)
	s_lshl_b64 s[16:17], s[16:17], 2
	s_add_u32 s4, s4, s16
	s_addc_u32 s5, s5, s17
	s_and_saveexec_b32 s14, s2
	s_cbranch_execz .LBB67_5
; %bb.1:
	s_load_b32 s3, s[0:1], 0x44
	s_cmp_lg_u64 s[6:7], 0
	v_lshl_add_u32 v4, v0, 2, 0
	v_mov_b32_e32 v1, v0
	s_cselect_b32 s16, -1, 0
	s_mov_b32 s18, 0
	s_waitcnt lgkmcnt(0)
	s_and_b32 s17, s3, 0xffff
	s_delay_alu instid0(SALU_CYCLE_1)
	s_lshl_b32 s19, s17, 2
	s_branch .LBB67_3
.LBB67_2:                               ;   in Loop: Header=BB67_3 Depth=1
	v_add_nc_u32_e32 v1, s17, v1
	ds_store_b32 v4, v5
	v_add_nc_u32_e32 v4, s19, v4
	v_cmp_le_i32_e32 vcc_lo, s12, v1
	s_or_b32 s18, vcc_lo, s18
	s_delay_alu instid0(SALU_CYCLE_1)
	s_and_not1_b32 exec_lo, exec_lo, s18
	s_cbranch_execz .LBB67_5
.LBB67_3:                               ; =>This Inner Loop Header: Depth=1
	v_ashrrev_i32_e32 v2, 31, v1
	s_delay_alu instid0(VALU_DEP_1) | instskip(NEXT) | instid1(VALU_DEP_1)
	v_lshlrev_b64 v[5:6], 2, v[1:2]
	v_add_co_u32 v5, vcc_lo, s4, v5
	s_delay_alu instid0(VALU_DEP_2) | instskip(SKIP_3) | instid1(VALU_DEP_1)
	v_add_co_ci_u32_e32 v6, vcc_lo, s5, v6, vcc_lo
	global_load_b32 v5, v[5:6], off
	s_waitcnt vmcnt(0)
	v_mul_f32_e32 v6, 0x3fb8aa3b, v5
	v_cmp_gt_f32_e32 vcc_lo, 0xc2fc0000, v6
	v_cndmask_b32_e64 v6, 0, 0x42800000, vcc_lo
	v_cndmask_b32_e64 v7, 1.0, 0x1f800000, vcc_lo
	s_delay_alu instid0(VALU_DEP_2) | instskip(NEXT) | instid1(VALU_DEP_1)
	v_fmac_f32_e32 v6, 0x3fb8aa3b, v5
	v_exp_f32_e32 v6, v6
	s_waitcnt_depctr 0xfff
	v_fma_f32 v6, v6, v7, 1.0
	s_delay_alu instid0(VALU_DEP_1) | instskip(SKIP_1) | instid1(VALU_DEP_1)
	v_cmp_gt_f32_e32 vcc_lo, 0x800000, v6
	v_cndmask_b32_e64 v7, 1.0, 0x4f800000, vcc_lo
	v_mul_f32_e32 v6, v6, v7
	v_cndmask_b32_e64 v7, 0, 0x42000000, vcc_lo
	v_cmp_lt_f32_e32 vcc_lo, 0x41a00000, v5
	s_delay_alu instid0(VALU_DEP_3) | instskip(SKIP_2) | instid1(VALU_DEP_1)
	v_log_f32_e32 v6, v6
	s_waitcnt_depctr 0xfff
	v_sub_f32_e32 v6, v6, v7
	v_mul_f32_e32 v6, 0x3f317218, v6
	s_delay_alu instid0(VALU_DEP_1) | instskip(NEXT) | instid1(VALU_DEP_1)
	v_cndmask_b32_e32 v5, v6, v5, vcc_lo
	v_mul_f32_e32 v6, 0x4f800000, v5
	v_cmp_gt_f32_e32 vcc_lo, 0xf800000, v5
	s_delay_alu instid0(VALU_DEP_2) | instskip(NEXT) | instid1(VALU_DEP_1)
	v_cndmask_b32_e32 v5, v5, v6, vcc_lo
	v_sqrt_f32_e32 v6, v5
	s_waitcnt_depctr 0xfff
	v_add_nc_u32_e32 v7, -1, v6
	v_add_nc_u32_e32 v8, 1, v6
	s_delay_alu instid0(VALU_DEP_2) | instskip(NEXT) | instid1(VALU_DEP_2)
	v_fma_f32 v9, -v7, v6, v5
	v_fma_f32 v10, -v8, v6, v5
	s_delay_alu instid0(VALU_DEP_2) | instskip(NEXT) | instid1(VALU_DEP_1)
	v_cmp_ge_f32_e64 s3, 0, v9
	v_cndmask_b32_e64 v6, v6, v7, s3
	s_delay_alu instid0(VALU_DEP_3) | instskip(NEXT) | instid1(VALU_DEP_1)
	v_cmp_lt_f32_e64 s3, 0, v10
	v_cndmask_b32_e64 v6, v6, v8, s3
	s_delay_alu instid0(VALU_DEP_1) | instskip(NEXT) | instid1(VALU_DEP_1)
	v_mul_f32_e32 v7, 0x37800000, v6
	v_cndmask_b32_e32 v6, v6, v7, vcc_lo
	v_cmp_class_f32_e64 vcc_lo, v5, 0x260
	s_delay_alu instid0(VALU_DEP_2)
	v_cndmask_b32_e32 v5, v6, v5, vcc_lo
	s_and_not1_b32 vcc_lo, exec_lo, s16
	s_cbranch_vccnz .LBB67_2
; %bb.4:                                ;   in Loop: Header=BB67_3 Depth=1
	v_lshlrev_b64 v[6:7], 1, v[1:2]
	s_delay_alu instid0(VALU_DEP_1) | instskip(NEXT) | instid1(VALU_DEP_2)
	v_add_co_u32 v6, vcc_lo, s6, v6
	v_add_co_ci_u32_e32 v7, vcc_lo, s7, v7, vcc_lo
	global_load_u16 v2, v[6:7], off
	s_waitcnt vmcnt(0)
	v_cvt_f32_f16_e32 v2, v2
	s_delay_alu instid0(VALU_DEP_1)
	v_add_f32_e32 v5, v5, v2
	s_branch .LBB67_2
.LBB67_5:
	s_or_b32 exec_lo, exec_lo, s14
	v_add_nc_u32_e32 v1, s12, v0
	s_mov_b32 s14, exec_lo
	s_delay_alu instid0(VALU_DEP_1)
	v_cmpx_gt_i32_e64 s12, v1
	s_cbranch_execz .LBB67_10
; %bb.6:
	s_load_b32 s3, s[0:1], 0x44
	s_cmp_lg_u64 s[6:7], 0
	v_lshl_add_u32 v4, v1, 2, 0
	s_cselect_b32 s16, -1, 0
	s_mov_b32 s18, 0
	s_waitcnt lgkmcnt(0)
	s_and_b32 s17, s3, 0xffff
	s_delay_alu instid0(SALU_CYCLE_1)
	s_lshl_b32 s19, s17, 2
	s_branch .LBB67_8
.LBB67_7:                               ;   in Loop: Header=BB67_8 Depth=1
	v_add_nc_u32_e32 v1, s17, v1
	v_add_nc_u32_e32 v4, s19, v4
	s_delay_alu instid0(VALU_DEP_2) | instskip(SKIP_1) | instid1(SALU_CYCLE_1)
	v_cmp_le_i32_e32 vcc_lo, s12, v1
	s_or_b32 s18, vcc_lo, s18
	s_and_not1_b32 exec_lo, exec_lo, s18
	s_cbranch_execz .LBB67_10
.LBB67_8:                               ; =>This Inner Loop Header: Depth=1
	v_ashrrev_i32_e32 v2, 31, v1
	s_delay_alu instid0(VALU_DEP_1) | instskip(NEXT) | instid1(VALU_DEP_1)
	v_lshlrev_b64 v[5:6], 2, v[1:2]
	v_add_co_u32 v5, vcc_lo, s4, v5
	s_delay_alu instid0(VALU_DEP_2) | instskip(SKIP_3) | instid1(VALU_DEP_1)
	v_add_co_ci_u32_e32 v6, vcc_lo, s5, v6, vcc_lo
	global_load_b32 v5, v[5:6], off
	s_waitcnt vmcnt(0)
	v_mul_f32_e32 v6, 0x3fb8aa3b, v5
	v_cmp_gt_f32_e32 vcc_lo, 0xc2fc0000, v6
	v_cndmask_b32_e64 v6, 0, 0x42800000, vcc_lo
	v_cndmask_b32_e64 v7, 1.0, 0x1f800000, vcc_lo
	s_delay_alu instid0(VALU_DEP_2) | instskip(NEXT) | instid1(VALU_DEP_1)
	v_fmac_f32_e32 v6, 0x3fb8aa3b, v5
	v_exp_f32_e32 v6, v6
	s_waitcnt_depctr 0xfff
	v_fma_f32 v6, v6, v7, 1.0
	s_delay_alu instid0(VALU_DEP_1) | instskip(SKIP_1) | instid1(VALU_DEP_1)
	v_cmp_gt_f32_e32 vcc_lo, 0x800000, v6
	v_cndmask_b32_e64 v7, 1.0, 0x4f800000, vcc_lo
	v_mul_f32_e32 v6, v6, v7
	v_cndmask_b32_e64 v7, 0, 0x42000000, vcc_lo
	v_cmp_lt_f32_e32 vcc_lo, 0x41a00000, v5
	s_delay_alu instid0(VALU_DEP_3) | instskip(SKIP_2) | instid1(VALU_DEP_1)
	v_log_f32_e32 v6, v6
	s_waitcnt_depctr 0xfff
	v_sub_f32_e32 v6, v6, v7
	v_mul_f32_e32 v6, 0x3f317218, v6
	s_delay_alu instid0(VALU_DEP_1) | instskip(NEXT) | instid1(VALU_DEP_1)
	v_cndmask_b32_e32 v5, v6, v5, vcc_lo
	v_mul_f32_e32 v6, 0x4f800000, v5
	v_cmp_gt_f32_e32 vcc_lo, 0xf800000, v5
	s_delay_alu instid0(VALU_DEP_2) | instskip(NEXT) | instid1(VALU_DEP_1)
	v_cndmask_b32_e32 v5, v5, v6, vcc_lo
	v_sqrt_f32_e32 v6, v5
	s_waitcnt_depctr 0xfff
	v_add_nc_u32_e32 v7, -1, v6
	v_add_nc_u32_e32 v8, 1, v6
	s_delay_alu instid0(VALU_DEP_2) | instskip(NEXT) | instid1(VALU_DEP_2)
	v_fma_f32 v9, -v7, v6, v5
	v_fma_f32 v10, -v8, v6, v5
	s_delay_alu instid0(VALU_DEP_2) | instskip(NEXT) | instid1(VALU_DEP_1)
	v_cmp_ge_f32_e64 s3, 0, v9
	v_cndmask_b32_e64 v6, v6, v7, s3
	s_delay_alu instid0(VALU_DEP_3) | instskip(NEXT) | instid1(VALU_DEP_1)
	v_cmp_lt_f32_e64 s3, 0, v10
	v_cndmask_b32_e64 v6, v6, v8, s3
	s_delay_alu instid0(VALU_DEP_1) | instskip(NEXT) | instid1(VALU_DEP_1)
	v_mul_f32_e32 v7, 0x37800000, v6
	v_cndmask_b32_e32 v6, v6, v7, vcc_lo
	v_cmp_class_f32_e64 vcc_lo, v5, 0x260
	s_delay_alu instid0(VALU_DEP_2)
	v_cndmask_b32_e32 v5, v6, v5, vcc_lo
	s_and_not1_b32 vcc_lo, exec_lo, s16
	ds_store_b32 v4, v5
	s_cbranch_vccnz .LBB67_7
; %bb.9:                                ;   in Loop: Header=BB67_8 Depth=1
	v_lshlrev_b64 v[6:7], 1, v[1:2]
	s_delay_alu instid0(VALU_DEP_1) | instskip(NEXT) | instid1(VALU_DEP_2)
	v_add_co_u32 v6, vcc_lo, s6, v6
	v_add_co_ci_u32_e32 v7, vcc_lo, s7, v7, vcc_lo
	global_load_u16 v2, v[6:7], off
	s_waitcnt vmcnt(0)
	v_cvt_f32_f16_e32 v2, v2
	s_delay_alu instid0(VALU_DEP_1)
	v_add_f32_e32 v2, v5, v2
	ds_store_b32 v4, v2
	s_branch .LBB67_7
.LBB67_10:
	s_or_b32 exec_lo, exec_lo, s14
	v_mov_b32_e32 v2, 0
	s_cmp_lt_i32 s13, 1
	s_waitcnt lgkmcnt(0)
	s_barrier
	buffer_gl0_inv
	s_cbranch_scc1 .LBB67_19
; %bb.11:
	s_add_u32 s4, s0, 56
	s_addc_u32 s5, s1, 0
	v_dual_mov_b32 v2, 0 :: v_dual_mov_b32 v5, 0
	v_dual_mov_b32 v6, 0xff800000 :: v_dual_mov_b32 v1, 0
	v_mov_b32_e32 v4, 0
	s_cmp_lg_u64 s[6:7], 0
	s_mov_b32 s14, 0
	s_cselect_b32 s3, -1, 0
	s_mov_b32 s18, 0x76543210
	s_branch .LBB67_13
.LBB67_12:                              ;   in Loop: Header=BB67_13 Depth=1
	v_cmp_eq_u32_e32 vcc_lo, s14, v0
	s_delay_alu instid0(VALU_DEP_2) | instskip(NEXT) | instid1(VALU_DEP_2)
	s_lshl_b32 s17, s16, 2
	v_add_f32_e32 v4, v4, v9
	s_add_i32 s17, s17, 0
	s_add_i32 s14, s14, 1
	v_cndmask_b32_e64 v1, v1, s16, vcc_lo
	v_dual_mov_b32 v7, s17 :: v_dual_cndmask_b32 v2, v2, v9
	s_cmp_eq_u32 s14, s13
	ds_store_b32 v7, v6
	s_cbranch_scc1 .LBB67_20
.LBB67_13:                              ; =>This Loop Header: Depth=1
                                        ;     Child Loop BB67_15 Depth 2
	v_dual_mov_b32 v7, s14 :: v_dual_mov_b32 v8, 0xff800000
	s_and_saveexec_b32 s16, s2
	s_cbranch_execz .LBB67_17
; %bb.14:                               ;   in Loop: Header=BB67_13 Depth=1
	s_load_b32 s17, s[4:5], 0xc
	v_dual_mov_b32 v7, s14 :: v_dual_mov_b32 v8, 0xff800000
	v_dual_mov_b32 v9, v3 :: v_dual_mov_b32 v10, v0
	s_mov_b32 s19, 0
	s_waitcnt lgkmcnt(0)
	s_and_b32 s17, s17, 0xffff
	s_delay_alu instid0(SALU_CYCLE_1)
	s_lshl_b32 s20, s17, 2
.LBB67_15:                              ;   Parent Loop BB67_13 Depth=1
                                        ; =>  This Inner Loop Header: Depth=2
	ds_load_b32 v11, v9
	v_add_nc_u32_e32 v9, s20, v9
	s_waitcnt lgkmcnt(0)
	v_cmp_gt_f32_e32 vcc_lo, v11, v8
	v_dual_cndmask_b32 v8, v8, v11 :: v_dual_cndmask_b32 v7, v7, v10
	v_add_nc_u32_e32 v10, s17, v10
	s_delay_alu instid0(VALU_DEP_1) | instskip(SKIP_1) | instid1(SALU_CYCLE_1)
	v_cmp_le_i32_e32 vcc_lo, s12, v10
	s_or_b32 s19, vcc_lo, s19
	s_and_not1_b32 exec_lo, exec_lo, s19
	s_cbranch_execnz .LBB67_15
; %bb.16:                               ;   in Loop: Header=BB67_13 Depth=1
	s_or_b32 exec_lo, exec_lo, s19
.LBB67_17:                              ;   in Loop: Header=BB67_13 Depth=1
	s_delay_alu instid0(SALU_CYCLE_1)
	s_or_b32 exec_lo, exec_lo, s16
	;;#ASMSTART
	v_max_f32 v9, v8, v8 quad_perm:[1,0,3,2] row_mask:0xf bank_mask:0xf bound_ctrl:1
	;;#ASMEND
	;;#ASMSTART
	v_max_f32 v10, v9, v9 quad_perm:[2,3,0,1] row_mask:0xf bank_mask:0xf bound_ctrl:1
	;;#ASMEND
	;;#ASMSTART
	v_max_f32 v9, v10, v10 row_half_mirror row_mask:0xf bank_mask:0xf bound_ctrl:1
	;;#ASMEND
	;;#ASMSTART
	v_max_f32 v10, v9, v9 row_mirror row_mask:0xf bank_mask:0xf bound_ctrl:1
	;;#ASMEND
	v_permlanex16_b32 v9, v10, s18, 0xfedcba98 op_sel:[1,1]
	s_delay_alu instid0(VALU_DEP_1) | instskip(NEXT) | instid1(VALU_DEP_1)
	v_dual_max_f32 v10, v10, v10 :: v_dual_max_f32 v9, v9, v9
	v_max_f32_e32 v9, v10, v9
	s_delay_alu instid0(VALU_DEP_1)
	v_cmp_eq_f32_e32 vcc_lo, v8, v9
	s_ctz_i32_b32 s16, vcc_lo
	s_cmp_lg_u32 vcc_lo, 0
	s_cselect_b32 s16, s16, 0
	s_and_b32 vcc_lo, exec_lo, s3
	v_readlane_b32 s16, v7, s16
	s_cbranch_vccz .LBB67_12
; %bb.18:                               ;   in Loop: Header=BB67_13 Depth=1
	s_delay_alu instid0(VALU_DEP_1) | instskip(NEXT) | instid1(SALU_CYCLE_1)
	s_ashr_i32 s17, s16, 31
	s_lshl_b64 s[20:21], s[16:17], 1
	s_delay_alu instid0(SALU_CYCLE_1) | instskip(SKIP_4) | instid1(VALU_DEP_1)
	s_add_u32 s20, s6, s20
	s_addc_u32 s21, s7, s21
	global_load_u16 v7, v5, s[20:21]
	s_waitcnt vmcnt(0)
	v_cvt_f32_f16_e32 v7, v7
	v_sub_f32_e32 v9, v9, v7
	s_branch .LBB67_12
.LBB67_19:
	v_dual_mov_b32 v1, 0 :: v_dual_mov_b32 v4, 0
.LBB67_20:
	s_mov_b32 s2, exec_lo
	v_cmpx_gt_i32_e64 s13, v0
	s_cbranch_execz .LBB67_23
; %bb.21:
	s_clause 0x1
	s_load_b32 s2, s[0:1], 0x34
	s_load_b32 s3, s[0:1], 0x44
	v_max_f32_e32 v3, v4, v4
	s_load_b64 s[0:1], s[0:1], 0x20
	s_ashr_i32 s4, s15, 31
	s_delay_alu instid0(VALU_DEP_1) | instskip(SKIP_1) | instid1(VALU_DEP_1)
	v_max_f32_e32 v3, 0x1e3ce508, v3
	s_waitcnt lgkmcnt(0)
	v_div_scale_f32 v4, null, v3, v3, s2
	v_div_scale_f32 v7, vcc_lo, s2, v3, s2
	s_mul_i32 s1, s15, s1
	s_delay_alu instid0(VALU_DEP_2) | instskip(SKIP_4) | instid1(VALU_DEP_1)
	v_rcp_f32_e32 v5, v4
	s_mul_i32 s4, s4, s0
	s_and_b32 s3, s3, 0xffff
	s_waitcnt_depctr 0xfff
	v_fma_f32 v6, -v4, v5, 1.0
	v_fmac_f32_e32 v5, v6, v5
	s_delay_alu instid0(VALU_DEP_1) | instskip(NEXT) | instid1(VALU_DEP_1)
	v_mul_f32_e32 v6, v7, v5
	v_fma_f32 v8, -v4, v6, v7
	s_delay_alu instid0(VALU_DEP_1) | instskip(NEXT) | instid1(VALU_DEP_1)
	v_fmac_f32_e32 v6, v8, v5
	v_fma_f32 v4, -v4, v6, v7
	s_delay_alu instid0(VALU_DEP_1) | instskip(NEXT) | instid1(VALU_DEP_1)
	v_div_fmas_f32 v4, v4, v5, v6
	v_div_fixup_f32 v3, v4, v3, s2
	s_mul_hi_u32 s2, s15, s0
	s_delay_alu instid0(SALU_CYCLE_1) | instskip(SKIP_1) | instid1(VALU_DEP_1)
	s_add_i32 s1, s2, s1
	s_mul_i32 s2, s15, s0
	v_mul_f32_e32 v2, v2, v3
	s_add_i32 s1, s1, s4
	s_mov_b32 s4, 0
	.p2align	6
.LBB67_22:                              ; =>This Inner Loop Header: Depth=1
	v_ashrrev_i32_e32 v4, 31, v0
	v_add_co_u32 v3, vcc_lo, s2, v0
	v_add_nc_u32_e32 v0, s3, v0
	s_delay_alu instid0(VALU_DEP_3) | instskip(NEXT) | instid1(VALU_DEP_2)
	v_add_co_ci_u32_e32 v4, vcc_lo, s1, v4, vcc_lo
	v_cmp_le_i32_e32 vcc_lo, s13, v0
	s_delay_alu instid0(VALU_DEP_2) | instskip(SKIP_1) | instid1(VALU_DEP_1)
	v_lshlrev_b64 v[3:4], 2, v[3:4]
	s_or_b32 s4, vcc_lo, s4
	v_add_co_u32 v5, s0, s8, v3
	s_delay_alu instid0(VALU_DEP_1) | instskip(SKIP_1) | instid1(VALU_DEP_1)
	v_add_co_ci_u32_e64 v6, s0, s9, v4, s0
	v_add_co_u32 v3, s0, s10, v3
	v_add_co_ci_u32_e64 v4, s0, s11, v4, s0
	global_store_b32 v[5:6], v2, off
	global_store_b32 v[3:4], v1, off
	s_and_not1_b32 exec_lo, exec_lo, s4
	s_cbranch_execnz .LBB67_22
.LBB67_23:
	s_nop 0
	s_sendmsg sendmsg(MSG_DEALLOC_VGPRS)
	s_endpgm
	.section	.rodata,"a",@progbits
	.p2align	6, 0x0
	.amdhsa_kernel _ZN5aiter20topk_softplus_kernelIf6__halfDv1_fLb1ELi0EEEvPKT_PKT0_PfPimiiif
		.amdhsa_group_segment_fixed_size 0
		.amdhsa_private_segment_fixed_size 0
		.amdhsa_kernarg_size 312
		.amdhsa_user_sgpr_count 15
		.amdhsa_user_sgpr_dispatch_ptr 0
		.amdhsa_user_sgpr_queue_ptr 0
		.amdhsa_user_sgpr_kernarg_segment_ptr 1
		.amdhsa_user_sgpr_dispatch_id 0
		.amdhsa_user_sgpr_private_segment_size 0
		.amdhsa_wavefront_size32 1
		.amdhsa_uses_dynamic_stack 0
		.amdhsa_enable_private_segment 0
		.amdhsa_system_sgpr_workgroup_id_x 1
		.amdhsa_system_sgpr_workgroup_id_y 0
		.amdhsa_system_sgpr_workgroup_id_z 0
		.amdhsa_system_sgpr_workgroup_info 0
		.amdhsa_system_vgpr_workitem_id 0
		.amdhsa_next_free_vgpr 12
		.amdhsa_next_free_sgpr 22
		.amdhsa_reserve_vcc 1
		.amdhsa_float_round_mode_32 0
		.amdhsa_float_round_mode_16_64 0
		.amdhsa_float_denorm_mode_32 3
		.amdhsa_float_denorm_mode_16_64 3
		.amdhsa_dx10_clamp 1
		.amdhsa_ieee_mode 1
		.amdhsa_fp16_overflow 0
		.amdhsa_workgroup_processor_mode 1
		.amdhsa_memory_ordered 1
		.amdhsa_forward_progress 0
		.amdhsa_shared_vgpr_count 0
		.amdhsa_exception_fp_ieee_invalid_op 0
		.amdhsa_exception_fp_denorm_src 0
		.amdhsa_exception_fp_ieee_div_zero 0
		.amdhsa_exception_fp_ieee_overflow 0
		.amdhsa_exception_fp_ieee_underflow 0
		.amdhsa_exception_fp_ieee_inexact 0
		.amdhsa_exception_int_div_zero 0
	.end_amdhsa_kernel
	.section	.text._ZN5aiter20topk_softplus_kernelIf6__halfDv1_fLb1ELi0EEEvPKT_PKT0_PfPimiiif,"axG",@progbits,_ZN5aiter20topk_softplus_kernelIf6__halfDv1_fLb1ELi0EEEvPKT_PKT0_PfPimiiif,comdat
.Lfunc_end67:
	.size	_ZN5aiter20topk_softplus_kernelIf6__halfDv1_fLb1ELi0EEEvPKT_PKT0_PfPimiiif, .Lfunc_end67-_ZN5aiter20topk_softplus_kernelIf6__halfDv1_fLb1ELi0EEEvPKT_PKT0_PfPimiiif
                                        ; -- End function
	.section	.AMDGPU.csdata,"",@progbits
; Kernel info:
; codeLenInByte = 1864
; NumSgprs: 24
; NumVgprs: 12
; ScratchSize: 0
; MemoryBound: 0
; FloatMode: 240
; IeeeMode: 1
; LDSByteSize: 0 bytes/workgroup (compile time only)
; SGPRBlocks: 2
; VGPRBlocks: 1
; NumSGPRsForWavesPerEU: 24
; NumVGPRsForWavesPerEU: 12
; Occupancy: 16
; WaveLimiterHint : 0
; COMPUTE_PGM_RSRC2:SCRATCH_EN: 0
; COMPUTE_PGM_RSRC2:USER_SGPR: 15
; COMPUTE_PGM_RSRC2:TRAP_HANDLER: 0
; COMPUTE_PGM_RSRC2:TGID_X_EN: 1
; COMPUTE_PGM_RSRC2:TGID_Y_EN: 0
; COMPUTE_PGM_RSRC2:TGID_Z_EN: 0
; COMPUTE_PGM_RSRC2:TIDIG_COMP_CNT: 0
	.section	.text._ZN5aiter20topk_softplus_kernelIf6__halfDv1_fLb0ELi0EEEvPKT_PKT0_PfPimiiif,"axG",@progbits,_ZN5aiter20topk_softplus_kernelIf6__halfDv1_fLb0ELi0EEEvPKT_PKT0_PfPimiiif,comdat
	.protected	_ZN5aiter20topk_softplus_kernelIf6__halfDv1_fLb0ELi0EEEvPKT_PKT0_PfPimiiif ; -- Begin function _ZN5aiter20topk_softplus_kernelIf6__halfDv1_fLb0ELi0EEEvPKT_PKT0_PfPimiiif
	.globl	_ZN5aiter20topk_softplus_kernelIf6__halfDv1_fLb0ELi0EEEvPKT_PKT0_PfPimiiif
	.p2align	8
	.type	_ZN5aiter20topk_softplus_kernelIf6__halfDv1_fLb0ELi0EEEvPKT_PKT0_PfPimiiif,@function
_ZN5aiter20topk_softplus_kernelIf6__halfDv1_fLb0ELi0EEEvPKT_PKT0_PfPimiiif: ; @_ZN5aiter20topk_softplus_kernelIf6__halfDv1_fLb0ELi0EEEvPKT_PKT0_PfPimiiif
; %bb.0:
	s_clause 0x1
	s_load_b64 s[12:13], s[0:1], 0x28
	s_load_b256 s[4:11], s[0:1], 0x0
	v_lshl_add_u32 v3, v0, 2, 0
	s_waitcnt lgkmcnt(0)
	s_mul_i32 s16, s15, s12
	v_cmp_gt_i32_e64 s2, s12, v0
	s_ashr_i32 s17, s16, 31
	s_delay_alu instid0(SALU_CYCLE_1) | instskip(NEXT) | instid1(SALU_CYCLE_1)
	s_lshl_b64 s[16:17], s[16:17], 2
	s_add_u32 s4, s4, s16
	s_addc_u32 s5, s5, s17
	s_and_saveexec_b32 s14, s2
	s_cbranch_execz .LBB68_5
; %bb.1:
	s_load_b32 s3, s[0:1], 0x44
	s_cmp_lg_u64 s[6:7], 0
	v_lshl_add_u32 v4, v0, 2, 0
	v_mov_b32_e32 v1, v0
	s_cselect_b32 s16, -1, 0
	s_mov_b32 s18, 0
	s_waitcnt lgkmcnt(0)
	s_and_b32 s17, s3, 0xffff
	s_delay_alu instid0(SALU_CYCLE_1)
	s_lshl_b32 s19, s17, 2
	s_branch .LBB68_3
.LBB68_2:                               ;   in Loop: Header=BB68_3 Depth=1
	v_add_nc_u32_e32 v1, s17, v1
	ds_store_b32 v4, v5
	v_add_nc_u32_e32 v4, s19, v4
	v_cmp_le_i32_e32 vcc_lo, s12, v1
	s_or_b32 s18, vcc_lo, s18
	s_delay_alu instid0(SALU_CYCLE_1)
	s_and_not1_b32 exec_lo, exec_lo, s18
	s_cbranch_execz .LBB68_5
.LBB68_3:                               ; =>This Inner Loop Header: Depth=1
	v_ashrrev_i32_e32 v2, 31, v1
	s_delay_alu instid0(VALU_DEP_1) | instskip(NEXT) | instid1(VALU_DEP_1)
	v_lshlrev_b64 v[5:6], 2, v[1:2]
	v_add_co_u32 v5, vcc_lo, s4, v5
	s_delay_alu instid0(VALU_DEP_2) | instskip(SKIP_3) | instid1(VALU_DEP_1)
	v_add_co_ci_u32_e32 v6, vcc_lo, s5, v6, vcc_lo
	global_load_b32 v5, v[5:6], off
	s_waitcnt vmcnt(0)
	v_mul_f32_e32 v6, 0x3fb8aa3b, v5
	v_cmp_gt_f32_e32 vcc_lo, 0xc2fc0000, v6
	v_cndmask_b32_e64 v6, 0, 0x42800000, vcc_lo
	v_cndmask_b32_e64 v7, 1.0, 0x1f800000, vcc_lo
	s_delay_alu instid0(VALU_DEP_2) | instskip(NEXT) | instid1(VALU_DEP_1)
	v_fmac_f32_e32 v6, 0x3fb8aa3b, v5
	v_exp_f32_e32 v6, v6
	s_waitcnt_depctr 0xfff
	v_fma_f32 v6, v6, v7, 1.0
	s_delay_alu instid0(VALU_DEP_1) | instskip(SKIP_1) | instid1(VALU_DEP_1)
	v_cmp_gt_f32_e32 vcc_lo, 0x800000, v6
	v_cndmask_b32_e64 v7, 1.0, 0x4f800000, vcc_lo
	v_mul_f32_e32 v6, v6, v7
	v_cndmask_b32_e64 v7, 0, 0x42000000, vcc_lo
	v_cmp_lt_f32_e32 vcc_lo, 0x41a00000, v5
	s_delay_alu instid0(VALU_DEP_3) | instskip(SKIP_2) | instid1(VALU_DEP_1)
	v_log_f32_e32 v6, v6
	s_waitcnt_depctr 0xfff
	v_sub_f32_e32 v6, v6, v7
	v_mul_f32_e32 v6, 0x3f317218, v6
	s_delay_alu instid0(VALU_DEP_1) | instskip(NEXT) | instid1(VALU_DEP_1)
	v_cndmask_b32_e32 v5, v6, v5, vcc_lo
	v_mul_f32_e32 v6, 0x4f800000, v5
	v_cmp_gt_f32_e32 vcc_lo, 0xf800000, v5
	s_delay_alu instid0(VALU_DEP_2) | instskip(NEXT) | instid1(VALU_DEP_1)
	v_cndmask_b32_e32 v5, v5, v6, vcc_lo
	v_sqrt_f32_e32 v6, v5
	s_waitcnt_depctr 0xfff
	v_add_nc_u32_e32 v7, -1, v6
	v_add_nc_u32_e32 v8, 1, v6
	s_delay_alu instid0(VALU_DEP_2) | instskip(NEXT) | instid1(VALU_DEP_2)
	v_fma_f32 v9, -v7, v6, v5
	v_fma_f32 v10, -v8, v6, v5
	s_delay_alu instid0(VALU_DEP_2) | instskip(NEXT) | instid1(VALU_DEP_1)
	v_cmp_ge_f32_e64 s3, 0, v9
	v_cndmask_b32_e64 v6, v6, v7, s3
	s_delay_alu instid0(VALU_DEP_3) | instskip(NEXT) | instid1(VALU_DEP_1)
	v_cmp_lt_f32_e64 s3, 0, v10
	v_cndmask_b32_e64 v6, v6, v8, s3
	s_delay_alu instid0(VALU_DEP_1) | instskip(NEXT) | instid1(VALU_DEP_1)
	v_mul_f32_e32 v7, 0x37800000, v6
	v_cndmask_b32_e32 v6, v6, v7, vcc_lo
	v_cmp_class_f32_e64 vcc_lo, v5, 0x260
	s_delay_alu instid0(VALU_DEP_2)
	v_cndmask_b32_e32 v5, v6, v5, vcc_lo
	s_and_not1_b32 vcc_lo, exec_lo, s16
	s_cbranch_vccnz .LBB68_2
; %bb.4:                                ;   in Loop: Header=BB68_3 Depth=1
	v_lshlrev_b64 v[6:7], 1, v[1:2]
	s_delay_alu instid0(VALU_DEP_1) | instskip(NEXT) | instid1(VALU_DEP_2)
	v_add_co_u32 v6, vcc_lo, s6, v6
	v_add_co_ci_u32_e32 v7, vcc_lo, s7, v7, vcc_lo
	global_load_u16 v2, v[6:7], off
	s_waitcnt vmcnt(0)
	v_cvt_f32_f16_e32 v2, v2
	s_delay_alu instid0(VALU_DEP_1)
	v_add_f32_e32 v5, v5, v2
	s_branch .LBB68_2
.LBB68_5:
	s_or_b32 exec_lo, exec_lo, s14
	v_add_nc_u32_e32 v1, s12, v0
	s_mov_b32 s14, exec_lo
	s_delay_alu instid0(VALU_DEP_1)
	v_cmpx_gt_i32_e64 s12, v1
	s_cbranch_execz .LBB68_10
; %bb.6:
	s_load_b32 s3, s[0:1], 0x44
	s_cmp_lg_u64 s[6:7], 0
	v_lshl_add_u32 v4, v1, 2, 0
	s_cselect_b32 s16, -1, 0
	s_mov_b32 s18, 0
	s_waitcnt lgkmcnt(0)
	s_and_b32 s17, s3, 0xffff
	s_delay_alu instid0(SALU_CYCLE_1)
	s_lshl_b32 s19, s17, 2
	s_branch .LBB68_8
.LBB68_7:                               ;   in Loop: Header=BB68_8 Depth=1
	v_add_nc_u32_e32 v1, s17, v1
	v_add_nc_u32_e32 v4, s19, v4
	s_delay_alu instid0(VALU_DEP_2) | instskip(SKIP_1) | instid1(SALU_CYCLE_1)
	v_cmp_le_i32_e32 vcc_lo, s12, v1
	s_or_b32 s18, vcc_lo, s18
	s_and_not1_b32 exec_lo, exec_lo, s18
	s_cbranch_execz .LBB68_10
.LBB68_8:                               ; =>This Inner Loop Header: Depth=1
	v_ashrrev_i32_e32 v2, 31, v1
	s_delay_alu instid0(VALU_DEP_1) | instskip(NEXT) | instid1(VALU_DEP_1)
	v_lshlrev_b64 v[5:6], 2, v[1:2]
	v_add_co_u32 v5, vcc_lo, s4, v5
	s_delay_alu instid0(VALU_DEP_2) | instskip(SKIP_3) | instid1(VALU_DEP_1)
	v_add_co_ci_u32_e32 v6, vcc_lo, s5, v6, vcc_lo
	global_load_b32 v5, v[5:6], off
	s_waitcnt vmcnt(0)
	v_mul_f32_e32 v6, 0x3fb8aa3b, v5
	v_cmp_gt_f32_e32 vcc_lo, 0xc2fc0000, v6
	v_cndmask_b32_e64 v6, 0, 0x42800000, vcc_lo
	v_cndmask_b32_e64 v7, 1.0, 0x1f800000, vcc_lo
	s_delay_alu instid0(VALU_DEP_2) | instskip(NEXT) | instid1(VALU_DEP_1)
	v_fmac_f32_e32 v6, 0x3fb8aa3b, v5
	v_exp_f32_e32 v6, v6
	s_waitcnt_depctr 0xfff
	v_fma_f32 v6, v6, v7, 1.0
	s_delay_alu instid0(VALU_DEP_1) | instskip(SKIP_1) | instid1(VALU_DEP_1)
	v_cmp_gt_f32_e32 vcc_lo, 0x800000, v6
	v_cndmask_b32_e64 v7, 1.0, 0x4f800000, vcc_lo
	v_mul_f32_e32 v6, v6, v7
	v_cndmask_b32_e64 v7, 0, 0x42000000, vcc_lo
	v_cmp_lt_f32_e32 vcc_lo, 0x41a00000, v5
	s_delay_alu instid0(VALU_DEP_3) | instskip(SKIP_2) | instid1(VALU_DEP_1)
	v_log_f32_e32 v6, v6
	s_waitcnt_depctr 0xfff
	v_sub_f32_e32 v6, v6, v7
	v_mul_f32_e32 v6, 0x3f317218, v6
	s_delay_alu instid0(VALU_DEP_1) | instskip(NEXT) | instid1(VALU_DEP_1)
	v_cndmask_b32_e32 v5, v6, v5, vcc_lo
	v_mul_f32_e32 v6, 0x4f800000, v5
	v_cmp_gt_f32_e32 vcc_lo, 0xf800000, v5
	s_delay_alu instid0(VALU_DEP_2) | instskip(NEXT) | instid1(VALU_DEP_1)
	v_cndmask_b32_e32 v5, v5, v6, vcc_lo
	v_sqrt_f32_e32 v6, v5
	s_waitcnt_depctr 0xfff
	v_add_nc_u32_e32 v7, -1, v6
	v_add_nc_u32_e32 v8, 1, v6
	s_delay_alu instid0(VALU_DEP_2) | instskip(NEXT) | instid1(VALU_DEP_2)
	v_fma_f32 v9, -v7, v6, v5
	v_fma_f32 v10, -v8, v6, v5
	s_delay_alu instid0(VALU_DEP_2) | instskip(NEXT) | instid1(VALU_DEP_1)
	v_cmp_ge_f32_e64 s3, 0, v9
	v_cndmask_b32_e64 v6, v6, v7, s3
	s_delay_alu instid0(VALU_DEP_3) | instskip(NEXT) | instid1(VALU_DEP_1)
	v_cmp_lt_f32_e64 s3, 0, v10
	v_cndmask_b32_e64 v6, v6, v8, s3
	s_delay_alu instid0(VALU_DEP_1) | instskip(NEXT) | instid1(VALU_DEP_1)
	v_mul_f32_e32 v7, 0x37800000, v6
	v_cndmask_b32_e32 v6, v6, v7, vcc_lo
	v_cmp_class_f32_e64 vcc_lo, v5, 0x260
	s_delay_alu instid0(VALU_DEP_2)
	v_cndmask_b32_e32 v5, v6, v5, vcc_lo
	s_and_not1_b32 vcc_lo, exec_lo, s16
	ds_store_b32 v4, v5
	s_cbranch_vccnz .LBB68_7
; %bb.9:                                ;   in Loop: Header=BB68_8 Depth=1
	v_lshlrev_b64 v[6:7], 1, v[1:2]
	s_delay_alu instid0(VALU_DEP_1) | instskip(NEXT) | instid1(VALU_DEP_2)
	v_add_co_u32 v6, vcc_lo, s6, v6
	v_add_co_ci_u32_e32 v7, vcc_lo, s7, v7, vcc_lo
	global_load_u16 v2, v[6:7], off
	s_waitcnt vmcnt(0)
	v_cvt_f32_f16_e32 v2, v2
	s_delay_alu instid0(VALU_DEP_1)
	v_add_f32_e32 v2, v5, v2
	ds_store_b32 v4, v2
	s_branch .LBB68_7
.LBB68_10:
	s_or_b32 exec_lo, exec_lo, s14
	s_cmp_lt_i32 s13, 1
	s_waitcnt lgkmcnt(0)
	s_barrier
	buffer_gl0_inv
	s_cbranch_scc1 .LBB68_19
; %bb.11:
	s_add_u32 s4, s0, 56
	s_addc_u32 s5, s1, 0
	v_dual_mov_b32 v4, 0 :: v_dual_mov_b32 v1, 0
	v_dual_mov_b32 v5, 0xff800000 :: v_dual_mov_b32 v2, 0
	s_cmp_lg_u64 s[6:7], 0
	s_mov_b32 s14, 0
	s_cselect_b32 s3, -1, 0
	s_mov_b32 s18, 0x76543210
	s_branch .LBB68_13
.LBB68_12:                              ;   in Loop: Header=BB68_13 Depth=1
	v_cmp_eq_u32_e32 vcc_lo, s14, v0
	s_delay_alu instid0(VALU_DEP_2)
	s_lshl_b32 s17, s16, 2
	s_add_i32 s14, s14, 1
	s_add_i32 s17, s17, 0
	s_cmp_eq_u32 s14, s13
	v_cndmask_b32_e64 v1, v1, s16, vcc_lo
	v_mov_b32_e32 v6, s17
	v_cndmask_b32_e32 v2, v2, v8, vcc_lo
	ds_store_b32 v6, v5
	s_cbranch_scc1 .LBB68_20
.LBB68_13:                              ; =>This Loop Header: Depth=1
                                        ;     Child Loop BB68_15 Depth 2
	v_dual_mov_b32 v6, s14 :: v_dual_mov_b32 v7, 0xff800000
	s_and_saveexec_b32 s16, s2
	s_cbranch_execz .LBB68_17
; %bb.14:                               ;   in Loop: Header=BB68_13 Depth=1
	s_load_b32 s17, s[4:5], 0xc
	v_dual_mov_b32 v6, s14 :: v_dual_mov_b32 v7, 0xff800000
	v_dual_mov_b32 v8, v3 :: v_dual_mov_b32 v9, v0
	s_mov_b32 s19, 0
	s_waitcnt lgkmcnt(0)
	s_and_b32 s17, s17, 0xffff
	s_delay_alu instid0(SALU_CYCLE_1)
	s_lshl_b32 s20, s17, 2
.LBB68_15:                              ;   Parent Loop BB68_13 Depth=1
                                        ; =>  This Inner Loop Header: Depth=2
	ds_load_b32 v10, v8
	v_add_nc_u32_e32 v8, s20, v8
	s_waitcnt lgkmcnt(0)
	v_cmp_gt_f32_e32 vcc_lo, v10, v7
	v_dual_cndmask_b32 v7, v7, v10 :: v_dual_cndmask_b32 v6, v6, v9
	v_add_nc_u32_e32 v9, s17, v9
	s_delay_alu instid0(VALU_DEP_1) | instskip(SKIP_1) | instid1(SALU_CYCLE_1)
	v_cmp_le_i32_e32 vcc_lo, s12, v9
	s_or_b32 s19, vcc_lo, s19
	s_and_not1_b32 exec_lo, exec_lo, s19
	s_cbranch_execnz .LBB68_15
; %bb.16:                               ;   in Loop: Header=BB68_13 Depth=1
	s_or_b32 exec_lo, exec_lo, s19
.LBB68_17:                              ;   in Loop: Header=BB68_13 Depth=1
	s_delay_alu instid0(SALU_CYCLE_1)
	s_or_b32 exec_lo, exec_lo, s16
	;;#ASMSTART
	v_max_f32 v8, v7, v7 quad_perm:[1,0,3,2] row_mask:0xf bank_mask:0xf bound_ctrl:1
	;;#ASMEND
	;;#ASMSTART
	v_max_f32 v9, v8, v8 quad_perm:[2,3,0,1] row_mask:0xf bank_mask:0xf bound_ctrl:1
	;;#ASMEND
	;;#ASMSTART
	v_max_f32 v8, v9, v9 row_half_mirror row_mask:0xf bank_mask:0xf bound_ctrl:1
	;;#ASMEND
	;;#ASMSTART
	v_max_f32 v9, v8, v8 row_mirror row_mask:0xf bank_mask:0xf bound_ctrl:1
	;;#ASMEND
	v_permlanex16_b32 v8, v9, s18, 0xfedcba98 op_sel:[1,1]
	s_delay_alu instid0(VALU_DEP_1) | instskip(NEXT) | instid1(VALU_DEP_1)
	v_dual_max_f32 v9, v9, v9 :: v_dual_max_f32 v8, v8, v8
	v_max_f32_e32 v8, v9, v8
	s_delay_alu instid0(VALU_DEP_1)
	v_cmp_eq_f32_e32 vcc_lo, v7, v8
	s_ctz_i32_b32 s16, vcc_lo
	s_cmp_lg_u32 vcc_lo, 0
	s_cselect_b32 s16, s16, 0
	s_and_b32 vcc_lo, exec_lo, s3
	v_readlane_b32 s16, v6, s16
	s_cbranch_vccz .LBB68_12
; %bb.18:                               ;   in Loop: Header=BB68_13 Depth=1
	s_delay_alu instid0(VALU_DEP_1) | instskip(NEXT) | instid1(SALU_CYCLE_1)
	s_ashr_i32 s17, s16, 31
	s_lshl_b64 s[20:21], s[16:17], 1
	s_delay_alu instid0(SALU_CYCLE_1) | instskip(SKIP_4) | instid1(VALU_DEP_1)
	s_add_u32 s20, s6, s20
	s_addc_u32 s21, s7, s21
	global_load_u16 v6, v4, s[20:21]
	s_waitcnt vmcnt(0)
	v_cvt_f32_f16_e32 v6, v6
	v_sub_f32_e32 v8, v8, v6
	s_branch .LBB68_12
.LBB68_19:
	v_dual_mov_b32 v2, 0 :: v_dual_mov_b32 v1, 0
.LBB68_20:
	s_mov_b32 s2, exec_lo
	v_cmpx_gt_i32_e64 s13, v0
	s_cbranch_execz .LBB68_23
; %bb.21:
	s_clause 0x2
	s_load_b32 s4, s[0:1], 0x34
	s_load_b64 s[2:3], s[0:1], 0x20
	s_load_b32 s0, s[0:1], 0x44
	s_ashr_i32 s1, s15, 31
	s_waitcnt lgkmcnt(0)
	v_mul_f32_e32 v2, s4, v2
	s_mul_i32 s3, s15, s3
	s_mul_hi_u32 s4, s15, s2
	s_mul_i32 s5, s1, s2
	s_add_i32 s3, s4, s3
	s_mul_i32 s1, s15, s2
	s_and_b32 s2, s0, 0xffff
	s_add_i32 s3, s3, s5
	s_mov_b32 s4, 0
	.p2align	6
.LBB68_22:                              ; =>This Inner Loop Header: Depth=1
	v_ashrrev_i32_e32 v4, 31, v0
	v_add_co_u32 v3, vcc_lo, s1, v0
	v_add_nc_u32_e32 v0, s2, v0
	s_delay_alu instid0(VALU_DEP_3) | instskip(NEXT) | instid1(VALU_DEP_2)
	v_add_co_ci_u32_e32 v4, vcc_lo, s3, v4, vcc_lo
	v_cmp_le_i32_e32 vcc_lo, s13, v0
	s_delay_alu instid0(VALU_DEP_2) | instskip(SKIP_1) | instid1(VALU_DEP_1)
	v_lshlrev_b64 v[3:4], 2, v[3:4]
	s_or_b32 s4, vcc_lo, s4
	v_add_co_u32 v5, s0, s8, v3
	s_delay_alu instid0(VALU_DEP_1) | instskip(SKIP_1) | instid1(VALU_DEP_1)
	v_add_co_ci_u32_e64 v6, s0, s9, v4, s0
	v_add_co_u32 v3, s0, s10, v3
	v_add_co_ci_u32_e64 v4, s0, s11, v4, s0
	global_store_b32 v[5:6], v2, off
	global_store_b32 v[3:4], v1, off
	s_and_not1_b32 exec_lo, exec_lo, s4
	s_cbranch_execnz .LBB68_22
.LBB68_23:
	s_nop 0
	s_sendmsg sendmsg(MSG_DEALLOC_VGPRS)
	s_endpgm
	.section	.rodata,"a",@progbits
	.p2align	6, 0x0
	.amdhsa_kernel _ZN5aiter20topk_softplus_kernelIf6__halfDv1_fLb0ELi0EEEvPKT_PKT0_PfPimiiif
		.amdhsa_group_segment_fixed_size 0
		.amdhsa_private_segment_fixed_size 0
		.amdhsa_kernarg_size 312
		.amdhsa_user_sgpr_count 15
		.amdhsa_user_sgpr_dispatch_ptr 0
		.amdhsa_user_sgpr_queue_ptr 0
		.amdhsa_user_sgpr_kernarg_segment_ptr 1
		.amdhsa_user_sgpr_dispatch_id 0
		.amdhsa_user_sgpr_private_segment_size 0
		.amdhsa_wavefront_size32 1
		.amdhsa_uses_dynamic_stack 0
		.amdhsa_enable_private_segment 0
		.amdhsa_system_sgpr_workgroup_id_x 1
		.amdhsa_system_sgpr_workgroup_id_y 0
		.amdhsa_system_sgpr_workgroup_id_z 0
		.amdhsa_system_sgpr_workgroup_info 0
		.amdhsa_system_vgpr_workitem_id 0
		.amdhsa_next_free_vgpr 11
		.amdhsa_next_free_sgpr 22
		.amdhsa_reserve_vcc 1
		.amdhsa_float_round_mode_32 0
		.amdhsa_float_round_mode_16_64 0
		.amdhsa_float_denorm_mode_32 3
		.amdhsa_float_denorm_mode_16_64 3
		.amdhsa_dx10_clamp 1
		.amdhsa_ieee_mode 1
		.amdhsa_fp16_overflow 0
		.amdhsa_workgroup_processor_mode 1
		.amdhsa_memory_ordered 1
		.amdhsa_forward_progress 0
		.amdhsa_shared_vgpr_count 0
		.amdhsa_exception_fp_ieee_invalid_op 0
		.amdhsa_exception_fp_denorm_src 0
		.amdhsa_exception_fp_ieee_div_zero 0
		.amdhsa_exception_fp_ieee_overflow 0
		.amdhsa_exception_fp_ieee_underflow 0
		.amdhsa_exception_fp_ieee_inexact 0
		.amdhsa_exception_int_div_zero 0
	.end_amdhsa_kernel
	.section	.text._ZN5aiter20topk_softplus_kernelIf6__halfDv1_fLb0ELi0EEEvPKT_PKT0_PfPimiiif,"axG",@progbits,_ZN5aiter20topk_softplus_kernelIf6__halfDv1_fLb0ELi0EEEvPKT_PKT0_PfPimiiif,comdat
.Lfunc_end68:
	.size	_ZN5aiter20topk_softplus_kernelIf6__halfDv1_fLb0ELi0EEEvPKT_PKT0_PfPimiiif, .Lfunc_end68-_ZN5aiter20topk_softplus_kernelIf6__halfDv1_fLb0ELi0EEEvPKT_PKT0_PfPimiiif
                                        ; -- End function
	.section	.AMDGPU.csdata,"",@progbits
; Kernel info:
; codeLenInByte = 1740
; NumSgprs: 24
; NumVgprs: 11
; ScratchSize: 0
; MemoryBound: 0
; FloatMode: 240
; IeeeMode: 1
; LDSByteSize: 0 bytes/workgroup (compile time only)
; SGPRBlocks: 2
; VGPRBlocks: 1
; NumSGPRsForWavesPerEU: 24
; NumVGPRsForWavesPerEU: 11
; Occupancy: 16
; WaveLimiterHint : 0
; COMPUTE_PGM_RSRC2:SCRATCH_EN: 0
; COMPUTE_PGM_RSRC2:USER_SGPR: 15
; COMPUTE_PGM_RSRC2:TRAP_HANDLER: 0
; COMPUTE_PGM_RSRC2:TGID_X_EN: 1
; COMPUTE_PGM_RSRC2:TGID_Y_EN: 0
; COMPUTE_PGM_RSRC2:TGID_Z_EN: 0
; COMPUTE_PGM_RSRC2:TIDIG_COMP_CNT: 0
	.section	.text._ZN5aiter24topk_softplus_kernel_optIf12hip_bfloat16Li64ELb1ELi1EEEvPKT_PKT0_PfPimiif,"axG",@progbits,_ZN5aiter24topk_softplus_kernel_optIf12hip_bfloat16Li64ELb1ELi1EEEvPKT_PKT0_PfPimiif,comdat
	.protected	_ZN5aiter24topk_softplus_kernel_optIf12hip_bfloat16Li64ELb1ELi1EEEvPKT_PKT0_PfPimiif ; -- Begin function _ZN5aiter24topk_softplus_kernel_optIf12hip_bfloat16Li64ELb1ELi1EEEvPKT_PKT0_PfPimiif
	.globl	_ZN5aiter24topk_softplus_kernel_optIf12hip_bfloat16Li64ELb1ELi1EEEvPKT_PKT0_PfPimiif
	.p2align	8
	.type	_ZN5aiter24topk_softplus_kernel_optIf12hip_bfloat16Li64ELb1ELi1EEEvPKT_PKT0_PfPimiif,@function
_ZN5aiter24topk_softplus_kernel_optIf12hip_bfloat16Li64ELb1ELi1EEEvPKT_PKT0_PfPimiif: ; @_ZN5aiter24topk_softplus_kernel_optIf12hip_bfloat16Li64ELb1ELi1EEEvPKT_PKT0_PfPimiif
; %bb.0:
	s_load_b128 s[4:7], s[0:1], 0x0
	s_lshl_b32 s2, s15, 6
	v_lshlrev_b32_e32 v3, 2, v0
	s_ashr_i32 s3, s2, 31
	v_lshlrev_b32_e32 v4, 1, v0
	s_lshl_b64 s[2:3], s[2:3], 2
	s_waitcnt lgkmcnt(0)
	s_add_u32 s4, s4, s2
	s_addc_u32 s5, s5, s3
	s_cmp_lg_u64 s[6:7], 0
	global_load_b32 v1, v3, s[4:5]
	s_cselect_b32 s2, -1, 0
	s_waitcnt vmcnt(0)
	v_mul_f32_e32 v2, 0xbfb8aa3b, v1
	s_delay_alu instid0(VALU_DEP_1) | instskip(SKIP_1) | instid1(VALU_DEP_1)
	v_cmp_gt_f32_e32 vcc_lo, 0xc2fc0000, v2
	v_cndmask_b32_e64 v2, 0, 0x42800000, vcc_lo
	v_fmac_f32_e32 v2, 0xbfb8aa3b, v1
	s_delay_alu instid0(VALU_DEP_1) | instskip(SKIP_4) | instid1(VALU_DEP_1)
	v_exp_f32_e32 v1, v2
	v_cndmask_b32_e64 v2, 1.0, 0x1f800000, vcc_lo
	s_and_b32 vcc_lo, exec_lo, s2
	s_waitcnt_depctr 0xfff
	v_fma_f32 v1, v1, v2, 1.0
	v_rcp_f32_e32 v10, v1
	v_add_co_u32 v1, s3, s4, v3
	s_delay_alu instid0(VALU_DEP_1)
	v_add_co_ci_u32_e64 v2, null, s5, 0, s3
	s_waitcnt_depctr 0xfff
	v_mov_b32_e32 v8, v10
	s_cbranch_vccz .LBB69_2
; %bb.1:
	global_load_u16 v5, v4, s[6:7]
	s_waitcnt vmcnt(0)
	v_lshlrev_b32_e32 v5, 16, v5
	s_delay_alu instid0(VALU_DEP_1)
	v_add_f32_e32 v8, v10, v5
.LBB69_2:
	global_load_b32 v1, v[1:2], off offset:128
	s_waitcnt vmcnt(0)
	v_mul_f32_e32 v2, 0xbfb8aa3b, v1
	s_delay_alu instid0(VALU_DEP_1) | instskip(SKIP_3) | instid1(VALU_DEP_2)
	v_cmp_gt_f32_e32 vcc_lo, 0xc2fc0000, v2
	v_cndmask_b32_e64 v5, 0, 0x42800000, vcc_lo
	v_cndmask_b32_e64 v2, 1.0, 0x1f800000, vcc_lo
	s_and_not1_b32 vcc_lo, exec_lo, s2
	v_fmac_f32_e32 v5, 0xbfb8aa3b, v1
	s_delay_alu instid0(VALU_DEP_1) | instskip(SKIP_2) | instid1(VALU_DEP_1)
	v_exp_f32_e32 v1, v5
	s_waitcnt_depctr 0xfff
	v_fma_f32 v1, v1, v2, 1.0
	v_rcp_f32_e32 v11, v1
	s_waitcnt_depctr 0xfff
	v_mov_b32_e32 v9, v11
	s_cbranch_vccnz .LBB69_4
; %bb.3:
	global_load_u16 v1, v4, s[6:7] offset:64
	s_waitcnt vmcnt(0)
	v_lshlrev_b32_e32 v1, 16, v1
	s_delay_alu instid0(VALU_DEP_1)
	v_add_f32_e32 v9, v11, v1
.LBB69_4:
	s_clause 0x1
	s_load_b32 s8, s[0:1], 0x28
	s_load_b128 s[4:7], s[0:1], 0x10
	v_dual_mov_b32 v4, 0 :: v_dual_mov_b32 v1, 0
	v_mov_b32_e32 v2, 0
	s_waitcnt lgkmcnt(0)
	s_cmp_gt_i32 s8, 0
	s_cbranch_scc0 .LBB69_7
; %bb.5:
	v_cmp_lt_f32_e32 vcc_lo, v8, v9
	v_add_nc_u32_e32 v1, 32, v0
	s_mov_b32 s9, 0x76543210
	s_mov_b32 s10, s8
	v_dual_mov_b32 v4, 0 :: v_dual_cndmask_b32 v7, v9, v8
	s_delay_alu instid0(VALU_DEP_2)
	v_dual_cndmask_b32 v8, v8, v9 :: v_dual_cndmask_b32 v5, v1, v0
	v_dual_cndmask_b32 v6, v0, v1 :: v_dual_cndmask_b32 v9, v11, v10
	v_dual_cndmask_b32 v10, v10, v11 :: v_dual_mov_b32 v11, 0
	v_dual_mov_b32 v12, v0 :: v_dual_mov_b32 v1, 0
	v_mov_b32_e32 v2, 0
.LBB69_6:                               ; =>This Inner Loop Header: Depth=1
	s_delay_alu instid0(VALU_DEP_3) | instskip(SKIP_2) | instid1(VALU_DEP_1)
	v_cmp_eq_u32_e32 vcc_lo, 1, v11
	v_cmp_gt_u32_e64 s2, 2, v11
	v_dual_cndmask_b32 v13, v8, v7 :: v_dual_cndmask_b32 v14, v6, v5
	v_cndmask_b32_e64 v13, 0xff800000, v13, s2
	;;#ASMSTART
	v_max_f32 v16, v13, v13 quad_perm:[1,0,3,2] row_mask:0xf bank_mask:0xf bound_ctrl:1
	;;#ASMEND
	;;#ASMSTART
	v_max_f32 v17, v16, v16 quad_perm:[2,3,0,1] row_mask:0xf bank_mask:0xf bound_ctrl:1
	;;#ASMEND
	;;#ASMSTART
	v_max_f32 v16, v17, v17 row_half_mirror row_mask:0xf bank_mask:0xf bound_ctrl:1
	;;#ASMEND
	;;#ASMSTART
	v_max_f32 v17, v16, v16 row_mirror row_mask:0xf bank_mask:0xf bound_ctrl:1
	;;#ASMEND
	v_permlanex16_b32 v16, v17, s9, 0xfedcba98 op_sel:[1,1]
	v_max_f32_e32 v17, v17, v17
	v_cndmask_b32_e64 v15, 0, v14, s2
	s_delay_alu instid0(VALU_DEP_3) | instskip(NEXT) | instid1(VALU_DEP_1)
	v_max_f32_e32 v16, v16, v16
	v_max_f32_e32 v16, v17, v16
	s_delay_alu instid0(VALU_DEP_1) | instskip(SKIP_1) | instid1(VALU_DEP_2)
	v_cmp_eq_f32_e64 s3, v13, v16
	v_cndmask_b32_e32 v13, v10, v9, vcc_lo
	s_ctz_i32_b32 s11, s3
	s_cmp_lg_u32 s3, 0
	s_cselect_b32 s3, s11, 0
	s_add_i32 s10, s10, -1
	v_readlane_b32 s3, v15, s3
	s_delay_alu instid0(VALU_DEP_1)
	v_cmp_eq_u32_e32 vcc_lo, s3, v14
	s_and_b32 vcc_lo, s2, vcc_lo
	s_and_b32 s2, s3, 31
	v_cndmask_b32_e32 v13, 0, v13, vcc_lo
	v_add_co_ci_u32_e32 v11, vcc_lo, 0, v11, vcc_lo
	s_cmp_eq_u32 s10, 0
	s_delay_alu instid0(VALU_DEP_2) | instskip(SKIP_2) | instid1(VALU_DEP_3)
	v_readlane_b32 s11, v13, s2
	v_cmp_eq_u32_e64 s2, 0, v12
	v_add_nc_u32_e32 v12, -1, v12
	v_add_f32_e32 v4, s11, v4
	s_delay_alu instid0(VALU_DEP_3)
	v_cndmask_b32_e64 v2, v2, s11, s2
	v_cndmask_b32_e64 v1, v1, s3, s2
	s_cbranch_scc0 .LBB69_6
.LBB69_7:
	s_mov_b32 s2, exec_lo
	v_cmpx_gt_i32_e64 s8, v0
	s_cbranch_execz .LBB69_9
; %bb.8:
	s_load_b32 s2, s[0:1], 0x30
	v_max_f32_e32 v0, v4, v4
	s_load_b64 s[0:1], s[0:1], 0x20
	s_ashr_i32 s3, s15, 31
	s_delay_alu instid0(VALU_DEP_1) | instskip(SKIP_1) | instid1(VALU_DEP_1)
	v_max_f32_e32 v0, 0x1e3ce508, v0
	s_waitcnt lgkmcnt(0)
	v_div_scale_f32 v4, null, v0, v0, s2
	v_div_scale_f32 v7, vcc_lo, s2, v0, s2
	s_mul_i32 s1, s15, s1
	s_delay_alu instid0(VALU_DEP_2)
	v_rcp_f32_e32 v5, v4
	s_mul_hi_u32 s8, s15, s0
	s_mul_i32 s3, s3, s0
	s_add_i32 s1, s8, s1
	s_mul_i32 s0, s15, s0
	s_add_i32 s1, s1, s3
	s_delay_alu instid0(SALU_CYCLE_1) | instskip(SKIP_2) | instid1(VALU_DEP_1)
	s_lshl_b64 s[0:1], s[0:1], 2
	s_waitcnt_depctr 0xfff
	v_fma_f32 v6, -v4, v5, 1.0
	v_fmac_f32_e32 v5, v6, v5
	s_delay_alu instid0(VALU_DEP_1) | instskip(NEXT) | instid1(VALU_DEP_1)
	v_mul_f32_e32 v6, v7, v5
	v_fma_f32 v8, -v4, v6, v7
	s_delay_alu instid0(VALU_DEP_1) | instskip(NEXT) | instid1(VALU_DEP_1)
	v_fmac_f32_e32 v6, v8, v5
	v_fma_f32 v4, -v4, v6, v7
	s_delay_alu instid0(VALU_DEP_1) | instskip(NEXT) | instid1(VALU_DEP_1)
	v_div_fmas_f32 v4, v4, v5, v6
	v_div_fixup_f32 v0, v4, v0, s2
	s_add_u32 s2, s4, s0
	s_addc_u32 s3, s5, s1
	s_add_u32 s0, s6, s0
	s_addc_u32 s1, s7, s1
	v_mul_f32_e32 v0, v2, v0
	s_clause 0x1
	global_store_b32 v3, v0, s[2:3]
	global_store_b32 v3, v1, s[0:1]
.LBB69_9:
	s_nop 0
	s_sendmsg sendmsg(MSG_DEALLOC_VGPRS)
	s_endpgm
	.section	.rodata,"a",@progbits
	.p2align	6, 0x0
	.amdhsa_kernel _ZN5aiter24topk_softplus_kernel_optIf12hip_bfloat16Li64ELb1ELi1EEEvPKT_PKT0_PfPimiif
		.amdhsa_group_segment_fixed_size 0
		.amdhsa_private_segment_fixed_size 0
		.amdhsa_kernarg_size 52
		.amdhsa_user_sgpr_count 15
		.amdhsa_user_sgpr_dispatch_ptr 0
		.amdhsa_user_sgpr_queue_ptr 0
		.amdhsa_user_sgpr_kernarg_segment_ptr 1
		.amdhsa_user_sgpr_dispatch_id 0
		.amdhsa_user_sgpr_private_segment_size 0
		.amdhsa_wavefront_size32 1
		.amdhsa_uses_dynamic_stack 0
		.amdhsa_enable_private_segment 0
		.amdhsa_system_sgpr_workgroup_id_x 1
		.amdhsa_system_sgpr_workgroup_id_y 0
		.amdhsa_system_sgpr_workgroup_id_z 0
		.amdhsa_system_sgpr_workgroup_info 0
		.amdhsa_system_vgpr_workitem_id 0
		.amdhsa_next_free_vgpr 18
		.amdhsa_next_free_sgpr 16
		.amdhsa_reserve_vcc 1
		.amdhsa_float_round_mode_32 0
		.amdhsa_float_round_mode_16_64 0
		.amdhsa_float_denorm_mode_32 3
		.amdhsa_float_denorm_mode_16_64 3
		.amdhsa_dx10_clamp 1
		.amdhsa_ieee_mode 1
		.amdhsa_fp16_overflow 0
		.amdhsa_workgroup_processor_mode 1
		.amdhsa_memory_ordered 1
		.amdhsa_forward_progress 0
		.amdhsa_shared_vgpr_count 0
		.amdhsa_exception_fp_ieee_invalid_op 0
		.amdhsa_exception_fp_denorm_src 0
		.amdhsa_exception_fp_ieee_div_zero 0
		.amdhsa_exception_fp_ieee_overflow 0
		.amdhsa_exception_fp_ieee_underflow 0
		.amdhsa_exception_fp_ieee_inexact 0
		.amdhsa_exception_int_div_zero 0
	.end_amdhsa_kernel
	.section	.text._ZN5aiter24topk_softplus_kernel_optIf12hip_bfloat16Li64ELb1ELi1EEEvPKT_PKT0_PfPimiif,"axG",@progbits,_ZN5aiter24topk_softplus_kernel_optIf12hip_bfloat16Li64ELb1ELi1EEEvPKT_PKT0_PfPimiif,comdat
.Lfunc_end69:
	.size	_ZN5aiter24topk_softplus_kernel_optIf12hip_bfloat16Li64ELb1ELi1EEEvPKT_PKT0_PfPimiif, .Lfunc_end69-_ZN5aiter24topk_softplus_kernel_optIf12hip_bfloat16Li64ELb1ELi1EEEvPKT_PKT0_PfPimiif
                                        ; -- End function
	.section	.AMDGPU.csdata,"",@progbits
; Kernel info:
; codeLenInByte = 940
; NumSgprs: 18
; NumVgprs: 18
; ScratchSize: 0
; MemoryBound: 0
; FloatMode: 240
; IeeeMode: 1
; LDSByteSize: 0 bytes/workgroup (compile time only)
; SGPRBlocks: 2
; VGPRBlocks: 2
; NumSGPRsForWavesPerEU: 18
; NumVGPRsForWavesPerEU: 18
; Occupancy: 16
; WaveLimiterHint : 0
; COMPUTE_PGM_RSRC2:SCRATCH_EN: 0
; COMPUTE_PGM_RSRC2:USER_SGPR: 15
; COMPUTE_PGM_RSRC2:TRAP_HANDLER: 0
; COMPUTE_PGM_RSRC2:TGID_X_EN: 1
; COMPUTE_PGM_RSRC2:TGID_Y_EN: 0
; COMPUTE_PGM_RSRC2:TGID_Z_EN: 0
; COMPUTE_PGM_RSRC2:TIDIG_COMP_CNT: 0
	.section	.text._ZN5aiter24topk_softplus_kernel_optIf12hip_bfloat16Li64ELb0ELi1EEEvPKT_PKT0_PfPimiif,"axG",@progbits,_ZN5aiter24topk_softplus_kernel_optIf12hip_bfloat16Li64ELb0ELi1EEEvPKT_PKT0_PfPimiif,comdat
	.protected	_ZN5aiter24topk_softplus_kernel_optIf12hip_bfloat16Li64ELb0ELi1EEEvPKT_PKT0_PfPimiif ; -- Begin function _ZN5aiter24topk_softplus_kernel_optIf12hip_bfloat16Li64ELb0ELi1EEEvPKT_PKT0_PfPimiif
	.globl	_ZN5aiter24topk_softplus_kernel_optIf12hip_bfloat16Li64ELb0ELi1EEEvPKT_PKT0_PfPimiif
	.p2align	8
	.type	_ZN5aiter24topk_softplus_kernel_optIf12hip_bfloat16Li64ELb0ELi1EEEvPKT_PKT0_PfPimiif,@function
_ZN5aiter24topk_softplus_kernel_optIf12hip_bfloat16Li64ELb0ELi1EEEvPKT_PKT0_PfPimiif: ; @_ZN5aiter24topk_softplus_kernel_optIf12hip_bfloat16Li64ELb0ELi1EEEvPKT_PKT0_PfPimiif
; %bb.0:
	s_load_b128 s[4:7], s[0:1], 0x0
	s_lshl_b32 s2, s15, 6
	v_lshlrev_b32_e32 v3, 2, v0
	s_ashr_i32 s3, s2, 31
	v_lshlrev_b32_e32 v4, 1, v0
	s_lshl_b64 s[2:3], s[2:3], 2
	s_waitcnt lgkmcnt(0)
	s_add_u32 s4, s4, s2
	s_addc_u32 s5, s5, s3
	s_cmp_lg_u64 s[6:7], 0
	global_load_b32 v1, v3, s[4:5]
	s_cselect_b32 s2, -1, 0
	s_waitcnt vmcnt(0)
	v_mul_f32_e32 v2, 0xbfb8aa3b, v1
	s_delay_alu instid0(VALU_DEP_1) | instskip(SKIP_1) | instid1(VALU_DEP_1)
	v_cmp_gt_f32_e32 vcc_lo, 0xc2fc0000, v2
	v_cndmask_b32_e64 v2, 0, 0x42800000, vcc_lo
	v_fmac_f32_e32 v2, 0xbfb8aa3b, v1
	s_delay_alu instid0(VALU_DEP_1) | instskip(SKIP_4) | instid1(VALU_DEP_1)
	v_exp_f32_e32 v1, v2
	v_cndmask_b32_e64 v2, 1.0, 0x1f800000, vcc_lo
	s_and_b32 vcc_lo, exec_lo, s2
	s_waitcnt_depctr 0xfff
	v_fma_f32 v1, v1, v2, 1.0
	v_rcp_f32_e32 v9, v1
	v_add_co_u32 v1, s3, s4, v3
	s_delay_alu instid0(VALU_DEP_1)
	v_add_co_ci_u32_e64 v2, null, s5, 0, s3
	s_waitcnt_depctr 0xfff
	v_mov_b32_e32 v7, v9
	s_cbranch_vccz .LBB70_2
; %bb.1:
	global_load_u16 v5, v4, s[6:7]
	s_waitcnt vmcnt(0)
	v_lshlrev_b32_e32 v5, 16, v5
	s_delay_alu instid0(VALU_DEP_1)
	v_add_f32_e32 v7, v9, v5
.LBB70_2:
	global_load_b32 v1, v[1:2], off offset:128
	s_waitcnt vmcnt(0)
	v_mul_f32_e32 v2, 0xbfb8aa3b, v1
	s_delay_alu instid0(VALU_DEP_1) | instskip(SKIP_3) | instid1(VALU_DEP_2)
	v_cmp_gt_f32_e32 vcc_lo, 0xc2fc0000, v2
	v_cndmask_b32_e64 v5, 0, 0x42800000, vcc_lo
	v_cndmask_b32_e64 v2, 1.0, 0x1f800000, vcc_lo
	s_and_not1_b32 vcc_lo, exec_lo, s2
	v_fmac_f32_e32 v5, 0xbfb8aa3b, v1
	s_delay_alu instid0(VALU_DEP_1) | instskip(SKIP_2) | instid1(VALU_DEP_1)
	v_exp_f32_e32 v1, v5
	s_waitcnt_depctr 0xfff
	v_fma_f32 v1, v1, v2, 1.0
	v_rcp_f32_e32 v2, v1
	s_waitcnt_depctr 0xfff
	v_mov_b32_e32 v8, v2
	s_cbranch_vccnz .LBB70_4
; %bb.3:
	global_load_u16 v1, v4, s[6:7] offset:64
	s_waitcnt vmcnt(0)
	v_lshlrev_b32_e32 v1, 16, v1
	s_delay_alu instid0(VALU_DEP_1)
	v_add_f32_e32 v8, v2, v1
.LBB70_4:
	s_clause 0x1
	s_load_b32 s8, s[0:1], 0x28
	s_load_b128 s[4:7], s[0:1], 0x10
	v_mov_b32_e32 v1, 0
	s_waitcnt lgkmcnt(0)
	s_cmp_gt_i32 s8, 0
	s_cbranch_scc0 .LBB70_10
; %bb.5:
	v_cmp_lt_f32_e32 vcc_lo, v7, v8
	v_add_nc_u32_e32 v1, 32, v0
	s_mov_b32 s9, 0x76543210
	s_mov_b32 s10, s8
	v_mov_b32_e32 v10, 0
	v_cndmask_b32_e32 v6, v8, v7, vcc_lo
	v_dual_cndmask_b32 v4, v1, v0 :: v_dual_cndmask_b32 v5, v0, v1
	v_dual_cndmask_b32 v7, v7, v8 :: v_dual_cndmask_b32 v8, v2, v9
	v_dual_cndmask_b32 v9, v9, v2 :: v_dual_mov_b32 v2, 0
	v_mov_b32_e32 v11, v0
	v_mov_b32_e32 v1, 0
.LBB70_6:                               ; =>This Inner Loop Header: Depth=1
	v_cmp_eq_u32_e32 vcc_lo, 1, v10
	v_cmp_gt_u32_e64 s2, 2, v10
	v_cndmask_b32_e32 v12, v7, v6, vcc_lo
	s_delay_alu instid0(VALU_DEP_1)
	v_cndmask_b32_e64 v12, 0xff800000, v12, s2
	;;#ASMSTART
	v_max_f32 v13, v12, v12 quad_perm:[1,0,3,2] row_mask:0xf bank_mask:0xf bound_ctrl:1
	;;#ASMEND
	;;#ASMSTART
	v_max_f32 v14, v13, v13 quad_perm:[2,3,0,1] row_mask:0xf bank_mask:0xf bound_ctrl:1
	;;#ASMEND
	;;#ASMSTART
	v_max_f32 v13, v14, v14 row_half_mirror row_mask:0xf bank_mask:0xf bound_ctrl:1
	;;#ASMEND
	;;#ASMSTART
	v_max_f32 v14, v13, v13 row_mirror row_mask:0xf bank_mask:0xf bound_ctrl:1
	;;#ASMEND
	v_permlanex16_b32 v13, v14, s9, 0xfedcba98 op_sel:[1,1]
	s_delay_alu instid0(VALU_DEP_1) | instskip(NEXT) | instid1(VALU_DEP_1)
	v_dual_max_f32 v14, v14, v14 :: v_dual_max_f32 v13, v13, v13
	v_dual_max_f32 v13, v14, v13 :: v_dual_cndmask_b32 v14, v5, v4
	s_delay_alu instid0(VALU_DEP_1) | instskip(NEXT) | instid1(VALU_DEP_2)
	v_cmp_eq_f32_e64 s3, v12, v13
	v_cndmask_b32_e64 v12, 0, v14, s2
	s_delay_alu instid0(VALU_DEP_2)
	s_ctz_i32_b32 s11, s3
	s_cmp_lg_u32 s3, 0
	s_cselect_b32 s3, s11, 0
	s_add_i32 s10, s10, -1
	v_readlane_b32 s3, v12, s3
	v_cndmask_b32_e32 v12, v9, v8, vcc_lo
	s_delay_alu instid0(VALU_DEP_2) | instskip(SKIP_2) | instid1(VALU_DEP_2)
	v_cmp_eq_u32_e32 vcc_lo, s3, v14
	s_and_b32 vcc_lo, s2, vcc_lo
	s_and_b32 s2, s3, 31
	v_cndmask_b32_e32 v12, 0, v12, vcc_lo
	v_add_co_ci_u32_e32 v10, vcc_lo, 0, v10, vcc_lo
	s_cmp_eq_u32 s10, 0
	s_delay_alu instid0(VALU_DEP_2) | instskip(SKIP_2) | instid1(VALU_DEP_2)
	v_readlane_b32 s11, v12, s2
	v_cmp_eq_u32_e64 s2, 0, v11
	v_add_nc_u32_e32 v11, -1, v11
	v_cndmask_b32_e64 v2, v2, s11, s2
	v_cndmask_b32_e64 v1, v1, s3, s2
	s_cbranch_scc0 .LBB70_6
; %bb.7:
	s_mov_b32 s2, exec_lo
	v_cmpx_gt_i32_e64 s8, v0
	s_cbranch_execz .LBB70_9
.LBB70_8:
	s_clause 0x1
	s_load_b64 s[2:3], s[0:1], 0x20
	s_load_b32 s8, s[0:1], 0x30
	s_ashr_i32 s0, s15, 31
	s_waitcnt lgkmcnt(0)
	s_mul_i32 s1, s15, s3
	s_mul_hi_u32 s3, s15, s2
	s_mul_i32 s0, s0, s2
	s_add_i32 s1, s3, s1
	v_mul_f32_e32 v0, s8, v2
	s_add_i32 s1, s1, s0
	s_mul_i32 s0, s15, s2
	s_delay_alu instid0(SALU_CYCLE_1) | instskip(NEXT) | instid1(SALU_CYCLE_1)
	s_lshl_b64 s[0:1], s[0:1], 2
	s_add_u32 s2, s4, s0
	s_addc_u32 s3, s5, s1
	s_add_u32 s0, s6, s0
	s_addc_u32 s1, s7, s1
	s_clause 0x1
	global_store_b32 v3, v0, s[2:3]
	global_store_b32 v3, v1, s[0:1]
.LBB70_9:
	s_nop 0
	s_sendmsg sendmsg(MSG_DEALLOC_VGPRS)
	s_endpgm
.LBB70_10:
	v_mov_b32_e32 v2, 0
	s_mov_b32 s2, exec_lo
	v_cmpx_gt_i32_e64 s8, v0
	s_cbranch_execnz .LBB70_8
	s_branch .LBB70_9
	.section	.rodata,"a",@progbits
	.p2align	6, 0x0
	.amdhsa_kernel _ZN5aiter24topk_softplus_kernel_optIf12hip_bfloat16Li64ELb0ELi1EEEvPKT_PKT0_PfPimiif
		.amdhsa_group_segment_fixed_size 0
		.amdhsa_private_segment_fixed_size 0
		.amdhsa_kernarg_size 52
		.amdhsa_user_sgpr_count 15
		.amdhsa_user_sgpr_dispatch_ptr 0
		.amdhsa_user_sgpr_queue_ptr 0
		.amdhsa_user_sgpr_kernarg_segment_ptr 1
		.amdhsa_user_sgpr_dispatch_id 0
		.amdhsa_user_sgpr_private_segment_size 0
		.amdhsa_wavefront_size32 1
		.amdhsa_uses_dynamic_stack 0
		.amdhsa_enable_private_segment 0
		.amdhsa_system_sgpr_workgroup_id_x 1
		.amdhsa_system_sgpr_workgroup_id_y 0
		.amdhsa_system_sgpr_workgroup_id_z 0
		.amdhsa_system_sgpr_workgroup_info 0
		.amdhsa_system_vgpr_workitem_id 0
		.amdhsa_next_free_vgpr 15
		.amdhsa_next_free_sgpr 16
		.amdhsa_reserve_vcc 1
		.amdhsa_float_round_mode_32 0
		.amdhsa_float_round_mode_16_64 0
		.amdhsa_float_denorm_mode_32 3
		.amdhsa_float_denorm_mode_16_64 3
		.amdhsa_dx10_clamp 1
		.amdhsa_ieee_mode 1
		.amdhsa_fp16_overflow 0
		.amdhsa_workgroup_processor_mode 1
		.amdhsa_memory_ordered 1
		.amdhsa_forward_progress 0
		.amdhsa_shared_vgpr_count 0
		.amdhsa_exception_fp_ieee_invalid_op 0
		.amdhsa_exception_fp_denorm_src 0
		.amdhsa_exception_fp_ieee_div_zero 0
		.amdhsa_exception_fp_ieee_overflow 0
		.amdhsa_exception_fp_ieee_underflow 0
		.amdhsa_exception_fp_ieee_inexact 0
		.amdhsa_exception_int_div_zero 0
	.end_amdhsa_kernel
	.section	.text._ZN5aiter24topk_softplus_kernel_optIf12hip_bfloat16Li64ELb0ELi1EEEvPKT_PKT0_PfPimiif,"axG",@progbits,_ZN5aiter24topk_softplus_kernel_optIf12hip_bfloat16Li64ELb0ELi1EEEvPKT_PKT0_PfPimiif,comdat
.Lfunc_end70:
	.size	_ZN5aiter24topk_softplus_kernel_optIf12hip_bfloat16Li64ELb0ELi1EEEvPKT_PKT0_PfPimiif, .Lfunc_end70-_ZN5aiter24topk_softplus_kernel_optIf12hip_bfloat16Li64ELb0ELi1EEEvPKT_PKT0_PfPimiif
                                        ; -- End function
	.section	.AMDGPU.csdata,"",@progbits
; Kernel info:
; codeLenInByte = 840
; NumSgprs: 18
; NumVgprs: 15
; ScratchSize: 0
; MemoryBound: 0
; FloatMode: 240
; IeeeMode: 1
; LDSByteSize: 0 bytes/workgroup (compile time only)
; SGPRBlocks: 2
; VGPRBlocks: 1
; NumSGPRsForWavesPerEU: 18
; NumVGPRsForWavesPerEU: 15
; Occupancy: 16
; WaveLimiterHint : 0
; COMPUTE_PGM_RSRC2:SCRATCH_EN: 0
; COMPUTE_PGM_RSRC2:USER_SGPR: 15
; COMPUTE_PGM_RSRC2:TRAP_HANDLER: 0
; COMPUTE_PGM_RSRC2:TGID_X_EN: 1
; COMPUTE_PGM_RSRC2:TGID_Y_EN: 0
; COMPUTE_PGM_RSRC2:TGID_Z_EN: 0
; COMPUTE_PGM_RSRC2:TIDIG_COMP_CNT: 0
	.section	.text._ZN5aiter24topk_softplus_kernel_optIf12hip_bfloat16Li128ELb1ELi1EEEvPKT_PKT0_PfPimiif,"axG",@progbits,_ZN5aiter24topk_softplus_kernel_optIf12hip_bfloat16Li128ELb1ELi1EEEvPKT_PKT0_PfPimiif,comdat
	.protected	_ZN5aiter24topk_softplus_kernel_optIf12hip_bfloat16Li128ELb1ELi1EEEvPKT_PKT0_PfPimiif ; -- Begin function _ZN5aiter24topk_softplus_kernel_optIf12hip_bfloat16Li128ELb1ELi1EEEvPKT_PKT0_PfPimiif
	.globl	_ZN5aiter24topk_softplus_kernel_optIf12hip_bfloat16Li128ELb1ELi1EEEvPKT_PKT0_PfPimiif
	.p2align	8
	.type	_ZN5aiter24topk_softplus_kernel_optIf12hip_bfloat16Li128ELb1ELi1EEEvPKT_PKT0_PfPimiif,@function
_ZN5aiter24topk_softplus_kernel_optIf12hip_bfloat16Li128ELb1ELi1EEEvPKT_PKT0_PfPimiif: ; @_ZN5aiter24topk_softplus_kernel_optIf12hip_bfloat16Li128ELb1ELi1EEEvPKT_PKT0_PfPimiif
; %bb.0:
	s_load_b128 s[4:7], s[0:1], 0x0
	s_lshl_b32 s2, s15, 7
	v_lshlrev_b32_e32 v3, 2, v0
	s_ashr_i32 s3, s2, 31
	v_lshlrev_b32_e32 v4, 1, v0
	s_lshl_b64 s[2:3], s[2:3], 2
	s_waitcnt lgkmcnt(0)
	s_add_u32 s4, s4, s2
	s_addc_u32 s5, s5, s3
	s_cmp_lg_u64 s[6:7], 0
	global_load_b32 v1, v3, s[4:5]
	s_cselect_b32 s2, -1, 0
	s_waitcnt vmcnt(0)
	v_mul_f32_e32 v2, 0xbfb8aa3b, v1
	s_delay_alu instid0(VALU_DEP_1) | instskip(SKIP_1) | instid1(VALU_DEP_1)
	v_cmp_gt_f32_e32 vcc_lo, 0xc2fc0000, v2
	v_cndmask_b32_e64 v2, 0, 0x42800000, vcc_lo
	v_fmac_f32_e32 v2, 0xbfb8aa3b, v1
	s_delay_alu instid0(VALU_DEP_1) | instskip(SKIP_4) | instid1(VALU_DEP_1)
	v_exp_f32_e32 v1, v2
	v_cndmask_b32_e64 v2, 1.0, 0x1f800000, vcc_lo
	s_and_b32 vcc_lo, exec_lo, s2
	s_waitcnt_depctr 0xfff
	v_fma_f32 v1, v1, v2, 1.0
	v_rcp_f32_e32 v6, v1
	v_add_co_u32 v1, s3, s4, v3
	s_delay_alu instid0(VALU_DEP_1)
	v_add_co_ci_u32_e64 v2, null, s5, 0, s3
	s_waitcnt_depctr 0xfff
	v_mov_b32_e32 v11, v6
	s_cbranch_vccz .LBB71_2
; %bb.1:
	global_load_u16 v5, v4, s[6:7]
	s_waitcnt vmcnt(0)
	v_lshlrev_b32_e32 v5, 16, v5
	s_delay_alu instid0(VALU_DEP_1)
	v_add_f32_e32 v11, v6, v5
.LBB71_2:
	global_load_b32 v5, v[1:2], off offset:128
	s_waitcnt vmcnt(0)
	v_mul_f32_e32 v7, 0xbfb8aa3b, v5
	s_delay_alu instid0(VALU_DEP_1) | instskip(SKIP_3) | instid1(VALU_DEP_2)
	v_cmp_gt_f32_e32 vcc_lo, 0xc2fc0000, v7
	v_cndmask_b32_e64 v8, 0, 0x42800000, vcc_lo
	v_cndmask_b32_e64 v7, 1.0, 0x1f800000, vcc_lo
	s_and_not1_b32 vcc_lo, exec_lo, s2
	v_fmac_f32_e32 v8, 0xbfb8aa3b, v5
	s_delay_alu instid0(VALU_DEP_1) | instskip(SKIP_3) | instid1(VALU_DEP_1)
	v_exp_f32_e32 v5, v8
	v_cndmask_b32_e64 v8, 0, 1, s2
	s_waitcnt_depctr 0xfff
	v_fma_f32 v5, v5, v7, 1.0
	v_rcp_f32_e32 v9, v5
	s_waitcnt_depctr 0xfff
	v_mov_b32_e32 v13, v9
	s_cbranch_vccnz .LBB71_4
; %bb.3:
	global_load_u16 v5, v4, s[6:7] offset:64
	s_waitcnt vmcnt(0)
	v_lshlrev_b32_e32 v5, 16, v5
	s_delay_alu instid0(VALU_DEP_1)
	v_add_f32_e32 v13, v9, v5
.LBB71_4:
	global_load_b32 v5, v[1:2], off offset:256
	s_waitcnt vmcnt(0)
	v_mul_f32_e32 v7, 0xbfb8aa3b, v5
	s_delay_alu instid0(VALU_DEP_1) | instskip(SKIP_3) | instid1(VALU_DEP_3)
	v_cmp_gt_f32_e32 vcc_lo, 0xc2fc0000, v7
	v_cndmask_b32_e64 v10, 0, 0x42800000, vcc_lo
	v_cndmask_b32_e64 v7, 1.0, 0x1f800000, vcc_lo
	v_cmp_ne_u32_e32 vcc_lo, 1, v8
	v_fmac_f32_e32 v10, 0xbfb8aa3b, v5
	s_and_b32 vcc_lo, exec_lo, vcc_lo
	s_delay_alu instid0(VALU_DEP_1) | instskip(SKIP_2) | instid1(VALU_DEP_1)
	v_exp_f32_e32 v5, v10
	s_waitcnt_depctr 0xfff
	v_fma_f32 v5, v5, v7, 1.0
	v_rcp_f32_e32 v5, v5
	s_waitcnt_depctr 0xfff
	v_mov_b32_e32 v7, v5
	s_cbranch_vccnz .LBB71_6
; %bb.5:
	global_load_u16 v7, v4, s[6:7] offset:128
	s_waitcnt vmcnt(0)
	v_lshlrev_b32_e32 v7, 16, v7
	s_delay_alu instid0(VALU_DEP_1)
	v_add_f32_e32 v7, v5, v7
.LBB71_6:
	global_load_b32 v1, v[1:2], off offset:384
	s_waitcnt vmcnt(0)
	v_mul_f32_e32 v2, 0xbfb8aa3b, v1
	s_delay_alu instid0(VALU_DEP_1) | instskip(SKIP_3) | instid1(VALU_DEP_3)
	v_cmp_gt_f32_e32 vcc_lo, 0xc2fc0000, v2
	v_cndmask_b32_e64 v10, 0, 0x42800000, vcc_lo
	v_cndmask_b32_e64 v2, 1.0, 0x1f800000, vcc_lo
	v_cmp_ne_u32_e32 vcc_lo, 1, v8
	v_fmac_f32_e32 v10, 0xbfb8aa3b, v1
	s_and_b32 vcc_lo, exec_lo, vcc_lo
	s_delay_alu instid0(VALU_DEP_1) | instskip(SKIP_2) | instid1(VALU_DEP_1)
	v_exp_f32_e32 v1, v10
	s_waitcnt_depctr 0xfff
	v_fma_f32 v1, v1, v2, 1.0
	v_rcp_f32_e32 v1, v1
	s_waitcnt_depctr 0xfff
	v_mov_b32_e32 v2, v1
	s_cbranch_vccnz .LBB71_8
; %bb.7:
	global_load_u16 v2, v4, s[6:7] offset:192
	s_waitcnt vmcnt(0)
	v_lshlrev_b32_e32 v2, 16, v2
	s_delay_alu instid0(VALU_DEP_1)
	v_add_f32_e32 v2, v1, v2
.LBB71_8:
	v_cmp_lt_f32_e32 vcc_lo, v11, v13
	v_add_nc_u32_e32 v12, 32, v0
	v_add_nc_u32_e32 v14, 64, v0
	v_dual_mov_b32 v15, v7 :: v_dual_add_nc_u32 v4, 0x60, v0
	v_cndmask_b32_e32 v8, v9, v6, vcc_lo
	v_dual_cndmask_b32 v6, v6, v9 :: v_dual_cndmask_b32 v9, v13, v11
	v_cndmask_b32_e32 v10, v12, v0, vcc_lo
	v_dual_cndmask_b32 v12, v0, v12 :: v_dual_cndmask_b32 v11, v11, v13
	s_mov_b32 s2, exec_lo
	v_cmpx_lt_f32_e32 v7, v2
	s_xor_b32 s2, exec_lo, s2
; %bb.9:
	v_dual_mov_b32 v13, v5 :: v_dual_mov_b32 v16, v7
	v_mov_b32_e32 v15, v14
	v_swap_b32 v5, v1
	v_swap_b32 v14, v4
	v_mov_b32_e32 v7, v2
	v_dual_mov_b32 v15, v2 :: v_dual_mov_b32 v2, v16
; %bb.10:
	s_or_b32 exec_lo, exec_lo, s2
	s_delay_alu instid0(VALU_DEP_2)
	v_cmp_lt_f32_e32 vcc_lo, v11, v7
	s_mov_b32 s2, exec_lo
	v_dual_cndmask_b32 v16, v5, v6 :: v_dual_cndmask_b32 v5, v6, v5
	v_dual_cndmask_b32 v13, v14, v12 :: v_dual_cndmask_b32 v6, v12, v14
	v_dual_cndmask_b32 v14, v15, v11 :: v_dual_mov_b32 v15, v9
	v_cndmask_b32_e32 v7, v11, v7, vcc_lo
	v_cmpx_lt_f32_e32 v9, v2
; %bb.11:
	v_mov_b32_e32 v17, v9
	v_dual_mov_b32 v11, v8 :: v_dual_mov_b32 v12, v10
	v_swap_b32 v8, v1
	v_swap_b32 v10, v4
	v_mov_b32_e32 v9, v2
	v_dual_mov_b32 v15, v2 :: v_dual_mov_b32 v2, v17
; %bb.12:
	s_or_b32 exec_lo, exec_lo, s2
	s_clause 0x1
	s_load_b32 s8, s[0:1], 0x28
	s_load_b128 s[4:7], s[0:1], 0x10
	v_mov_b32_e32 v11, 0
	s_waitcnt lgkmcnt(0)
	s_cmp_lt_i32 s8, 1
	s_cbranch_scc1 .LBB71_18
; %bb.13:
	v_cmp_lt_f32_e32 vcc_lo, v9, v14
	v_mov_b32_e32 v18, v0
	s_mov_b32 s9, 0x76543210
	s_mov_b32 s10, s8
	v_dual_mov_b32 v11, 0 :: v_dual_cndmask_b32 v12, v13, v10
	v_cndmask_b32_e32 v10, v10, v13, vcc_lo
	v_dual_cndmask_b32 v13, v14, v9 :: v_dual_cndmask_b32 v14, v15, v14
	v_cndmask_b32_e32 v15, v16, v8, vcc_lo
	v_dual_cndmask_b32 v16, v8, v16 :: v_dual_mov_b32 v17, 0
	v_dual_mov_b32 v8, 0 :: v_dual_mov_b32 v9, 0
.LBB71_14:                              ; =>This Inner Loop Header: Depth=1
	s_delay_alu instid0(VALU_DEP_2) | instskip(SKIP_1) | instid1(VALU_DEP_4)
	v_cmp_eq_u32_e32 vcc_lo, 1, v17
	v_cmp_eq_u32_e64 s2, 2, v17
	v_dual_cndmask_b32 v20, v6, v10 :: v_dual_cndmask_b32 v21, v5, v16
	s_delay_alu instid0(VALU_DEP_1) | instskip(SKIP_2) | instid1(VALU_DEP_4)
	v_cndmask_b32_e64 v20, v20, v12, s2
	v_cndmask_b32_e32 v19, v7, v14, vcc_lo
	v_cmp_eq_u32_e32 vcc_lo, 3, v17
	v_cndmask_b32_e64 v21, v21, v15, s2
	s_delay_alu instid0(VALU_DEP_4) | instskip(NEXT) | instid1(VALU_DEP_4)
	v_cndmask_b32_e32 v20, v20, v4, vcc_lo
	v_cndmask_b32_e64 v19, v19, v13, s2
	v_cmp_gt_u32_e64 s2, 4, v17
	s_delay_alu instid0(VALU_DEP_2) | instskip(NEXT) | instid1(VALU_DEP_2)
	v_cndmask_b32_e32 v19, v19, v2, vcc_lo
	v_cndmask_b32_e64 v22, 0, v20, s2
	s_delay_alu instid0(VALU_DEP_2)
	v_cndmask_b32_e64 v19, 0xff800000, v19, s2
	;;#ASMSTART
	v_max_f32 v23, v19, v19 quad_perm:[1,0,3,2] row_mask:0xf bank_mask:0xf bound_ctrl:1
	;;#ASMEND
	;;#ASMSTART
	v_max_f32 v24, v23, v23 quad_perm:[2,3,0,1] row_mask:0xf bank_mask:0xf bound_ctrl:1
	;;#ASMEND
	;;#ASMSTART
	v_max_f32 v23, v24, v24 row_half_mirror row_mask:0xf bank_mask:0xf bound_ctrl:1
	;;#ASMEND
	;;#ASMSTART
	v_max_f32 v24, v23, v23 row_mirror row_mask:0xf bank_mask:0xf bound_ctrl:1
	;;#ASMEND
	v_permlanex16_b32 v23, v24, s9, 0xfedcba98 op_sel:[1,1]
	s_delay_alu instid0(VALU_DEP_1) | instskip(NEXT) | instid1(VALU_DEP_1)
	v_dual_max_f32 v24, v24, v24 :: v_dual_max_f32 v23, v23, v23
	v_max_f32_e32 v23, v24, v23
	s_delay_alu instid0(VALU_DEP_1) | instskip(SKIP_1) | instid1(VALU_DEP_2)
	v_cmp_eq_f32_e64 s3, v19, v23
	v_cndmask_b32_e32 v19, v21, v1, vcc_lo
	s_ctz_i32_b32 s11, s3
	s_cmp_lg_u32 s3, 0
	s_cselect_b32 s3, s11, 0
	s_add_i32 s10, s10, -1
	v_readlane_b32 s3, v22, s3
	s_delay_alu instid0(VALU_DEP_1)
	v_cmp_eq_u32_e32 vcc_lo, s3, v20
	s_and_b32 vcc_lo, s2, vcc_lo
	s_and_b32 s2, s3, 31
	v_cndmask_b32_e32 v19, 0, v19, vcc_lo
	v_add_co_ci_u32_e32 v17, vcc_lo, 0, v17, vcc_lo
	s_cmp_eq_u32 s10, 0
	s_delay_alu instid0(VALU_DEP_2) | instskip(SKIP_1) | instid1(VALU_DEP_2)
	v_readlane_b32 s11, v19, s2
	v_cmp_eq_u32_e64 s2, 0, v18
	v_dual_add_f32 v11, s11, v11 :: v_dual_add_nc_u32 v18, -1, v18
	s_delay_alu instid0(VALU_DEP_2)
	v_cndmask_b32_e64 v9, v9, s11, s2
	v_cndmask_b32_e64 v8, v8, s3, s2
	s_cbranch_scc0 .LBB71_14
; %bb.15:
	s_mov_b32 s2, exec_lo
	v_cmpx_gt_i32_e64 s8, v0
	s_cbranch_execz .LBB71_17
.LBB71_16:
	s_load_b32 s2, s[0:1], 0x30
	v_max_f32_e32 v0, v11, v11
	s_load_b64 s[0:1], s[0:1], 0x20
	s_ashr_i32 s3, s15, 31
	s_delay_alu instid0(VALU_DEP_1) | instskip(SKIP_1) | instid1(VALU_DEP_1)
	v_max_f32_e32 v0, 0x1e3ce508, v0
	s_waitcnt lgkmcnt(0)
	v_div_scale_f32 v1, null, v0, v0, s2
	v_div_scale_f32 v5, vcc_lo, s2, v0, s2
	s_mul_i32 s1, s15, s1
	s_delay_alu instid0(VALU_DEP_2)
	v_rcp_f32_e32 v2, v1
	s_mul_hi_u32 s8, s15, s0
	s_mul_i32 s3, s3, s0
	s_add_i32 s1, s8, s1
	s_mul_i32 s0, s15, s0
	s_add_i32 s1, s1, s3
	s_delay_alu instid0(SALU_CYCLE_1) | instskip(SKIP_2) | instid1(VALU_DEP_1)
	s_lshl_b64 s[0:1], s[0:1], 2
	s_waitcnt_depctr 0xfff
	v_fma_f32 v4, -v1, v2, 1.0
	v_fmac_f32_e32 v2, v4, v2
	s_delay_alu instid0(VALU_DEP_1) | instskip(NEXT) | instid1(VALU_DEP_1)
	v_mul_f32_e32 v4, v5, v2
	v_fma_f32 v6, -v1, v4, v5
	s_delay_alu instid0(VALU_DEP_1) | instskip(NEXT) | instid1(VALU_DEP_1)
	v_fmac_f32_e32 v4, v6, v2
	v_fma_f32 v1, -v1, v4, v5
	s_delay_alu instid0(VALU_DEP_1) | instskip(NEXT) | instid1(VALU_DEP_1)
	v_div_fmas_f32 v1, v1, v2, v4
	v_div_fixup_f32 v0, v1, v0, s2
	s_add_u32 s2, s4, s0
	s_addc_u32 s3, s5, s1
	s_add_u32 s0, s6, s0
	s_addc_u32 s1, s7, s1
	v_mul_f32_e32 v0, v9, v0
	s_clause 0x1
	global_store_b32 v3, v0, s[2:3]
	global_store_b32 v3, v8, s[0:1]
.LBB71_17:
	s_nop 0
	s_sendmsg sendmsg(MSG_DEALLOC_VGPRS)
	s_endpgm
.LBB71_18:
	v_dual_mov_b32 v8, 0 :: v_dual_mov_b32 v9, 0
	s_mov_b32 s2, exec_lo
	v_cmpx_gt_i32_e64 s8, v0
	s_cbranch_execnz .LBB71_16
	s_branch .LBB71_17
	.section	.rodata,"a",@progbits
	.p2align	6, 0x0
	.amdhsa_kernel _ZN5aiter24topk_softplus_kernel_optIf12hip_bfloat16Li128ELb1ELi1EEEvPKT_PKT0_PfPimiif
		.amdhsa_group_segment_fixed_size 0
		.amdhsa_private_segment_fixed_size 0
		.amdhsa_kernarg_size 52
		.amdhsa_user_sgpr_count 15
		.amdhsa_user_sgpr_dispatch_ptr 0
		.amdhsa_user_sgpr_queue_ptr 0
		.amdhsa_user_sgpr_kernarg_segment_ptr 1
		.amdhsa_user_sgpr_dispatch_id 0
		.amdhsa_user_sgpr_private_segment_size 0
		.amdhsa_wavefront_size32 1
		.amdhsa_uses_dynamic_stack 0
		.amdhsa_enable_private_segment 0
		.amdhsa_system_sgpr_workgroup_id_x 1
		.amdhsa_system_sgpr_workgroup_id_y 0
		.amdhsa_system_sgpr_workgroup_id_z 0
		.amdhsa_system_sgpr_workgroup_info 0
		.amdhsa_system_vgpr_workitem_id 0
		.amdhsa_next_free_vgpr 25
		.amdhsa_next_free_sgpr 16
		.amdhsa_reserve_vcc 1
		.amdhsa_float_round_mode_32 0
		.amdhsa_float_round_mode_16_64 0
		.amdhsa_float_denorm_mode_32 3
		.amdhsa_float_denorm_mode_16_64 3
		.amdhsa_dx10_clamp 1
		.amdhsa_ieee_mode 1
		.amdhsa_fp16_overflow 0
		.amdhsa_workgroup_processor_mode 1
		.amdhsa_memory_ordered 1
		.amdhsa_forward_progress 0
		.amdhsa_shared_vgpr_count 0
		.amdhsa_exception_fp_ieee_invalid_op 0
		.amdhsa_exception_fp_denorm_src 0
		.amdhsa_exception_fp_ieee_div_zero 0
		.amdhsa_exception_fp_ieee_overflow 0
		.amdhsa_exception_fp_ieee_underflow 0
		.amdhsa_exception_fp_ieee_inexact 0
		.amdhsa_exception_int_div_zero 0
	.end_amdhsa_kernel
	.section	.text._ZN5aiter24topk_softplus_kernel_optIf12hip_bfloat16Li128ELb1ELi1EEEvPKT_PKT0_PfPimiif,"axG",@progbits,_ZN5aiter24topk_softplus_kernel_optIf12hip_bfloat16Li128ELb1ELi1EEEvPKT_PKT0_PfPimiif,comdat
.Lfunc_end71:
	.size	_ZN5aiter24topk_softplus_kernel_optIf12hip_bfloat16Li128ELb1ELi1EEEvPKT_PKT0_PfPimiif, .Lfunc_end71-_ZN5aiter24topk_softplus_kernel_optIf12hip_bfloat16Li128ELb1ELi1EEEvPKT_PKT0_PfPimiif
                                        ; -- End function
	.section	.AMDGPU.csdata,"",@progbits
; Kernel info:
; codeLenInByte = 1464
; NumSgprs: 18
; NumVgprs: 25
; ScratchSize: 0
; MemoryBound: 0
; FloatMode: 240
; IeeeMode: 1
; LDSByteSize: 0 bytes/workgroup (compile time only)
; SGPRBlocks: 2
; VGPRBlocks: 3
; NumSGPRsForWavesPerEU: 18
; NumVGPRsForWavesPerEU: 25
; Occupancy: 16
; WaveLimiterHint : 0
; COMPUTE_PGM_RSRC2:SCRATCH_EN: 0
; COMPUTE_PGM_RSRC2:USER_SGPR: 15
; COMPUTE_PGM_RSRC2:TRAP_HANDLER: 0
; COMPUTE_PGM_RSRC2:TGID_X_EN: 1
; COMPUTE_PGM_RSRC2:TGID_Y_EN: 0
; COMPUTE_PGM_RSRC2:TGID_Z_EN: 0
; COMPUTE_PGM_RSRC2:TIDIG_COMP_CNT: 0
	.section	.text._ZN5aiter24topk_softplus_kernel_optIf12hip_bfloat16Li128ELb0ELi1EEEvPKT_PKT0_PfPimiif,"axG",@progbits,_ZN5aiter24topk_softplus_kernel_optIf12hip_bfloat16Li128ELb0ELi1EEEvPKT_PKT0_PfPimiif,comdat
	.protected	_ZN5aiter24topk_softplus_kernel_optIf12hip_bfloat16Li128ELb0ELi1EEEvPKT_PKT0_PfPimiif ; -- Begin function _ZN5aiter24topk_softplus_kernel_optIf12hip_bfloat16Li128ELb0ELi1EEEvPKT_PKT0_PfPimiif
	.globl	_ZN5aiter24topk_softplus_kernel_optIf12hip_bfloat16Li128ELb0ELi1EEEvPKT_PKT0_PfPimiif
	.p2align	8
	.type	_ZN5aiter24topk_softplus_kernel_optIf12hip_bfloat16Li128ELb0ELi1EEEvPKT_PKT0_PfPimiif,@function
_ZN5aiter24topk_softplus_kernel_optIf12hip_bfloat16Li128ELb0ELi1EEEvPKT_PKT0_PfPimiif: ; @_ZN5aiter24topk_softplus_kernel_optIf12hip_bfloat16Li128ELb0ELi1EEEvPKT_PKT0_PfPimiif
; %bb.0:
	s_load_b128 s[4:7], s[0:1], 0x0
	s_lshl_b32 s2, s15, 7
	v_lshlrev_b32_e32 v3, 2, v0
	s_ashr_i32 s3, s2, 31
	v_lshlrev_b32_e32 v4, 1, v0
	s_lshl_b64 s[2:3], s[2:3], 2
	s_waitcnt lgkmcnt(0)
	s_add_u32 s4, s4, s2
	s_addc_u32 s5, s5, s3
	s_cmp_lg_u64 s[6:7], 0
	global_load_b32 v1, v3, s[4:5]
	s_cselect_b32 s2, -1, 0
	s_waitcnt vmcnt(0)
	v_mul_f32_e32 v2, 0xbfb8aa3b, v1
	s_delay_alu instid0(VALU_DEP_1) | instskip(SKIP_1) | instid1(VALU_DEP_1)
	v_cmp_gt_f32_e32 vcc_lo, 0xc2fc0000, v2
	v_cndmask_b32_e64 v2, 0, 0x42800000, vcc_lo
	v_fmac_f32_e32 v2, 0xbfb8aa3b, v1
	s_delay_alu instid0(VALU_DEP_1) | instskip(SKIP_4) | instid1(VALU_DEP_1)
	v_exp_f32_e32 v1, v2
	v_cndmask_b32_e64 v2, 1.0, 0x1f800000, vcc_lo
	s_and_b32 vcc_lo, exec_lo, s2
	s_waitcnt_depctr 0xfff
	v_fma_f32 v1, v1, v2, 1.0
	v_rcp_f32_e32 v6, v1
	v_add_co_u32 v1, s3, s4, v3
	s_delay_alu instid0(VALU_DEP_1)
	v_add_co_ci_u32_e64 v2, null, s5, 0, s3
	s_waitcnt_depctr 0xfff
	v_mov_b32_e32 v11, v6
	s_cbranch_vccz .LBB72_2
; %bb.1:
	global_load_u16 v5, v4, s[6:7]
	s_waitcnt vmcnt(0)
	v_lshlrev_b32_e32 v5, 16, v5
	s_delay_alu instid0(VALU_DEP_1)
	v_add_f32_e32 v11, v6, v5
.LBB72_2:
	global_load_b32 v5, v[1:2], off offset:128
	s_waitcnt vmcnt(0)
	v_mul_f32_e32 v7, 0xbfb8aa3b, v5
	s_delay_alu instid0(VALU_DEP_1) | instskip(SKIP_3) | instid1(VALU_DEP_2)
	v_cmp_gt_f32_e32 vcc_lo, 0xc2fc0000, v7
	v_cndmask_b32_e64 v8, 0, 0x42800000, vcc_lo
	v_cndmask_b32_e64 v7, 1.0, 0x1f800000, vcc_lo
	s_and_not1_b32 vcc_lo, exec_lo, s2
	v_fmac_f32_e32 v8, 0xbfb8aa3b, v5
	s_delay_alu instid0(VALU_DEP_1) | instskip(SKIP_3) | instid1(VALU_DEP_1)
	v_exp_f32_e32 v5, v8
	v_cndmask_b32_e64 v8, 0, 1, s2
	s_waitcnt_depctr 0xfff
	v_fma_f32 v5, v5, v7, 1.0
	v_rcp_f32_e32 v9, v5
	s_waitcnt_depctr 0xfff
	v_mov_b32_e32 v12, v9
	s_cbranch_vccnz .LBB72_4
; %bb.3:
	global_load_u16 v5, v4, s[6:7] offset:64
	s_waitcnt vmcnt(0)
	v_lshlrev_b32_e32 v5, 16, v5
	s_delay_alu instid0(VALU_DEP_1)
	v_add_f32_e32 v12, v9, v5
.LBB72_4:
	global_load_b32 v5, v[1:2], off offset:256
	s_waitcnt vmcnt(0)
	v_mul_f32_e32 v7, 0xbfb8aa3b, v5
	s_delay_alu instid0(VALU_DEP_1) | instskip(SKIP_3) | instid1(VALU_DEP_3)
	v_cmp_gt_f32_e32 vcc_lo, 0xc2fc0000, v7
	v_cndmask_b32_e64 v10, 0, 0x42800000, vcc_lo
	v_cndmask_b32_e64 v7, 1.0, 0x1f800000, vcc_lo
	v_cmp_ne_u32_e32 vcc_lo, 1, v8
	v_fmac_f32_e32 v10, 0xbfb8aa3b, v5
	s_and_b32 vcc_lo, exec_lo, vcc_lo
	s_delay_alu instid0(VALU_DEP_1) | instskip(SKIP_2) | instid1(VALU_DEP_1)
	v_exp_f32_e32 v5, v10
	s_waitcnt_depctr 0xfff
	v_fma_f32 v5, v5, v7, 1.0
	v_rcp_f32_e32 v5, v5
	s_waitcnt_depctr 0xfff
	v_mov_b32_e32 v7, v5
	s_cbranch_vccnz .LBB72_6
; %bb.5:
	global_load_u16 v7, v4, s[6:7] offset:128
	s_waitcnt vmcnt(0)
	v_lshlrev_b32_e32 v7, 16, v7
	s_delay_alu instid0(VALU_DEP_1)
	v_add_f32_e32 v7, v5, v7
.LBB72_6:
	global_load_b32 v1, v[1:2], off offset:384
	s_waitcnt vmcnt(0)
	v_mul_f32_e32 v2, 0xbfb8aa3b, v1
	s_delay_alu instid0(VALU_DEP_1) | instskip(SKIP_3) | instid1(VALU_DEP_3)
	v_cmp_gt_f32_e32 vcc_lo, 0xc2fc0000, v2
	v_cndmask_b32_e64 v10, 0, 0x42800000, vcc_lo
	v_cndmask_b32_e64 v2, 1.0, 0x1f800000, vcc_lo
	v_cmp_ne_u32_e32 vcc_lo, 1, v8
	v_fmac_f32_e32 v10, 0xbfb8aa3b, v1
	s_and_b32 vcc_lo, exec_lo, vcc_lo
	s_delay_alu instid0(VALU_DEP_1) | instskip(SKIP_2) | instid1(VALU_DEP_1)
	v_exp_f32_e32 v1, v10
	s_waitcnt_depctr 0xfff
	v_fma_f32 v1, v1, v2, 1.0
	v_rcp_f32_e32 v1, v1
	s_waitcnt_depctr 0xfff
	v_mov_b32_e32 v2, v1
	s_cbranch_vccnz .LBB72_8
; %bb.7:
	global_load_u16 v2, v4, s[6:7] offset:192
	s_waitcnt vmcnt(0)
	v_lshlrev_b32_e32 v2, 16, v2
	s_delay_alu instid0(VALU_DEP_1)
	v_add_f32_e32 v2, v1, v2
.LBB72_8:
	v_cmp_lt_f32_e32 vcc_lo, v11, v12
	v_add_nc_u32_e32 v13, 32, v0
	v_add_nc_u32_e32 v4, 0x60, v0
	v_mov_b32_e32 v16, v7
	s_mov_b32 s2, exec_lo
	v_cndmask_b32_e32 v8, v9, v6, vcc_lo
	v_add_nc_u32_e32 v14, 64, v0
	v_cndmask_b32_e32 v6, v6, v9, vcc_lo
	v_dual_cndmask_b32 v10, v13, v0 :: v_dual_cndmask_b32 v13, v0, v13
	v_cndmask_b32_e32 v9, v12, v11, vcc_lo
	v_cndmask_b32_e32 v11, v11, v12, vcc_lo
	v_cmpx_lt_f32_e32 v7, v2
	s_xor_b32 s2, exec_lo, s2
; %bb.9:
	v_dual_mov_b32 v17, v7 :: v_dual_mov_b32 v16, v2
	v_dual_mov_b32 v12, v5 :: v_dual_mov_b32 v15, v14
	v_swap_b32 v5, v1
	v_swap_b32 v14, v4
	s_delay_alu instid0(VALU_DEP_4)
	v_dual_mov_b32 v7, v2 :: v_dual_mov_b32 v2, v17
; %bb.10:
	s_or_b32 exec_lo, exec_lo, s2
	s_delay_alu instid0(VALU_DEP_1) | instskip(SKIP_1) | instid1(VALU_DEP_3)
	v_cmp_lt_f32_e32 vcc_lo, v11, v7
	s_mov_b32 s2, exec_lo
	v_dual_cndmask_b32 v15, v5, v6 :: v_dual_cndmask_b32 v12, v14, v13
	v_dual_cndmask_b32 v5, v6, v5 :: v_dual_cndmask_b32 v6, v13, v14
	v_dual_cndmask_b32 v13, v16, v11 :: v_dual_mov_b32 v14, v9
	v_cndmask_b32_e32 v7, v11, v7, vcc_lo
	v_cmpx_lt_f32_e32 v9, v2
; %bb.11:
	v_dual_mov_b32 v16, v9 :: v_dual_mov_b32 v9, v2
	v_dual_mov_b32 v11, v8 :: v_dual_mov_b32 v14, v10
	v_swap_b32 v8, v1
	v_swap_b32 v10, v4
	v_mov_b32_e32 v14, v2
	v_mov_b32_e32 v2, v16
; %bb.12:
	s_or_b32 exec_lo, exec_lo, s2
	s_clause 0x1
	s_load_b32 s8, s[0:1], 0x28
	s_load_b128 s[4:7], s[0:1], 0x10
	s_waitcnt lgkmcnt(0)
	s_cmp_lt_i32 s8, 1
	s_cbranch_scc1 .LBB72_18
; %bb.13:
	v_cmp_lt_f32_e32 vcc_lo, v9, v13
	v_dual_mov_b32 v16, 0 :: v_dual_mov_b32 v17, v0
	s_mov_b32 s9, 0x76543210
	s_mov_b32 s10, s8
	v_dual_cndmask_b32 v11, v12, v10 :: v_dual_cndmask_b32 v10, v10, v12
	v_cndmask_b32_e32 v12, v13, v9, vcc_lo
	v_dual_cndmask_b32 v13, v14, v13 :: v_dual_cndmask_b32 v14, v15, v8
	v_cndmask_b32_e32 v15, v8, v15, vcc_lo
	v_dual_mov_b32 v9, 0 :: v_dual_mov_b32 v8, 0
.LBB72_14:                              ; =>This Inner Loop Header: Depth=1
	v_cmp_eq_u32_e32 vcc_lo, 1, v16
	v_cmp_eq_u32_e64 s2, 2, v16
	v_cmp_gt_u32_e64 s3, 4, v16
	v_dual_cndmask_b32 v18, v7, v13 :: v_dual_cndmask_b32 v19, v6, v10
	v_cndmask_b32_e32 v20, v5, v15, vcc_lo
	v_cmp_eq_u32_e32 vcc_lo, 3, v16
	s_delay_alu instid0(VALU_DEP_3) | instskip(NEXT) | instid1(VALU_DEP_4)
	v_cndmask_b32_e64 v18, v18, v12, s2
	v_cndmask_b32_e64 v19, v19, v11, s2
	s_delay_alu instid0(VALU_DEP_1) | instskip(NEXT) | instid1(VALU_DEP_1)
	v_dual_cndmask_b32 v18, v18, v2 :: v_dual_cndmask_b32 v19, v19, v4
	v_cndmask_b32_e64 v18, 0xff800000, v18, s3
	;;#ASMSTART
	v_max_f32 v21, v18, v18 quad_perm:[1,0,3,2] row_mask:0xf bank_mask:0xf bound_ctrl:1
	;;#ASMEND
	;;#ASMSTART
	v_max_f32 v22, v21, v21 quad_perm:[2,3,0,1] row_mask:0xf bank_mask:0xf bound_ctrl:1
	;;#ASMEND
	;;#ASMSTART
	v_max_f32 v21, v22, v22 row_half_mirror row_mask:0xf bank_mask:0xf bound_ctrl:1
	;;#ASMEND
	;;#ASMSTART
	v_max_f32 v22, v21, v21 row_mirror row_mask:0xf bank_mask:0xf bound_ctrl:1
	;;#ASMEND
	v_permlanex16_b32 v21, v22, s9, 0xfedcba98 op_sel:[1,1]
	s_delay_alu instid0(VALU_DEP_1) | instskip(NEXT) | instid1(VALU_DEP_1)
	v_dual_max_f32 v22, v22, v22 :: v_dual_max_f32 v21, v21, v21
	v_max_f32_e32 v21, v22, v21
	v_cndmask_b32_e64 v20, v20, v14, s2
	s_delay_alu instid0(VALU_DEP_2) | instskip(SKIP_1) | instid1(VALU_DEP_2)
	v_cmp_eq_f32_e64 s2, v18, v21
	v_cndmask_b32_e64 v18, 0, v19, s3
	s_ctz_i32_b32 s11, s2
	s_cmp_lg_u32 s2, 0
	s_cselect_b32 s2, s11, 0
	s_add_i32 s10, s10, -1
	v_readlane_b32 s11, v18, s2
	v_cndmask_b32_e32 v18, v20, v1, vcc_lo
	s_delay_alu instid0(VALU_DEP_2)
	v_cmp_eq_u32_e32 vcc_lo, s11, v19
	s_and_b32 s2, s11, 31
	s_and_b32 vcc_lo, s3, vcc_lo
	s_cmp_eq_u32 s10, 0
	v_cndmask_b32_e32 v18, 0, v18, vcc_lo
	v_add_co_ci_u32_e32 v16, vcc_lo, 0, v16, vcc_lo
	s_delay_alu instid0(VALU_DEP_2) | instskip(SKIP_2) | instid1(VALU_DEP_2)
	v_readlane_b32 s3, v18, s2
	v_cmp_eq_u32_e64 s2, 0, v17
	v_add_nc_u32_e32 v17, -1, v17
	v_cndmask_b32_e64 v9, v9, s3, s2
	v_cndmask_b32_e64 v8, v8, s11, s2
	s_cbranch_scc0 .LBB72_14
; %bb.15:
	s_mov_b32 s2, exec_lo
	v_cmpx_gt_i32_e64 s8, v0
	s_cbranch_execz .LBB72_17
.LBB72_16:
	s_clause 0x1
	s_load_b64 s[2:3], s[0:1], 0x20
	s_load_b32 s8, s[0:1], 0x30
	s_ashr_i32 s0, s15, 31
	s_waitcnt lgkmcnt(0)
	s_mul_i32 s1, s15, s3
	s_mul_hi_u32 s3, s15, s2
	s_mul_i32 s0, s0, s2
	s_add_i32 s1, s3, s1
	v_mul_f32_e32 v0, s8, v9
	s_add_i32 s1, s1, s0
	s_mul_i32 s0, s15, s2
	s_delay_alu instid0(SALU_CYCLE_1) | instskip(NEXT) | instid1(SALU_CYCLE_1)
	s_lshl_b64 s[0:1], s[0:1], 2
	s_add_u32 s2, s4, s0
	s_addc_u32 s3, s5, s1
	s_add_u32 s0, s6, s0
	s_addc_u32 s1, s7, s1
	s_clause 0x1
	global_store_b32 v3, v0, s[2:3]
	global_store_b32 v3, v8, s[0:1]
.LBB72_17:
	s_nop 0
	s_sendmsg sendmsg(MSG_DEALLOC_VGPRS)
	s_endpgm
.LBB72_18:
	v_dual_mov_b32 v8, 0 :: v_dual_mov_b32 v9, 0
	s_mov_b32 s2, exec_lo
	v_cmpx_gt_i32_e64 s8, v0
	s_cbranch_execnz .LBB72_16
	s_branch .LBB72_17
	.section	.rodata,"a",@progbits
	.p2align	6, 0x0
	.amdhsa_kernel _ZN5aiter24topk_softplus_kernel_optIf12hip_bfloat16Li128ELb0ELi1EEEvPKT_PKT0_PfPimiif
		.amdhsa_group_segment_fixed_size 0
		.amdhsa_private_segment_fixed_size 0
		.amdhsa_kernarg_size 52
		.amdhsa_user_sgpr_count 15
		.amdhsa_user_sgpr_dispatch_ptr 0
		.amdhsa_user_sgpr_queue_ptr 0
		.amdhsa_user_sgpr_kernarg_segment_ptr 1
		.amdhsa_user_sgpr_dispatch_id 0
		.amdhsa_user_sgpr_private_segment_size 0
		.amdhsa_wavefront_size32 1
		.amdhsa_uses_dynamic_stack 0
		.amdhsa_enable_private_segment 0
		.amdhsa_system_sgpr_workgroup_id_x 1
		.amdhsa_system_sgpr_workgroup_id_y 0
		.amdhsa_system_sgpr_workgroup_id_z 0
		.amdhsa_system_sgpr_workgroup_info 0
		.amdhsa_system_vgpr_workitem_id 0
		.amdhsa_next_free_vgpr 23
		.amdhsa_next_free_sgpr 16
		.amdhsa_reserve_vcc 1
		.amdhsa_float_round_mode_32 0
		.amdhsa_float_round_mode_16_64 0
		.amdhsa_float_denorm_mode_32 3
		.amdhsa_float_denorm_mode_16_64 3
		.amdhsa_dx10_clamp 1
		.amdhsa_ieee_mode 1
		.amdhsa_fp16_overflow 0
		.amdhsa_workgroup_processor_mode 1
		.amdhsa_memory_ordered 1
		.amdhsa_forward_progress 0
		.amdhsa_shared_vgpr_count 0
		.amdhsa_exception_fp_ieee_invalid_op 0
		.amdhsa_exception_fp_denorm_src 0
		.amdhsa_exception_fp_ieee_div_zero 0
		.amdhsa_exception_fp_ieee_overflow 0
		.amdhsa_exception_fp_ieee_underflow 0
		.amdhsa_exception_fp_ieee_inexact 0
		.amdhsa_exception_int_div_zero 0
	.end_amdhsa_kernel
	.section	.text._ZN5aiter24topk_softplus_kernel_optIf12hip_bfloat16Li128ELb0ELi1EEEvPKT_PKT0_PfPimiif,"axG",@progbits,_ZN5aiter24topk_softplus_kernel_optIf12hip_bfloat16Li128ELb0ELi1EEEvPKT_PKT0_PfPimiif,comdat
.Lfunc_end72:
	.size	_ZN5aiter24topk_softplus_kernel_optIf12hip_bfloat16Li128ELb0ELi1EEEvPKT_PKT0_PfPimiif, .Lfunc_end72-_ZN5aiter24topk_softplus_kernel_optIf12hip_bfloat16Li128ELb0ELi1EEEvPKT_PKT0_PfPimiif
                                        ; -- End function
	.section	.AMDGPU.csdata,"",@progbits
; Kernel info:
; codeLenInByte = 1336
; NumSgprs: 18
; NumVgprs: 23
; ScratchSize: 0
; MemoryBound: 0
; FloatMode: 240
; IeeeMode: 1
; LDSByteSize: 0 bytes/workgroup (compile time only)
; SGPRBlocks: 2
; VGPRBlocks: 2
; NumSGPRsForWavesPerEU: 18
; NumVGPRsForWavesPerEU: 23
; Occupancy: 16
; WaveLimiterHint : 0
; COMPUTE_PGM_RSRC2:SCRATCH_EN: 0
; COMPUTE_PGM_RSRC2:USER_SGPR: 15
; COMPUTE_PGM_RSRC2:TRAP_HANDLER: 0
; COMPUTE_PGM_RSRC2:TGID_X_EN: 1
; COMPUTE_PGM_RSRC2:TGID_Y_EN: 0
; COMPUTE_PGM_RSRC2:TGID_Z_EN: 0
; COMPUTE_PGM_RSRC2:TIDIG_COMP_CNT: 0
	.section	.text._ZN5aiter24topk_softplus_kernel_optIf12hip_bfloat16Li256ELb1ELi1EEEvPKT_PKT0_PfPimiif,"axG",@progbits,_ZN5aiter24topk_softplus_kernel_optIf12hip_bfloat16Li256ELb1ELi1EEEvPKT_PKT0_PfPimiif,comdat
	.protected	_ZN5aiter24topk_softplus_kernel_optIf12hip_bfloat16Li256ELb1ELi1EEEvPKT_PKT0_PfPimiif ; -- Begin function _ZN5aiter24topk_softplus_kernel_optIf12hip_bfloat16Li256ELb1ELi1EEEvPKT_PKT0_PfPimiif
	.globl	_ZN5aiter24topk_softplus_kernel_optIf12hip_bfloat16Li256ELb1ELi1EEEvPKT_PKT0_PfPimiif
	.p2align	8
	.type	_ZN5aiter24topk_softplus_kernel_optIf12hip_bfloat16Li256ELb1ELi1EEEvPKT_PKT0_PfPimiif,@function
_ZN5aiter24topk_softplus_kernel_optIf12hip_bfloat16Li256ELb1ELi1EEEvPKT_PKT0_PfPimiif: ; @_ZN5aiter24topk_softplus_kernel_optIf12hip_bfloat16Li256ELb1ELi1EEEvPKT_PKT0_PfPimiif
; %bb.0:
	s_load_b128 s[4:7], s[0:1], 0x0
	s_lshl_b32 s2, s15, 8
	v_lshlrev_b32_e32 v103, 2, v0
	s_ashr_i32 s3, s2, 31
	v_lshlrev_b32_e32 v3, 1, v0
	s_lshl_b64 s[2:3], s[2:3], 2
	s_waitcnt lgkmcnt(0)
	s_add_u32 s4, s4, s2
	s_addc_u32 s5, s5, s3
	s_cmp_lg_u64 s[6:7], 0
	global_load_b32 v1, v103, s[4:5]
	s_cselect_b32 s2, -1, 0
	s_waitcnt vmcnt(0)
	v_mul_f32_e32 v2, 0xbfb8aa3b, v1
	s_delay_alu instid0(VALU_DEP_1) | instskip(SKIP_1) | instid1(VALU_DEP_1)
	v_cmp_gt_f32_e32 vcc_lo, 0xc2fc0000, v2
	v_cndmask_b32_e64 v2, 0, 0x42800000, vcc_lo
	v_fmac_f32_e32 v2, 0xbfb8aa3b, v1
	s_delay_alu instid0(VALU_DEP_1) | instskip(SKIP_4) | instid1(VALU_DEP_1)
	v_exp_f32_e32 v1, v2
	v_cndmask_b32_e64 v2, 1.0, 0x1f800000, vcc_lo
	s_and_b32 vcc_lo, exec_lo, s2
	s_waitcnt_depctr 0xfff
	v_fma_f32 v1, v1, v2, 1.0
	v_rcp_f32_e32 v48, v1
	v_add_co_u32 v1, s3, s4, v103
	s_delay_alu instid0(VALU_DEP_1)
	v_add_co_ci_u32_e64 v2, null, s5, 0, s3
	s_waitcnt_depctr 0xfff
	v_mov_b32_e32 v32, v48
	s_cbranch_vccz .LBB73_2
; %bb.1:
	global_load_u16 v4, v3, s[6:7]
	s_waitcnt vmcnt(0)
	v_lshlrev_b32_e32 v4, 16, v4
	s_delay_alu instid0(VALU_DEP_1)
	v_add_f32_e32 v32, v48, v4
.LBB73_2:
	global_load_b32 v4, v[1:2], off offset:128
	s_waitcnt vmcnt(0)
	v_mul_f32_e32 v5, 0xbfb8aa3b, v4
	s_delay_alu instid0(VALU_DEP_1) | instskip(SKIP_3) | instid1(VALU_DEP_2)
	v_cmp_gt_f32_e32 vcc_lo, 0xc2fc0000, v5
	v_cndmask_b32_e64 v6, 0, 0x42800000, vcc_lo
	v_cndmask_b32_e64 v5, 1.0, 0x1f800000, vcc_lo
	s_and_not1_b32 vcc_lo, exec_lo, s2
	v_fmac_f32_e32 v6, 0xbfb8aa3b, v4
	s_delay_alu instid0(VALU_DEP_1) | instskip(SKIP_2) | instid1(VALU_DEP_1)
	v_exp_f32_e32 v4, v6
	s_waitcnt_depctr 0xfff
	v_fma_f32 v4, v4, v5, 1.0
	v_rcp_f32_e32 v17, v4
	v_cndmask_b32_e64 v4, 0, 1, s2
	s_waitcnt_depctr 0xfff
	v_mov_b32_e32 v33, v17
	s_cbranch_vccnz .LBB73_4
; %bb.3:
	global_load_u16 v5, v3, s[6:7] offset:64
	s_waitcnt vmcnt(0)
	v_lshlrev_b32_e32 v5, 16, v5
	s_delay_alu instid0(VALU_DEP_1)
	v_add_f32_e32 v33, v17, v5
.LBB73_4:
	global_load_b32 v5, v[1:2], off offset:256
	s_waitcnt vmcnt(0)
	v_mul_f32_e32 v6, 0xbfb8aa3b, v5
	s_delay_alu instid0(VALU_DEP_1) | instskip(SKIP_3) | instid1(VALU_DEP_3)
	v_cmp_gt_f32_e32 vcc_lo, 0xc2fc0000, v6
	v_cndmask_b32_e64 v7, 0, 0x42800000, vcc_lo
	v_cndmask_b32_e64 v6, 1.0, 0x1f800000, vcc_lo
	v_cmp_ne_u32_e32 vcc_lo, 1, v4
	v_fmac_f32_e32 v7, 0xbfb8aa3b, v5
	s_and_b32 vcc_lo, exec_lo, vcc_lo
	s_delay_alu instid0(VALU_DEP_1) | instskip(SKIP_2) | instid1(VALU_DEP_1)
	v_exp_f32_e32 v5, v7
	s_waitcnt_depctr 0xfff
	v_fma_f32 v5, v5, v6, 1.0
	v_rcp_f32_e32 v18, v5
	s_waitcnt_depctr 0xfff
	v_mov_b32_e32 v34, v18
	s_cbranch_vccnz .LBB73_6
; %bb.5:
	global_load_u16 v5, v3, s[6:7] offset:128
	s_waitcnt vmcnt(0)
	v_lshlrev_b32_e32 v5, 16, v5
	s_delay_alu instid0(VALU_DEP_1)
	v_add_f32_e32 v34, v18, v5
.LBB73_6:
	global_load_b32 v5, v[1:2], off offset:384
	s_waitcnt vmcnt(0)
	v_mul_f32_e32 v6, 0xbfb8aa3b, v5
	s_delay_alu instid0(VALU_DEP_1) | instskip(SKIP_3) | instid1(VALU_DEP_3)
	v_cmp_gt_f32_e32 vcc_lo, 0xc2fc0000, v6
	v_cndmask_b32_e64 v7, 0, 0x42800000, vcc_lo
	v_cndmask_b32_e64 v6, 1.0, 0x1f800000, vcc_lo
	v_cmp_ne_u32_e32 vcc_lo, 1, v4
	v_fmac_f32_e32 v7, 0xbfb8aa3b, v5
	s_and_b32 vcc_lo, exec_lo, vcc_lo
	s_delay_alu instid0(VALU_DEP_1) | instskip(SKIP_2) | instid1(VALU_DEP_1)
	v_exp_f32_e32 v5, v7
	s_waitcnt_depctr 0xfff
	v_fma_f32 v5, v5, v6, 1.0
	v_rcp_f32_e32 v19, v5
	s_waitcnt_depctr 0xfff
	v_mov_b32_e32 v35, v19
	s_cbranch_vccnz .LBB73_8
; %bb.7:
	global_load_u16 v5, v3, s[6:7] offset:192
	s_waitcnt vmcnt(0)
	v_lshlrev_b32_e32 v5, 16, v5
	s_delay_alu instid0(VALU_DEP_1)
	v_add_f32_e32 v35, v19, v5
.LBB73_8:
	global_load_b32 v5, v[1:2], off offset:512
	s_waitcnt vmcnt(0)
	v_mul_f32_e32 v6, 0xbfb8aa3b, v5
	s_delay_alu instid0(VALU_DEP_1) | instskip(SKIP_3) | instid1(VALU_DEP_3)
	v_cmp_gt_f32_e32 vcc_lo, 0xc2fc0000, v6
	v_cndmask_b32_e64 v7, 0, 0x42800000, vcc_lo
	v_cndmask_b32_e64 v6, 1.0, 0x1f800000, vcc_lo
	v_cmp_ne_u32_e32 vcc_lo, 1, v4
	v_fmac_f32_e32 v7, 0xbfb8aa3b, v5
	s_and_b32 vcc_lo, exec_lo, vcc_lo
	s_delay_alu instid0(VALU_DEP_1) | instskip(SKIP_2) | instid1(VALU_DEP_1)
	v_exp_f32_e32 v5, v7
	s_waitcnt_depctr 0xfff
	v_fma_f32 v5, v5, v6, 1.0
	v_rcp_f32_e32 v20, v5
	s_waitcnt_depctr 0xfff
	v_mov_b32_e32 v36, v20
	s_cbranch_vccnz .LBB73_10
; %bb.9:
	global_load_u16 v5, v3, s[6:7] offset:256
	s_waitcnt vmcnt(0)
	v_lshlrev_b32_e32 v5, 16, v5
	s_delay_alu instid0(VALU_DEP_1)
	v_add_f32_e32 v36, v20, v5
.LBB73_10:
	global_load_b32 v5, v[1:2], off offset:640
	s_waitcnt vmcnt(0)
	v_mul_f32_e32 v6, 0xbfb8aa3b, v5
	s_delay_alu instid0(VALU_DEP_1) | instskip(SKIP_3) | instid1(VALU_DEP_3)
	v_cmp_gt_f32_e32 vcc_lo, 0xc2fc0000, v6
	v_cndmask_b32_e64 v7, 0, 0x42800000, vcc_lo
	v_cndmask_b32_e64 v6, 1.0, 0x1f800000, vcc_lo
	v_cmp_ne_u32_e32 vcc_lo, 1, v4
	v_fmac_f32_e32 v7, 0xbfb8aa3b, v5
	s_and_b32 vcc_lo, exec_lo, vcc_lo
	s_delay_alu instid0(VALU_DEP_1) | instskip(SKIP_2) | instid1(VALU_DEP_1)
	v_exp_f32_e32 v5, v7
	s_waitcnt_depctr 0xfff
	v_fma_f32 v5, v5, v6, 1.0
	v_rcp_f32_e32 v21, v5
	s_waitcnt_depctr 0xfff
	v_mov_b32_e32 v37, v21
	s_cbranch_vccnz .LBB73_12
; %bb.11:
	global_load_u16 v5, v3, s[6:7] offset:320
	s_waitcnt vmcnt(0)
	v_lshlrev_b32_e32 v5, 16, v5
	s_delay_alu instid0(VALU_DEP_1)
	v_add_f32_e32 v37, v21, v5
.LBB73_12:
	global_load_b32 v5, v[1:2], off offset:768
	s_waitcnt vmcnt(0)
	v_mul_f32_e32 v6, 0xbfb8aa3b, v5
	s_delay_alu instid0(VALU_DEP_1) | instskip(SKIP_3) | instid1(VALU_DEP_3)
	v_cmp_gt_f32_e32 vcc_lo, 0xc2fc0000, v6
	v_cndmask_b32_e64 v7, 0, 0x42800000, vcc_lo
	v_cndmask_b32_e64 v6, 1.0, 0x1f800000, vcc_lo
	v_cmp_ne_u32_e32 vcc_lo, 1, v4
	v_fmac_f32_e32 v7, 0xbfb8aa3b, v5
	s_and_b32 vcc_lo, exec_lo, vcc_lo
	s_delay_alu instid0(VALU_DEP_1) | instskip(SKIP_2) | instid1(VALU_DEP_1)
	v_exp_f32_e32 v5, v7
	s_waitcnt_depctr 0xfff
	v_fma_f32 v5, v5, v6, 1.0
	v_rcp_f32_e32 v22, v5
	s_waitcnt_depctr 0xfff
	v_mov_b32_e32 v38, v22
	s_cbranch_vccnz .LBB73_14
; %bb.13:
	global_load_u16 v5, v3, s[6:7] offset:384
	s_waitcnt vmcnt(0)
	v_lshlrev_b32_e32 v5, 16, v5
	s_delay_alu instid0(VALU_DEP_1)
	v_add_f32_e32 v38, v22, v5
.LBB73_14:
	global_load_b32 v1, v[1:2], off offset:896
	s_waitcnt vmcnt(0)
	v_mul_f32_e32 v2, 0xbfb8aa3b, v1
	s_delay_alu instid0(VALU_DEP_1) | instskip(SKIP_3) | instid1(VALU_DEP_3)
	v_cmp_gt_f32_e32 vcc_lo, 0xc2fc0000, v2
	v_cndmask_b32_e64 v5, 0, 0x42800000, vcc_lo
	v_cndmask_b32_e64 v2, 1.0, 0x1f800000, vcc_lo
	v_cmp_ne_u32_e32 vcc_lo, 1, v4
	v_fmac_f32_e32 v5, 0xbfb8aa3b, v1
	s_delay_alu instid0(VALU_DEP_1) | instskip(SKIP_2) | instid1(VALU_DEP_1)
	v_exp_f32_e32 v1, v5
	s_waitcnt_depctr 0xfff
	v_fma_f32 v1, v1, v2, 1.0
	v_rcp_f32_e32 v23, v1
	s_cbranch_vccnz .LBB73_16
; %bb.15:
	global_load_u16 v1, v3, s[6:7] offset:448
	s_waitcnt vmcnt(0)
	v_lshlrev_b32_e32 v1, 16, v1
	s_delay_alu instid0(VALU_DEP_1)
	v_add_f32_e32 v39, v23, v1
	s_branch .LBB73_17
.LBB73_16:
	s_waitcnt_depctr 0xfff
	v_mov_b32_e32 v39, v23
.LBB73_17:
	v_add_nc_u32_e32 v7, 0xe0, v0
	v_dual_mov_b32 v8, v32 :: v_dual_add_nc_u32 v1, 32, v0
	v_dual_mov_b32 v9, v33 :: v_dual_add_nc_u32 v2, 64, v0
	;; [unrolled: 1-line block ×6, first 2 shown]
	v_dual_mov_b32 v14, v38 :: v_dual_mov_b32 v31, v7
	s_delay_alu instid0(VALU_DEP_2)
	v_dual_mov_b32 v47, v7 :: v_dual_mov_b32 v46, v6
	v_dual_mov_b32 v78, v7 :: v_dual_mov_b32 v77, v6
	v_dual_mov_b32 v70, v7 :: v_dual_mov_b32 v69, v6
	v_dual_mov_b32 v30, v6 :: v_dual_mov_b32 v29, v5
	v_dual_mov_b32 v28, v4 :: v_dual_mov_b32 v27, v3
	v_dual_mov_b32 v26, v2 :: v_dual_mov_b32 v25, v1
	v_dual_mov_b32 v24, v0 :: v_dual_mov_b32 v45, v5
	v_dual_mov_b32 v44, v4 :: v_dual_mov_b32 v43, v3
	v_dual_mov_b32 v42, v2 :: v_dual_mov_b32 v41, v1
	v_mov_b32_e32 v40, v0
	v_dual_mov_b32 v76, v5 :: v_dual_mov_b32 v75, v4
	v_dual_mov_b32 v74, v3 :: v_dual_mov_b32 v73, v2
	;; [unrolled: 1-line block ×7, first 2 shown]
	s_mov_b32 s2, exec_lo
	v_cmpx_lt_f32_e32 v32, v33
	s_xor_b32 s2, exec_lo, s2
	s_cbranch_execz .LBB73_19
; %bb.18:
	v_dual_mov_b32 v30, v6 :: v_dual_mov_b32 v31, v7
	v_dual_mov_b32 v24, v1 :: v_dual_mov_b32 v25, v0
	;; [unrolled: 1-line block ×4, first 2 shown]
	s_delay_alu instid0(VALU_DEP_4)
	v_dual_mov_b32 v47, v31 :: v_dual_mov_b32 v46, v30
	v_dual_mov_b32 v78, v31 :: v_dual_mov_b32 v77, v30
	;; [unrolled: 1-line block ×17, first 2 shown]
	v_mov_b32_e32 v17, v48
	v_mov_b32_e32 v1, v0
.LBB73_19:
	s_or_b32 exec_lo, exec_lo, s2
	v_dual_mov_b32 v62, v23 :: v_dual_mov_b32 v61, v22
	v_dual_mov_b32 v86, v23 :: v_dual_mov_b32 v85, v22
	;; [unrolled: 1-line block ×16, first 2 shown]
	v_mov_b32_e32 v32, v10
	s_mov_b32 s2, exec_lo
	v_cmpx_lt_f32_e32 v33, v10
	s_cbranch_execz .LBB73_21
; %bb.20:
	v_dual_mov_b32 v70, v31 :: v_dual_mov_b32 v69, v30
	v_dual_mov_b32 v64, v25 :: v_dual_mov_b32 v63, v24
	;; [unrolled: 1-line block ×13, first 2 shown]
	v_mov_b32_e32 v74, v3
	v_dual_mov_b32 v87, v95 :: v_dual_mov_b32 v88, v96
	v_dual_mov_b32 v76, v68 :: v_dual_mov_b32 v75, v67
	;; [unrolled: 1-line block ×5, first 2 shown]
	v_mov_b32_e32 v90, v19
	v_dual_mov_b32 v40, v71 :: v_dual_mov_b32 v45, v76
	v_mov_b32_e32 v41, v72
	v_dual_mov_b32 v43, v74 :: v_dual_mov_b32 v46, v77
	;; [unrolled: 2-line block ×3, first 2 shown]
	v_dual_mov_b32 v42, v73 :: v_dual_mov_b32 v47, v78
	v_dual_mov_b32 v44, v4 :: v_dual_mov_b32 v81, v89
	;; [unrolled: 1-line block ×5, first 2 shown]
	v_mov_b32_e32 v84, v92
	v_mov_b32_e32 v86, v94
	v_dual_mov_b32 v24, v40 :: v_dual_mov_b32 v29, v45
	v_dual_mov_b32 v30, v46 :: v_dual_mov_b32 v25, v41
	;; [unrolled: 1-line block ×6, first 2 shown]
	v_mov_b32_e32 v61, v22
	v_mov_b32_e32 v62, v86
	v_dual_mov_b32 v28, v44 :: v_dual_mov_b32 v29, v5
	v_dual_mov_b32 v31, v7 :: v_dual_mov_b32 v32, v33
	;; [unrolled: 1-line block ×3, first 2 shown]
	v_mov_b32_e32 v57, v81
	v_mov_b32_e32 v60, v21
	;; [unrolled: 1-line block ×5, first 2 shown]
.LBB73_21:
	s_or_b32 exec_lo, exec_lo, s2
	v_mov_b32_e32 v1, v11
	s_mov_b32 s2, exec_lo
	v_cmpx_lt_f32_e32 v32, v11
	s_cbranch_execz .LBB73_23
; %bb.22:
	v_mov_b32_e32 v97, v19
	v_mov_b32_e32 v65, v3
	v_dual_mov_b32 v87, v95 :: v_dual_mov_b32 v88, v96
	v_mov_b32_e32 v78, v70
	v_dual_mov_b32 v92, v100 :: v_dual_mov_b32 v71, v63
	v_dual_mov_b32 v90, v98 :: v_dual_mov_b32 v91, v99
	;; [unrolled: 1-line block ×8, first 2 shown]
	v_mov_b32_e32 v80, v88
	s_delay_alu instid0(VALU_DEP_3)
	v_dual_mov_b32 v40, v71 :: v_dual_mov_b32 v41, v72
	v_dual_mov_b32 v83, v91 :: v_dual_mov_b32 v84, v92
	;; [unrolled: 1-line block ×20, first 2 shown]
	v_mov_b32_e32 v1, v32
	v_mov_b32_e32 v19, v18
	;; [unrolled: 1-line block ×3, first 2 shown]
.LBB73_23:
	s_or_b32 exec_lo, exec_lo, s2
	v_mov_b32_e32 v2, v12
	s_mov_b32 s2, exec_lo
	v_cmpx_lt_f32_e32 v1, v12
	s_cbranch_execz .LBB73_25
; %bb.24:
	v_mov_b32_e32 v98, v20
	v_dual_mov_b32 v66, v4 :: v_dual_mov_b32 v79, v95
	v_dual_mov_b32 v40, v63 :: v_dual_mov_b32 v41, v64
	;; [unrolled: 1-line block ×3, first 2 shown]
	s_delay_alu instid0(VALU_DEP_3)
	v_dual_mov_b32 v43, v66 :: v_dual_mov_b32 v80, v96
	v_mov_b32_e32 v81, v97
	v_dual_mov_b32 v46, v69 :: v_dual_mov_b32 v83, v99
	v_dual_mov_b32 v42, v65 :: v_dual_mov_b32 v45, v68
	;; [unrolled: 1-line block ×5, first 2 shown]
	v_mov_b32_e32 v44, v3
	v_dual_mov_b32 v55, v79 :: v_dual_mov_b32 v56, v80
	v_dual_mov_b32 v57, v81 :: v_dual_mov_b32 v24, v40
	;; [unrolled: 1-line block ×10, first 2 shown]
	v_mov_b32_e32 v73, v65
	v_dual_mov_b32 v12, v1 :: v_dual_mov_b32 v27, v43
	v_dual_mov_b32 v60, v21 :: v_dual_mov_b32 v61, v22
	;; [unrolled: 1-line block ×8, first 2 shown]
	v_mov_b32_e32 v74, v66
	v_mov_b32_e32 v72, v64
	;; [unrolled: 1-line block ×5, first 2 shown]
.LBB73_25:
	s_or_b32 exec_lo, exec_lo, s2
	v_mov_b32_e32 v1, v13
	s_mov_b32 s2, exec_lo
	v_cmpx_lt_f32_e32 v2, v13
	s_cbranch_execz .LBB73_27
; %bb.26:
	v_mov_b32_e32 v75, v5
	v_dual_mov_b32 v91, v21 :: v_dual_mov_b32 v24, v71
	v_mov_b32_e32 v30, v77
	v_mov_b32_e32 v30, v6
	;; [unrolled: 1-line block ×4, first 2 shown]
	v_dual_mov_b32 v55, v87 :: v_dual_mov_b32 v60, v92
	v_dual_mov_b32 v79, v87 :: v_dual_mov_b32 v82, v90
	;; [unrolled: 1-line block ×17, first 2 shown]
	v_mov_b32_e32 v21, v20
	v_mov_b32_e32 v5, v4
	;; [unrolled: 1-line block ×4, first 2 shown]
.LBB73_27:
	s_or_b32 exec_lo, exec_lo, s2
	v_mov_b32_e32 v2, v14
	s_mov_b32 s2, exec_lo
	v_cmpx_lt_f32_e32 v1, v14
	s_cbranch_execz .LBB73_29
; %bb.28:
	v_dual_mov_b32 v45, v6 :: v_dual_mov_b32 v46, v5
	v_dual_mov_b32 v84, v22 :: v_dual_mov_b32 v85, v21
	;; [unrolled: 1-line block ×12, first 2 shown]
	v_mov_b32_e32 v2, v1
.LBB73_29:
	s_or_b32 exec_lo, exec_lo, s2
	s_delay_alu instid0(VALU_DEP_1)
	v_cmp_lt_f32_e32 vcc_lo, v2, v15
	v_dual_mov_b32 v40, v56 :: v_dual_mov_b32 v43, v59
	v_cmp_lt_f32_e64 s2, v8, v9
	v_dual_mov_b32 v41, v57 :: v_dual_mov_b32 v42, v58
	v_dual_cndmask_b32 v23, v15, v2 :: v_dual_cndmask_b32 v14, v14, v15
	v_dual_cndmask_b32 v46, v62, v61 :: v_dual_mov_b32 v39, v55
	s_delay_alu instid0(VALU_DEP_2) | instskip(SKIP_3) | instid1(VALU_DEP_4)
	v_dual_mov_b32 v44, v60 :: v_dual_mov_b32 v15, v23
	v_cndmask_b32_e32 v45, v61, v62, vcc_lo
	v_dual_cndmask_b32 v54, v31, v30 :: v_dual_cndmask_b32 v53, v30, v31
	v_dual_mov_b32 v47, v24 :: v_dual_mov_b32 v50, v27
	v_mov_b32_e32 v22, v15
	v_dual_mov_b32 v21, v14 :: v_dual_mov_b32 v20, v13
	v_dual_mov_b32 v19, v12 :: v_dual_mov_b32 v18, v11
	;; [unrolled: 1-line block ×5, first 2 shown]
	v_mov_b32_e32 v51, v28
	s_and_saveexec_b32 s3, s2
	s_delay_alu instid0(SALU_CYCLE_1)
	s_xor_b32 s2, exec_lo, s3
	s_cbranch_execz .LBB73_31
; %bb.30:
	v_dual_mov_b32 v16, v9 :: v_dual_mov_b32 v17, v8
	v_dual_mov_b32 v18, v10 :: v_dual_mov_b32 v19, v11
	;; [unrolled: 1-line block ×4, first 2 shown]
	s_delay_alu instid0(VALU_DEP_4)
	v_dual_mov_b32 v15, v16 :: v_dual_mov_b32 v40, v55
	v_dual_mov_b32 v16, v17 :: v_dual_mov_b32 v39, v56
	;; [unrolled: 1-line block ×10, first 2 shown]
.LBB73_31:
	s_or_b32 exec_lo, exec_lo, s2
	v_dual_mov_b32 v31, v39 :: v_dual_mov_b32 v32, v40
	v_dual_mov_b32 v78, v46 :: v_dual_mov_b32 v77, v45
	;; [unrolled: 1-line block ×22, first 2 shown]
	v_mov_b32_e32 v10, v17
	s_mov_b32 s2, exec_lo
	v_dual_mov_b32 v76, v44 :: v_dual_mov_b32 v75, v43
	v_dual_mov_b32 v68, v52 :: v_dual_mov_b32 v67, v51
	v_cmpx_lt_f32_e32 v9, v17
	s_cbranch_execz .LBB73_33
; %bb.32:
	v_dual_mov_b32 v1, v47 :: v_dual_mov_b32 v2, v48
	v_dual_mov_b32 v7, v53 :: v_dual_mov_b32 v8, v54
	v_mov_b32_e32 v2, v49
	v_dual_mov_b32 v3, v49 :: v_dual_mov_b32 v4, v50
	v_dual_mov_b32 v5, v51 :: v_dual_mov_b32 v6, v52
	;; [unrolled: 1-line block ×7, first 2 shown]
	v_mov_b32_e32 v57, v40
	v_dual_mov_b32 v70, v8 :: v_dual_mov_b32 v69, v7
	v_dual_mov_b32 v64, v2 :: v_dual_mov_b32 v63, v1
	;; [unrolled: 1-line block ×6, first 2 shown]
	v_mov_b32_e32 v66, v50
	v_dual_mov_b32 v16, v17 :: v_dual_mov_b32 v75, v59
	v_dual_mov_b32 v17, v9 :: v_dual_mov_b32 v76, v60
	;; [unrolled: 1-line block ×17, first 2 shown]
.LBB73_33:
	s_or_b32 exec_lo, exec_lo, s2
	v_mov_b32_e32 v9, v18
	s_mov_b32 s2, exec_lo
	s_delay_alu instid0(VALU_DEP_2)
	v_cmpx_lt_f32_e32 v10, v18
	s_cbranch_execz .LBB73_35
; %bb.34:
	v_mov_b32_e32 v3, v50
	v_dual_mov_b32 v57, v42 :: v_dual_mov_b32 v70, v8
	v_mov_b32_e32 v66, v4
	v_dual_mov_b32 v78, v62 :: v_dual_mov_b32 v77, v61
	v_mov_b32_e32 v66, v49
	v_mov_b32_e32 v63, v1
	;; [unrolled: 1-line block ×3, first 2 shown]
	v_dual_mov_b32 v69, v7 :: v_dual_mov_b32 v68, v6
	v_dual_mov_b32 v67, v5 :: v_dual_mov_b32 v64, v2
	;; [unrolled: 1-line block ×4, first 2 shown]
	v_mov_b32_e32 v65, v3
	v_dual_mov_b32 v73, v57 :: v_dual_mov_b32 v72, v56
	v_mov_b32_e32 v74, v41
	v_dual_mov_b32 v18, v10 :: v_dual_mov_b32 v23, v63
	v_dual_mov_b32 v24, v64 :: v_dual_mov_b32 v31, v71
	s_delay_alu instid0(VALU_DEP_4)
	v_dual_mov_b32 v32, v72 :: v_dual_mov_b32 v27, v67
	v_dual_mov_b32 v28, v68 :: v_dual_mov_b32 v29, v69
	;; [unrolled: 1-line block ×10, first 2 shown]
	v_mov_b32_e32 v38, v46
	v_dual_mov_b32 v9, v10 :: v_dual_mov_b32 v42, v41
	v_mov_b32_e32 v50, v49
.LBB73_35:
	s_or_b32 exec_lo, exec_lo, s2
	v_mov_b32_e32 v4, v19
	s_mov_b32 s2, exec_lo
	v_cmpx_lt_f32_e32 v9, v19
	s_cbranch_execz .LBB73_37
; %bb.36:
	v_mov_b32_e32 v4, v51
	v_dual_mov_b32 v18, v19 :: v_dual_mov_b32 v19, v9
	v_mov_b32_e32 v58, v43
	v_dual_mov_b32 v30, v8 :: v_dual_mov_b32 v29, v7
	v_dual_mov_b32 v28, v6 :: v_dual_mov_b32 v25, v3
	v_dual_mov_b32 v23, v1 :: v_dual_mov_b32 v28, v52
	v_mov_b32_e32 v31, v55
	v_dual_mov_b32 v27, v5 :: v_dual_mov_b32 v32, v56
	v_dual_mov_b32 v35, v59 :: v_dual_mov_b32 v34, v58
	;; [unrolled: 4-line block ×3, first 2 shown]
	v_dual_mov_b32 v70, v8 :: v_dual_mov_b32 v65, v3
	v_dual_mov_b32 v26, v4 :: v_dual_mov_b32 v27, v50
	;; [unrolled: 1-line block ×11, first 2 shown]
	v_mov_b32_e32 v64, v2
	v_dual_mov_b32 v4, v9 :: v_dual_mov_b32 v51, v50
.LBB73_37:
	s_or_b32 exec_lo, exec_lo, s2
	v_mov_b32_e32 v1, v20
	s_mov_b32 s2, exec_lo
	s_delay_alu instid0(VALU_DEP_2)
	v_cmpx_lt_f32_e32 v4, v20
	s_cbranch_execz .LBB73_39
; %bb.38:
	v_dual_mov_b32 v67, v52 :: v_dual_mov_b32 v68, v51
	v_dual_mov_b32 v69, v53 :: v_dual_mov_b32 v76, v43
	;; [unrolled: 1-line block ×4, first 2 shown]
	v_mov_b32_e32 v19, v20
	v_dual_mov_b32 v20, v4 :: v_dual_mov_b32 v31, v71
	v_dual_mov_b32 v23, v63 :: v_dual_mov_b32 v24, v64
	;; [unrolled: 1-line block ×9, first 2 shown]
.LBB73_39:
	s_or_b32 exec_lo, exec_lo, s2
	s_delay_alu instid0(VALU_DEP_1)
	v_cmp_lt_f32_e32 vcc_lo, v1, v21
	v_mov_b32_e32 v4, v18
	v_mov_b32_e32 v8, v22
	s_mov_b32 s2, exec_lo
	v_dual_mov_b32 v2, v16 :: v_dual_cndmask_b32 v9, v37, v36
	v_cndmask_b32_e32 v36, v36, v37, vcc_lo
	v_cndmask_b32_e32 v10, v29, v28, vcc_lo
	v_dual_cndmask_b32 v28, v28, v29 :: v_dual_mov_b32 v3, v17
	v_cndmask_b32_e32 v7, v21, v1, vcc_lo
	v_dual_cndmask_b32 v6, v20, v21 :: v_dual_mov_b32 v5, v19
	v_mov_b32_e32 v1, v15
	v_cmpx_lt_f32_e32 v15, v16
	s_cbranch_execz .LBB73_41
; %bb.40:
	s_delay_alu instid0(VALU_DEP_2)
	v_dual_mov_b32 v39, v2 :: v_dual_mov_b32 v40, v1
	v_dual_mov_b32 v41, v3 :: v_dual_mov_b32 v42, v4
	;; [unrolled: 1-line block ×4, first 2 shown]
	v_mov_b32_e32 v11, v31
	v_mov_b32_e32 v12, v23
	v_dual_mov_b32 v1, v39 :: v_dual_mov_b32 v4, v42
	v_swap_b32 v31, v32
	v_swap_b32 v23, v24
	v_dual_mov_b32 v2, v40 :: v_dual_mov_b32 v3, v41
	v_dual_mov_b32 v5, v43 :: v_dual_mov_b32 v6, v44
	v_dual_mov_b32 v7, v45 :: v_dual_mov_b32 v8, v46
	v_mov_b32_e32 v16, v15
.LBB73_41:
	s_or_b32 exec_lo, exec_lo, s2
	v_mov_b32_e32 v29, v10
	v_dual_mov_b32 v37, v9 :: v_dual_mov_b32 v54, v30
	v_mov_b32_e32 v46, v38
	v_dual_mov_b32 v44, v36 :: v_dual_mov_b32 v39, v31
	v_dual_mov_b32 v70, v38 :: v_dual_mov_b32 v49, v25
	s_delay_alu instid0(VALU_DEP_4)
	v_dual_mov_b32 v62, v30 :: v_dual_mov_b32 v45, v37
	v_dual_mov_b32 v43, v35 :: v_dual_mov_b32 v42, v34
	;; [unrolled: 1-line block ×12, first 2 shown]
	v_mov_b32_e32 v57, v25
	v_mov_b32_e32 v55, v23
	;; [unrolled: 1-line block ×3, first 2 shown]
	s_mov_b32 s2, exec_lo
	v_cmpx_lt_f32_e32 v16, v3
	s_cbranch_execz .LBB73_43
; %bb.42:
	v_dual_mov_b32 v62, v30 :: v_dual_mov_b32 v61, v29
	v_dual_mov_b32 v58, v26 :: v_dual_mov_b32 v57, v25
	;; [unrolled: 1-line block ×7, first 2 shown]
	s_delay_alu instid0(VALU_DEP_4)
	v_dual_mov_b32 v47, v55 :: v_dual_mov_b32 v48, v56
	v_dual_mov_b32 v68, v36 :: v_dual_mov_b32 v67, v35
	;; [unrolled: 1-line block ×16, first 2 shown]
	v_mov_b32_e32 v44, v36
	v_dual_mov_b32 v46, v38 :: v_dual_mov_b32 v11, v16
	v_mov_b32_e32 v33, v32
	v_mov_b32_e32 v25, v24
.LBB73_43:
	s_or_b32 exec_lo, exec_lo, s2
	v_mov_b32_e32 v12, v4
	s_mov_b32 s2, exec_lo
	v_cmpx_lt_f32_e32 v11, v4
	s_cbranch_execz .LBB73_45
; %bb.44:
	v_mov_b32_e32 v57, v26
	v_dual_mov_b32 v3, v4 :: v_dual_mov_b32 v4, v11
	v_mov_b32_e32 v65, v34
	v_dual_mov_b32 v47, v55 :: v_dual_mov_b32 v52, v60
	v_dual_mov_b32 v48, v56 :: v_dual_mov_b32 v39, v63
	v_dual_mov_b32 v42, v66 :: v_dual_mov_b32 v49, v57
	v_mov_b32_e32 v54, v62
	v_dual_mov_b32 v50, v58 :: v_dual_mov_b32 v51, v59
	v_mov_b32_e32 v50, v25
	v_dual_mov_b32 v53, v61 :: v_dual_mov_b32 v52, v28
	v_dual_mov_b32 v41, v65 :: v_dual_mov_b32 v44, v68
	;; [unrolled: 1-line block ×8, first 2 shown]
	v_mov_b32_e32 v12, v11
	v_mov_b32_e32 v34, v33
	;; [unrolled: 1-line block ×3, first 2 shown]
.LBB73_45:
	s_or_b32 exec_lo, exec_lo, s2
	v_mov_b32_e32 v11, v5
	s_mov_b32 s2, exec_lo
	v_cmpx_lt_f32_e32 v12, v5
	s_cbranch_execz .LBB73_47
; %bb.46:
	v_dual_mov_b32 v68, v36 :: v_dual_mov_b32 v69, v9
	v_dual_mov_b32 v58, v27 :: v_dual_mov_b32 v59, v26
	;; [unrolled: 1-line block ×4, first 2 shown]
	v_mov_b32_e32 v70, v38
	v_dual_mov_b32 v4, v5 :: v_dual_mov_b32 v5, v12
	v_dual_mov_b32 v62, v30 :: v_dual_mov_b32 v39, v63
	;; [unrolled: 1-line block ×10, first 2 shown]
.LBB73_47:
	s_or_b32 exec_lo, exec_lo, s2
	s_delay_alu instid0(VALU_DEP_1)
	v_cmp_lt_f32_e32 vcc_lo, v11, v6
	v_dual_mov_b32 v19, v1 :: v_dual_mov_b32 v26, v8
	v_mov_b32_e32 v21, v3
	v_mov_b32_e32 v25, v7
	v_dual_cndmask_b32 v27, v44, v43 :: v_dual_mov_b32 v20, v2
	v_dual_cndmask_b32 v43, v43, v44 :: v_dual_cndmask_b32 v28, v52, v51
	v_dual_cndmask_b32 v51, v51, v52 :: v_dual_cndmask_b32 v24, v6, v11
	v_dual_cndmask_b32 v23, v5, v6 :: v_dual_mov_b32 v22, v4
	s_mov_b32 s2, exec_lo
	v_cmpx_lt_f32_e32 v1, v2
	s_cbranch_execz .LBB73_49
; %bb.48:
	v_dual_mov_b32 v8, v25 :: v_dual_mov_b32 v9, v26
	v_dual_mov_b32 v2, v20 :: v_dual_mov_b32 v3, v19
	;; [unrolled: 1-line block ×4, first 2 shown]
	v_mov_b32_e32 v10, v39
	v_dual_mov_b32 v11, v47 :: v_dual_mov_b32 v26, v9
	v_swap_b32 v39, v40
	v_swap_b32 v47, v48
	v_dual_mov_b32 v25, v8 :: v_dual_mov_b32 v24, v7
	v_dual_mov_b32 v23, v6 :: v_dual_mov_b32 v22, v5
	;; [unrolled: 1-line block ×4, first 2 shown]
.LBB73_49:
	s_or_b32 exec_lo, exec_lo, s2
	v_mov_b32_e32 v52, v28
	v_mov_b32_e32 v44, v27
	;; [unrolled: 1-line block ×4, first 2 shown]
	v_dual_mov_b32 v11, v39 :: v_dual_mov_b32 v4, v48
	v_dual_mov_b32 v12, v40 :: v_dual_mov_b32 v13, v41
	v_dual_mov_b32 v14, v42 :: v_dual_mov_b32 v15, v43
	v_dual_mov_b32 v16, v44 :: v_dual_mov_b32 v17, v45
	v_dual_mov_b32 v18, v46 :: v_dual_mov_b32 v7, v51
	v_dual_mov_b32 v6, v50 :: v_dual_mov_b32 v9, v53
	v_dual_mov_b32 v8, v52 :: v_dual_mov_b32 v1, v21
	v_mov_b32_e32 v10, v54
	s_mov_b32 s2, exec_lo
	v_cmpx_lt_f32_e32 v2, v21
	s_cbranch_execz .LBB73_51
; %bb.50:
	v_dual_mov_b32 v3, v47 :: v_dual_mov_b32 v4, v48
	v_dual_mov_b32 v9, v53 :: v_dual_mov_b32 v10, v54
	;; [unrolled: 1-line block ×17, first 2 shown]
	v_mov_b32_e32 v49, v48
.LBB73_51:
	s_or_b32 exec_lo, exec_lo, s2
	v_mov_b32_e32 v29, v22
	s_mov_b32 s2, exec_lo
	v_cmpx_lt_f32_e32 v1, v22
; %bb.52:
	v_dual_mov_b32 v21, v22 :: v_dual_mov_b32 v22, v1
	v_dual_mov_b32 v5, v50 :: v_dual_mov_b32 v6, v49
	;; [unrolled: 1-line block ×7, first 2 shown]
	v_mov_b32_e32 v29, v1
; %bb.53:
	s_or_b32 exec_lo, exec_lo, s2
	s_delay_alu instid0(VALU_DEP_1)
	v_cmp_lt_f32_e32 vcc_lo, v29, v23
	v_dual_mov_b32 v28, v20 :: v_dual_mov_b32 v33, v25
	v_mov_b32_e32 v32, v24
	v_dual_mov_b32 v34, v26 :: v_dual_cndmask_b32 v1, v15, v14
	v_cndmask_b32_e32 v14, v14, v15, vcc_lo
	v_cndmask_b32_e32 v2, v7, v6, vcc_lo
	v_dual_cndmask_b32 v6, v6, v7 :: v_dual_cndmask_b32 v31, v23, v29
	v_dual_cndmask_b32 v30, v22, v23 :: v_dual_mov_b32 v27, v19
	v_mov_b32_e32 v29, v21
	s_mov_b32 s2, exec_lo
	v_cmpx_lt_f32_e32 v19, v20
	s_cbranch_execz .LBB73_55
; %bb.54:
	v_dual_mov_b32 v20, v28 :: v_dual_mov_b32 v21, v27
	v_dual_mov_b32 v26, v33 :: v_dual_mov_b32 v27, v34
	;; [unrolled: 1-line block ×4, first 2 shown]
	s_delay_alu instid0(VALU_DEP_3)
	v_mov_b32_e32 v34, v27
	v_mov_b32_e32 v7, v11
	v_dual_mov_b32 v15, v3 :: v_dual_mov_b32 v28, v21
	v_swap_b32 v11, v12
	v_swap_b32 v3, v4
	v_dual_mov_b32 v33, v26 :: v_dual_mov_b32 v30, v23
	v_dual_mov_b32 v32, v25 :: v_dual_mov_b32 v31, v24
	v_mov_b32_e32 v29, v22
	v_dual_mov_b32 v27, v20 :: v_dual_mov_b32 v20, v19
.LBB73_55:
	s_or_b32 exec_lo, exec_lo, s2
	v_mov_b32_e32 v7, v2
	v_mov_b32_e32 v15, v1
	v_mov_b32_e32 v19, v29
	s_mov_b32 s2, exec_lo
	v_cmpx_lt_f32_e32 v20, v29
	s_cbranch_execz .LBB73_57
; %bb.56:
	v_dual_mov_b32 v42, v10 :: v_dual_mov_b32 v41, v9
	v_dual_mov_b32 v40, v8 :: v_dual_mov_b32 v39, v7
	;; [unrolled: 1-line block ×16, first 2 shown]
	v_mov_b32_e32 v18, v9
	s_delay_alu instid0(VALU_DEP_3) | instskip(NEXT) | instid1(VALU_DEP_4)
	v_dual_mov_b32 v16, v7 :: v_dual_mov_b32 v15, v6
	v_dual_mov_b32 v17, v8 :: v_dual_mov_b32 v14, v5
	;; [unrolled: 1-line block ×3, first 2 shown]
	v_mov_b32_e32 v11, v2
	v_dual_mov_b32 v3, v35 :: v_dual_mov_b32 v4, v36
	v_dual_mov_b32 v5, v37 :: v_dual_mov_b32 v6, v38
	;; [unrolled: 1-line block ×4, first 2 shown]
	v_mov_b32_e32 v19, v20
.LBB73_57:
	s_or_b32 exec_lo, exec_lo, s2
	s_delay_alu instid0(VALU_DEP_1)
	v_cmp_lt_f32_e32 vcc_lo, v19, v30
	v_dual_mov_b32 v20, v7 :: v_dual_mov_b32 v21, v8
	v_dual_mov_b32 v22, v9 :: v_dual_mov_b32 v23, v10
	v_dual_cndmask_b32 v1, v14, v13 :: v_dual_cndmask_b32 v36, v5, v6
	v_dual_cndmask_b32 v35, v13, v14 :: v_dual_cndmask_b32 v2, v6, v5
	;; [unrolled: 1-line block ×3, first 2 shown]
	v_dual_mov_b32 v6, v15 :: v_dual_mov_b32 v13, v16
	v_dual_mov_b32 v14, v17 :: v_dual_mov_b32 v19, v18
	v_dual_mov_b32 v37, v28 :: v_dual_mov_b32 v24, v31
	v_dual_mov_b32 v25, v32 :: v_dual_mov_b32 v26, v33
	v_mov_b32_e32 v29, v34
	s_mov_b32 s2, exec_lo
	v_cmpx_lt_f32_e32 v27, v28
	s_cbranch_execz .LBB73_59
; %bb.58:
	v_dual_mov_b32 v24, v28 :: v_dual_mov_b32 v37, v27
	v_dual_mov_b32 v6, v11 :: v_dual_mov_b32 v13, v16
	;; [unrolled: 1-line block ×3, first 2 shown]
	v_swap_b32 v11, v12
	v_swap_b32 v3, v4
	v_dual_mov_b32 v28, v27 :: v_dual_mov_b32 v21, v8
	v_dual_mov_b32 v6, v15 :: v_dual_mov_b32 v23, v10
	v_dual_mov_b32 v14, v17 :: v_dual_mov_b32 v27, v24
	v_dual_mov_b32 v20, v7 :: v_dual_mov_b32 v25, v32
	v_dual_mov_b32 v22, v9 :: v_dual_mov_b32 v29, v34
	v_mov_b32_e32 v24, v31
	v_mov_b32_e32 v26, v33
.LBB73_59:
	s_or_b32 exec_lo, exec_lo, s2
	s_clause 0x1
	s_load_b32 s8, s[0:1], 0x28
	s_load_b128 s[4:7], s[0:1], 0x10
	v_mov_b32_e32 v8, 0
	s_waitcnt lgkmcnt(0)
	s_cmp_lt_i32 s8, 1
	s_cbranch_scc1 .LBB73_65
; %bb.60:
	v_cmp_lt_f32_e32 vcc_lo, v28, v30
	v_dual_mov_b32 v8, 0 :: v_dual_mov_b32 v9, 0
	s_mov_b32 s9, 0x76543210
	s_mov_b32 s10, s8
	v_dual_cndmask_b32 v7, v36, v4 :: v_dual_cndmask_b32 v18, v37, v30
	v_cndmask_b32_e32 v4, v4, v36, vcc_lo
	v_cndmask_b32_e32 v10, v30, v28, vcc_lo
	v_dual_cndmask_b32 v15, v35, v12 :: v_dual_cndmask_b32 v28, v12, v35
	s_delay_alu instid0(VALU_DEP_4) | instskip(NEXT) | instid1(VALU_DEP_1)
	v_cmp_lt_f32_e64 s2, v27, v18
	v_cndmask_b32_e64 v12, v4, v3, s2
	v_cndmask_b32_e64 v16, v3, v4, s2
	;; [unrolled: 1-line block ×6, first 2 shown]
	v_dual_mov_b32 v28, v0 :: v_dual_mov_b32 v3, 0
	v_mov_b32_e32 v4, 0
.LBB73_61:                              ; =>This Inner Loop Header: Depth=1
	v_cmp_eq_u32_e32 vcc_lo, 1, v9
	v_cmp_eq_u32_e64 s2, 2, v9
	v_dual_cndmask_b32 v30, v18, v17 :: v_dual_cndmask_b32 v31, v16, v12
	v_cndmask_b32_e32 v32, v11, v27, vcc_lo
	v_cmp_eq_u32_e32 vcc_lo, 3, v9
	s_delay_alu instid0(VALU_DEP_3) | instskip(NEXT) | instid1(VALU_DEP_4)
	v_cndmask_b32_e64 v30, v30, v10, s2
	v_cndmask_b32_e64 v31, v31, v7, s2
	s_delay_alu instid0(VALU_DEP_4) | instskip(SKIP_1) | instid1(VALU_DEP_3)
	v_cndmask_b32_e64 v32, v32, v15, s2
	v_cmp_eq_u32_e64 s2, 4, v9
	v_dual_cndmask_b32 v30, v30, v5 :: v_dual_cndmask_b32 v31, v31, v2
	s_delay_alu instid0(VALU_DEP_3) | instskip(SKIP_1) | instid1(VALU_DEP_3)
	v_cndmask_b32_e32 v32, v32, v1, vcc_lo
	v_cmp_eq_u32_e32 vcc_lo, 5, v9
	v_cndmask_b32_e64 v30, v30, v24, s2
	s_delay_alu instid0(VALU_DEP_4) | instskip(NEXT) | instid1(VALU_DEP_4)
	v_cndmask_b32_e64 v31, v31, v20, s2
	v_cndmask_b32_e64 v32, v32, v6, s2
	v_cmp_eq_u32_e64 s2, 6, v9
	s_delay_alu instid0(VALU_DEP_4) | instskip(NEXT) | instid1(VALU_DEP_4)
	v_cndmask_b32_e32 v30, v30, v25, vcc_lo
	v_cndmask_b32_e32 v31, v31, v21, vcc_lo
	s_delay_alu instid0(VALU_DEP_4) | instskip(SKIP_1) | instid1(VALU_DEP_4)
	v_cndmask_b32_e32 v32, v32, v13, vcc_lo
	v_cmp_eq_u32_e32 vcc_lo, 7, v9
	v_cndmask_b32_e64 v30, v30, v26, s2
	s_delay_alu instid0(VALU_DEP_4) | instskip(NEXT) | instid1(VALU_DEP_4)
	v_cndmask_b32_e64 v31, v31, v22, s2
	v_cndmask_b32_e64 v32, v32, v14, s2
	v_cmp_gt_u32_e64 s2, 8, v9
	s_delay_alu instid0(VALU_DEP_3) | instskip(NEXT) | instid1(VALU_DEP_1)
	v_dual_cndmask_b32 v30, v30, v29 :: v_dual_cndmask_b32 v31, v31, v23
	v_cndmask_b32_e64 v30, 0xff800000, v30, s2
	;;#ASMSTART
	v_max_f32 v34, v30, v30 quad_perm:[1,0,3,2] row_mask:0xf bank_mask:0xf bound_ctrl:1
	;;#ASMEND
	;;#ASMSTART
	v_max_f32 v35, v34, v34 quad_perm:[2,3,0,1] row_mask:0xf bank_mask:0xf bound_ctrl:1
	;;#ASMEND
	;;#ASMSTART
	v_max_f32 v34, v35, v35 row_half_mirror row_mask:0xf bank_mask:0xf bound_ctrl:1
	;;#ASMEND
	;;#ASMSTART
	v_max_f32 v35, v34, v34 row_mirror row_mask:0xf bank_mask:0xf bound_ctrl:1
	;;#ASMEND
	v_permlanex16_b32 v34, v35, s9, 0xfedcba98 op_sel:[1,1]
	v_max_f32_e32 v35, v35, v35
	v_cndmask_b32_e64 v33, 0, v31, s2
	s_delay_alu instid0(VALU_DEP_3) | instskip(NEXT) | instid1(VALU_DEP_1)
	v_max_f32_e32 v34, v34, v34
	v_max_f32_e32 v34, v35, v34
	s_delay_alu instid0(VALU_DEP_1) | instskip(SKIP_1) | instid1(VALU_DEP_2)
	v_cmp_eq_f32_e64 s3, v30, v34
	v_cndmask_b32_e32 v30, v32, v19, vcc_lo
	s_ctz_i32_b32 s11, s3
	s_cmp_lg_u32 s3, 0
	s_cselect_b32 s3, s11, 0
	s_add_i32 s10, s10, -1
	v_readlane_b32 s3, v33, s3
	s_delay_alu instid0(VALU_DEP_1)
	v_cmp_eq_u32_e32 vcc_lo, s3, v31
	s_and_b32 vcc_lo, s2, vcc_lo
	s_and_b32 s2, s3, 31
	v_cndmask_b32_e32 v30, 0, v30, vcc_lo
	v_add_co_ci_u32_e32 v9, vcc_lo, 0, v9, vcc_lo
	s_cmp_eq_u32 s10, 0
	s_delay_alu instid0(VALU_DEP_2) | instskip(SKIP_2) | instid1(VALU_DEP_3)
	v_readlane_b32 s11, v30, s2
	v_cmp_eq_u32_e64 s2, 0, v28
	v_add_nc_u32_e32 v28, -1, v28
	v_add_f32_e32 v8, s11, v8
	s_delay_alu instid0(VALU_DEP_3)
	v_cndmask_b32_e64 v4, v4, s11, s2
	v_cndmask_b32_e64 v3, v3, s3, s2
	s_cbranch_scc0 .LBB73_61
; %bb.62:
	s_mov_b32 s2, exec_lo
	v_cmpx_gt_i32_e64 s8, v0
	s_cbranch_execz .LBB73_64
.LBB73_63:
	s_load_b32 s2, s[0:1], 0x30
	v_max_f32_e32 v0, v8, v8
	s_load_b64 s[0:1], s[0:1], 0x20
	s_ashr_i32 s3, s15, 31
	s_delay_alu instid0(VALU_DEP_1) | instskip(SKIP_1) | instid1(VALU_DEP_1)
	v_max_f32_e32 v0, 0x1e3ce508, v0
	s_waitcnt lgkmcnt(0)
	v_div_scale_f32 v1, null, v0, v0, s2
	v_div_scale_f32 v6, vcc_lo, s2, v0, s2
	s_mul_i32 s1, s15, s1
	s_delay_alu instid0(VALU_DEP_2)
	v_rcp_f32_e32 v2, v1
	s_mul_hi_u32 s8, s15, s0
	s_mul_i32 s3, s3, s0
	s_add_i32 s1, s8, s1
	s_mul_i32 s0, s15, s0
	s_add_i32 s1, s1, s3
	s_delay_alu instid0(SALU_CYCLE_1) | instskip(SKIP_2) | instid1(VALU_DEP_1)
	s_lshl_b64 s[0:1], s[0:1], 2
	s_waitcnt_depctr 0xfff
	v_fma_f32 v5, -v1, v2, 1.0
	v_fmac_f32_e32 v2, v5, v2
	s_delay_alu instid0(VALU_DEP_1) | instskip(NEXT) | instid1(VALU_DEP_1)
	v_mul_f32_e32 v5, v6, v2
	v_fma_f32 v7, -v1, v5, v6
	s_delay_alu instid0(VALU_DEP_1) | instskip(NEXT) | instid1(VALU_DEP_1)
	v_fmac_f32_e32 v5, v7, v2
	v_fma_f32 v1, -v1, v5, v6
	s_delay_alu instid0(VALU_DEP_1) | instskip(NEXT) | instid1(VALU_DEP_1)
	v_div_fmas_f32 v1, v1, v2, v5
	v_div_fixup_f32 v0, v1, v0, s2
	s_add_u32 s2, s4, s0
	s_addc_u32 s3, s5, s1
	s_add_u32 s0, s6, s0
	s_addc_u32 s1, s7, s1
	v_mul_f32_e32 v0, v4, v0
	s_clause 0x1
	global_store_b32 v103, v0, s[2:3]
	global_store_b32 v103, v3, s[0:1]
.LBB73_64:
	s_nop 0
	s_sendmsg sendmsg(MSG_DEALLOC_VGPRS)
	s_endpgm
.LBB73_65:
	v_dual_mov_b32 v3, 0 :: v_dual_mov_b32 v4, 0
	s_mov_b32 s2, exec_lo
	v_cmpx_gt_i32_e64 s8, v0
	s_cbranch_execnz .LBB73_63
	s_branch .LBB73_64
	.section	.rodata,"a",@progbits
	.p2align	6, 0x0
	.amdhsa_kernel _ZN5aiter24topk_softplus_kernel_optIf12hip_bfloat16Li256ELb1ELi1EEEvPKT_PKT0_PfPimiif
		.amdhsa_group_segment_fixed_size 0
		.amdhsa_private_segment_fixed_size 0
		.amdhsa_kernarg_size 52
		.amdhsa_user_sgpr_count 15
		.amdhsa_user_sgpr_dispatch_ptr 0
		.amdhsa_user_sgpr_queue_ptr 0
		.amdhsa_user_sgpr_kernarg_segment_ptr 1
		.amdhsa_user_sgpr_dispatch_id 0
		.amdhsa_user_sgpr_private_segment_size 0
		.amdhsa_wavefront_size32 1
		.amdhsa_uses_dynamic_stack 0
		.amdhsa_enable_private_segment 0
		.amdhsa_system_sgpr_workgroup_id_x 1
		.amdhsa_system_sgpr_workgroup_id_y 0
		.amdhsa_system_sgpr_workgroup_id_z 0
		.amdhsa_system_sgpr_workgroup_info 0
		.amdhsa_system_vgpr_workitem_id 0
		.amdhsa_next_free_vgpr 104
		.amdhsa_next_free_sgpr 16
		.amdhsa_reserve_vcc 1
		.amdhsa_float_round_mode_32 0
		.amdhsa_float_round_mode_16_64 0
		.amdhsa_float_denorm_mode_32 3
		.amdhsa_float_denorm_mode_16_64 3
		.amdhsa_dx10_clamp 1
		.amdhsa_ieee_mode 1
		.amdhsa_fp16_overflow 0
		.amdhsa_workgroup_processor_mode 1
		.amdhsa_memory_ordered 1
		.amdhsa_forward_progress 0
		.amdhsa_shared_vgpr_count 0
		.amdhsa_exception_fp_ieee_invalid_op 0
		.amdhsa_exception_fp_denorm_src 0
		.amdhsa_exception_fp_ieee_div_zero 0
		.amdhsa_exception_fp_ieee_overflow 0
		.amdhsa_exception_fp_ieee_underflow 0
		.amdhsa_exception_fp_ieee_inexact 0
		.amdhsa_exception_int_div_zero 0
	.end_amdhsa_kernel
	.section	.text._ZN5aiter24topk_softplus_kernel_optIf12hip_bfloat16Li256ELb1ELi1EEEvPKT_PKT0_PfPimiif,"axG",@progbits,_ZN5aiter24topk_softplus_kernel_optIf12hip_bfloat16Li256ELb1ELi1EEEvPKT_PKT0_PfPimiif,comdat
.Lfunc_end73:
	.size	_ZN5aiter24topk_softplus_kernel_optIf12hip_bfloat16Li256ELb1ELi1EEEvPKT_PKT0_PfPimiif, .Lfunc_end73-_ZN5aiter24topk_softplus_kernel_optIf12hip_bfloat16Li256ELb1ELi1EEEvPKT_PKT0_PfPimiif
                                        ; -- End function
	.section	.AMDGPU.csdata,"",@progbits
; Kernel info:
; codeLenInByte = 6916
; NumSgprs: 18
; NumVgprs: 104
; ScratchSize: 0
; MemoryBound: 0
; FloatMode: 240
; IeeeMode: 1
; LDSByteSize: 0 bytes/workgroup (compile time only)
; SGPRBlocks: 2
; VGPRBlocks: 12
; NumSGPRsForWavesPerEU: 18
; NumVGPRsForWavesPerEU: 104
; Occupancy: 12
; WaveLimiterHint : 0
; COMPUTE_PGM_RSRC2:SCRATCH_EN: 0
; COMPUTE_PGM_RSRC2:USER_SGPR: 15
; COMPUTE_PGM_RSRC2:TRAP_HANDLER: 0
; COMPUTE_PGM_RSRC2:TGID_X_EN: 1
; COMPUTE_PGM_RSRC2:TGID_Y_EN: 0
; COMPUTE_PGM_RSRC2:TGID_Z_EN: 0
; COMPUTE_PGM_RSRC2:TIDIG_COMP_CNT: 0
	.section	.text._ZN5aiter24topk_softplus_kernel_optIf12hip_bfloat16Li256ELb0ELi1EEEvPKT_PKT0_PfPimiif,"axG",@progbits,_ZN5aiter24topk_softplus_kernel_optIf12hip_bfloat16Li256ELb0ELi1EEEvPKT_PKT0_PfPimiif,comdat
	.protected	_ZN5aiter24topk_softplus_kernel_optIf12hip_bfloat16Li256ELb0ELi1EEEvPKT_PKT0_PfPimiif ; -- Begin function _ZN5aiter24topk_softplus_kernel_optIf12hip_bfloat16Li256ELb0ELi1EEEvPKT_PKT0_PfPimiif
	.globl	_ZN5aiter24topk_softplus_kernel_optIf12hip_bfloat16Li256ELb0ELi1EEEvPKT_PKT0_PfPimiif
	.p2align	8
	.type	_ZN5aiter24topk_softplus_kernel_optIf12hip_bfloat16Li256ELb0ELi1EEEvPKT_PKT0_PfPimiif,@function
_ZN5aiter24topk_softplus_kernel_optIf12hip_bfloat16Li256ELb0ELi1EEEvPKT_PKT0_PfPimiif: ; @_ZN5aiter24topk_softplus_kernel_optIf12hip_bfloat16Li256ELb0ELi1EEEvPKT_PKT0_PfPimiif
; %bb.0:
	s_load_b128 s[4:7], s[0:1], 0x0
	s_lshl_b32 s2, s15, 8
	v_lshlrev_b32_e32 v103, 2, v0
	s_ashr_i32 s3, s2, 31
	v_lshlrev_b32_e32 v3, 1, v0
	s_lshl_b64 s[2:3], s[2:3], 2
	s_waitcnt lgkmcnt(0)
	s_add_u32 s4, s4, s2
	s_addc_u32 s5, s5, s3
	s_cmp_lg_u64 s[6:7], 0
	global_load_b32 v1, v103, s[4:5]
	s_cselect_b32 s2, -1, 0
	s_waitcnt vmcnt(0)
	v_mul_f32_e32 v2, 0xbfb8aa3b, v1
	s_delay_alu instid0(VALU_DEP_1) | instskip(SKIP_1) | instid1(VALU_DEP_1)
	v_cmp_gt_f32_e32 vcc_lo, 0xc2fc0000, v2
	v_cndmask_b32_e64 v2, 0, 0x42800000, vcc_lo
	v_fmac_f32_e32 v2, 0xbfb8aa3b, v1
	s_delay_alu instid0(VALU_DEP_1) | instskip(SKIP_4) | instid1(VALU_DEP_1)
	v_exp_f32_e32 v1, v2
	v_cndmask_b32_e64 v2, 1.0, 0x1f800000, vcc_lo
	s_and_b32 vcc_lo, exec_lo, s2
	s_waitcnt_depctr 0xfff
	v_fma_f32 v1, v1, v2, 1.0
	v_rcp_f32_e32 v48, v1
	v_add_co_u32 v1, s3, s4, v103
	s_delay_alu instid0(VALU_DEP_1)
	v_add_co_ci_u32_e64 v2, null, s5, 0, s3
	s_waitcnt_depctr 0xfff
	v_mov_b32_e32 v32, v48
	s_cbranch_vccz .LBB74_2
; %bb.1:
	global_load_u16 v4, v3, s[6:7]
	s_waitcnt vmcnt(0)
	v_lshlrev_b32_e32 v4, 16, v4
	s_delay_alu instid0(VALU_DEP_1)
	v_add_f32_e32 v32, v48, v4
.LBB74_2:
	global_load_b32 v4, v[1:2], off offset:128
	s_waitcnt vmcnt(0)
	v_mul_f32_e32 v5, 0xbfb8aa3b, v4
	s_delay_alu instid0(VALU_DEP_1) | instskip(SKIP_3) | instid1(VALU_DEP_2)
	v_cmp_gt_f32_e32 vcc_lo, 0xc2fc0000, v5
	v_cndmask_b32_e64 v6, 0, 0x42800000, vcc_lo
	v_cndmask_b32_e64 v5, 1.0, 0x1f800000, vcc_lo
	s_and_not1_b32 vcc_lo, exec_lo, s2
	v_fmac_f32_e32 v6, 0xbfb8aa3b, v4
	s_delay_alu instid0(VALU_DEP_1) | instskip(SKIP_2) | instid1(VALU_DEP_1)
	v_exp_f32_e32 v4, v6
	s_waitcnt_depctr 0xfff
	v_fma_f32 v4, v4, v5, 1.0
	v_rcp_f32_e32 v17, v4
	v_cndmask_b32_e64 v4, 0, 1, s2
	s_waitcnt_depctr 0xfff
	v_mov_b32_e32 v33, v17
	s_cbranch_vccnz .LBB74_4
; %bb.3:
	global_load_u16 v5, v3, s[6:7] offset:64
	s_waitcnt vmcnt(0)
	v_lshlrev_b32_e32 v5, 16, v5
	s_delay_alu instid0(VALU_DEP_1)
	v_add_f32_e32 v33, v17, v5
.LBB74_4:
	global_load_b32 v5, v[1:2], off offset:256
	s_waitcnt vmcnt(0)
	v_mul_f32_e32 v6, 0xbfb8aa3b, v5
	s_delay_alu instid0(VALU_DEP_1) | instskip(SKIP_3) | instid1(VALU_DEP_3)
	v_cmp_gt_f32_e32 vcc_lo, 0xc2fc0000, v6
	v_cndmask_b32_e64 v7, 0, 0x42800000, vcc_lo
	v_cndmask_b32_e64 v6, 1.0, 0x1f800000, vcc_lo
	v_cmp_ne_u32_e32 vcc_lo, 1, v4
	v_fmac_f32_e32 v7, 0xbfb8aa3b, v5
	s_and_b32 vcc_lo, exec_lo, vcc_lo
	s_delay_alu instid0(VALU_DEP_1) | instskip(SKIP_2) | instid1(VALU_DEP_1)
	v_exp_f32_e32 v5, v7
	s_waitcnt_depctr 0xfff
	v_fma_f32 v5, v5, v6, 1.0
	v_rcp_f32_e32 v18, v5
	s_waitcnt_depctr 0xfff
	v_mov_b32_e32 v34, v18
	s_cbranch_vccnz .LBB74_6
; %bb.5:
	global_load_u16 v5, v3, s[6:7] offset:128
	s_waitcnt vmcnt(0)
	v_lshlrev_b32_e32 v5, 16, v5
	s_delay_alu instid0(VALU_DEP_1)
	v_add_f32_e32 v34, v18, v5
.LBB74_6:
	global_load_b32 v5, v[1:2], off offset:384
	s_waitcnt vmcnt(0)
	v_mul_f32_e32 v6, 0xbfb8aa3b, v5
	s_delay_alu instid0(VALU_DEP_1) | instskip(SKIP_3) | instid1(VALU_DEP_3)
	v_cmp_gt_f32_e32 vcc_lo, 0xc2fc0000, v6
	v_cndmask_b32_e64 v7, 0, 0x42800000, vcc_lo
	v_cndmask_b32_e64 v6, 1.0, 0x1f800000, vcc_lo
	v_cmp_ne_u32_e32 vcc_lo, 1, v4
	v_fmac_f32_e32 v7, 0xbfb8aa3b, v5
	s_and_b32 vcc_lo, exec_lo, vcc_lo
	s_delay_alu instid0(VALU_DEP_1) | instskip(SKIP_2) | instid1(VALU_DEP_1)
	v_exp_f32_e32 v5, v7
	s_waitcnt_depctr 0xfff
	v_fma_f32 v5, v5, v6, 1.0
	v_rcp_f32_e32 v19, v5
	;; [unrolled: 25-line block ×5, first 2 shown]
	s_waitcnt_depctr 0xfff
	v_mov_b32_e32 v38, v22
	s_cbranch_vccnz .LBB74_14
; %bb.13:
	global_load_u16 v5, v3, s[6:7] offset:384
	s_waitcnt vmcnt(0)
	v_lshlrev_b32_e32 v5, 16, v5
	s_delay_alu instid0(VALU_DEP_1)
	v_add_f32_e32 v38, v22, v5
.LBB74_14:
	global_load_b32 v1, v[1:2], off offset:896
	s_waitcnt vmcnt(0)
	v_mul_f32_e32 v2, 0xbfb8aa3b, v1
	s_delay_alu instid0(VALU_DEP_1) | instskip(SKIP_3) | instid1(VALU_DEP_3)
	v_cmp_gt_f32_e32 vcc_lo, 0xc2fc0000, v2
	v_cndmask_b32_e64 v5, 0, 0x42800000, vcc_lo
	v_cndmask_b32_e64 v2, 1.0, 0x1f800000, vcc_lo
	v_cmp_ne_u32_e32 vcc_lo, 1, v4
	v_fmac_f32_e32 v5, 0xbfb8aa3b, v1
	s_delay_alu instid0(VALU_DEP_1) | instskip(SKIP_2) | instid1(VALU_DEP_1)
	v_exp_f32_e32 v1, v5
	s_waitcnt_depctr 0xfff
	v_fma_f32 v1, v1, v2, 1.0
	v_rcp_f32_e32 v23, v1
	s_cbranch_vccnz .LBB74_16
; %bb.15:
	global_load_u16 v1, v3, s[6:7] offset:448
	s_waitcnt vmcnt(0)
	v_lshlrev_b32_e32 v1, 16, v1
	s_delay_alu instid0(VALU_DEP_1)
	v_add_f32_e32 v39, v23, v1
	s_branch .LBB74_17
.LBB74_16:
	s_waitcnt_depctr 0xfff
	v_mov_b32_e32 v39, v23
.LBB74_17:
	v_add_nc_u32_e32 v7, 0xe0, v0
	v_dual_mov_b32 v8, v32 :: v_dual_add_nc_u32 v1, 32, v0
	v_dual_mov_b32 v9, v33 :: v_dual_add_nc_u32 v2, 64, v0
	;; [unrolled: 1-line block ×6, first 2 shown]
	v_dual_mov_b32 v14, v38 :: v_dual_mov_b32 v31, v7
	s_delay_alu instid0(VALU_DEP_2)
	v_dual_mov_b32 v47, v7 :: v_dual_mov_b32 v46, v6
	v_dual_mov_b32 v78, v7 :: v_dual_mov_b32 v77, v6
	;; [unrolled: 1-line block ×9, first 2 shown]
	v_mov_b32_e32 v40, v0
	v_dual_mov_b32 v76, v5 :: v_dual_mov_b32 v75, v4
	v_dual_mov_b32 v74, v3 :: v_dual_mov_b32 v73, v2
	;; [unrolled: 1-line block ×7, first 2 shown]
	s_mov_b32 s2, exec_lo
	v_cmpx_lt_f32_e32 v32, v33
	s_xor_b32 s2, exec_lo, s2
	s_cbranch_execz .LBB74_19
; %bb.18:
	v_dual_mov_b32 v30, v6 :: v_dual_mov_b32 v31, v7
	v_dual_mov_b32 v24, v1 :: v_dual_mov_b32 v25, v0
	;; [unrolled: 1-line block ×4, first 2 shown]
	s_delay_alu instid0(VALU_DEP_4)
	v_dual_mov_b32 v47, v31 :: v_dual_mov_b32 v46, v30
	v_dual_mov_b32 v78, v31 :: v_dual_mov_b32 v77, v30
	;; [unrolled: 1-line block ×17, first 2 shown]
	v_mov_b32_e32 v17, v48
	v_mov_b32_e32 v1, v0
.LBB74_19:
	s_or_b32 exec_lo, exec_lo, s2
	v_dual_mov_b32 v62, v23 :: v_dual_mov_b32 v61, v22
	v_dual_mov_b32 v86, v23 :: v_dual_mov_b32 v85, v22
	;; [unrolled: 1-line block ×16, first 2 shown]
	v_mov_b32_e32 v32, v10
	s_mov_b32 s2, exec_lo
	v_cmpx_lt_f32_e32 v33, v10
	s_cbranch_execz .LBB74_21
; %bb.20:
	v_dual_mov_b32 v70, v31 :: v_dual_mov_b32 v69, v30
	v_dual_mov_b32 v64, v25 :: v_dual_mov_b32 v63, v24
	;; [unrolled: 1-line block ×13, first 2 shown]
	v_mov_b32_e32 v74, v3
	v_dual_mov_b32 v87, v95 :: v_dual_mov_b32 v88, v96
	v_dual_mov_b32 v76, v68 :: v_dual_mov_b32 v75, v67
	;; [unrolled: 1-line block ×5, first 2 shown]
	v_mov_b32_e32 v90, v19
	v_dual_mov_b32 v40, v71 :: v_dual_mov_b32 v45, v76
	v_mov_b32_e32 v41, v72
	v_dual_mov_b32 v43, v74 :: v_dual_mov_b32 v46, v77
	v_mov_b32_e32 v79, v87
	v_dual_mov_b32 v44, v75 :: v_dual_mov_b32 v9, v10
	v_dual_mov_b32 v42, v73 :: v_dual_mov_b32 v47, v78
	v_dual_mov_b32 v44, v4 :: v_dual_mov_b32 v81, v89
	v_dual_mov_b32 v10, v33 :: v_dual_mov_b32 v83, v91
	v_dual_mov_b32 v80, v88 :: v_dual_mov_b32 v85, v93
	v_dual_mov_b32 v82, v90 :: v_dual_mov_b32 v83, v20
	v_mov_b32_e32 v84, v92
	v_mov_b32_e32 v86, v94
	v_dual_mov_b32 v24, v40 :: v_dual_mov_b32 v29, v45
	v_dual_mov_b32 v30, v46 :: v_dual_mov_b32 v25, v41
	;; [unrolled: 1-line block ×6, first 2 shown]
	v_mov_b32_e32 v61, v22
	v_mov_b32_e32 v62, v86
	v_dual_mov_b32 v28, v44 :: v_dual_mov_b32 v29, v5
	v_dual_mov_b32 v31, v7 :: v_dual_mov_b32 v32, v33
	;; [unrolled: 1-line block ×3, first 2 shown]
	v_mov_b32_e32 v57, v81
	v_mov_b32_e32 v60, v21
	v_mov_b32_e32 v62, v23
	v_mov_b32_e32 v18, v17
	v_mov_b32_e32 v2, v1
.LBB74_21:
	s_or_b32 exec_lo, exec_lo, s2
	v_mov_b32_e32 v1, v11
	s_mov_b32 s2, exec_lo
	v_cmpx_lt_f32_e32 v32, v11
	s_cbranch_execz .LBB74_23
; %bb.22:
	v_mov_b32_e32 v97, v19
	v_mov_b32_e32 v65, v3
	v_dual_mov_b32 v87, v95 :: v_dual_mov_b32 v88, v96
	v_mov_b32_e32 v78, v70
	v_dual_mov_b32 v92, v100 :: v_dual_mov_b32 v71, v63
	v_dual_mov_b32 v90, v98 :: v_dual_mov_b32 v91, v99
	;; [unrolled: 1-line block ×8, first 2 shown]
	v_mov_b32_e32 v80, v88
	s_delay_alu instid0(VALU_DEP_3)
	v_dual_mov_b32 v40, v71 :: v_dual_mov_b32 v41, v72
	v_dual_mov_b32 v83, v91 :: v_dual_mov_b32 v84, v92
	;; [unrolled: 1-line block ×20, first 2 shown]
	v_mov_b32_e32 v1, v32
	v_mov_b32_e32 v19, v18
	;; [unrolled: 1-line block ×3, first 2 shown]
.LBB74_23:
	s_or_b32 exec_lo, exec_lo, s2
	v_mov_b32_e32 v2, v12
	s_mov_b32 s2, exec_lo
	v_cmpx_lt_f32_e32 v1, v12
	s_cbranch_execz .LBB74_25
; %bb.24:
	v_mov_b32_e32 v98, v20
	v_dual_mov_b32 v66, v4 :: v_dual_mov_b32 v79, v95
	v_dual_mov_b32 v40, v63 :: v_dual_mov_b32 v41, v64
	;; [unrolled: 1-line block ×3, first 2 shown]
	s_delay_alu instid0(VALU_DEP_3)
	v_dual_mov_b32 v43, v66 :: v_dual_mov_b32 v80, v96
	v_mov_b32_e32 v81, v97
	v_dual_mov_b32 v46, v69 :: v_dual_mov_b32 v83, v99
	v_dual_mov_b32 v42, v65 :: v_dual_mov_b32 v45, v68
	;; [unrolled: 1-line block ×5, first 2 shown]
	v_mov_b32_e32 v44, v3
	v_dual_mov_b32 v55, v79 :: v_dual_mov_b32 v56, v80
	v_dual_mov_b32 v57, v81 :: v_dual_mov_b32 v24, v40
	;; [unrolled: 1-line block ×10, first 2 shown]
	v_mov_b32_e32 v73, v65
	v_dual_mov_b32 v12, v1 :: v_dual_mov_b32 v27, v43
	v_dual_mov_b32 v60, v21 :: v_dual_mov_b32 v61, v22
	;; [unrolled: 1-line block ×8, first 2 shown]
	v_mov_b32_e32 v74, v66
	v_mov_b32_e32 v72, v64
	;; [unrolled: 1-line block ×5, first 2 shown]
.LBB74_25:
	s_or_b32 exec_lo, exec_lo, s2
	v_mov_b32_e32 v1, v13
	s_mov_b32 s2, exec_lo
	v_cmpx_lt_f32_e32 v2, v13
	s_cbranch_execz .LBB74_27
; %bb.26:
	v_mov_b32_e32 v75, v5
	v_dual_mov_b32 v91, v21 :: v_dual_mov_b32 v24, v71
	v_mov_b32_e32 v30, v77
	v_mov_b32_e32 v30, v6
	v_mov_b32_e32 v31, v78
	v_mov_b32_e32 v29, v76
	v_dual_mov_b32 v55, v87 :: v_dual_mov_b32 v60, v92
	v_dual_mov_b32 v79, v87 :: v_dual_mov_b32 v82, v90
	;; [unrolled: 1-line block ×17, first 2 shown]
	v_mov_b32_e32 v21, v20
	v_mov_b32_e32 v5, v4
	;; [unrolled: 1-line block ×4, first 2 shown]
.LBB74_27:
	s_or_b32 exec_lo, exec_lo, s2
	v_mov_b32_e32 v2, v14
	s_mov_b32 s2, exec_lo
	v_cmpx_lt_f32_e32 v1, v14
	s_cbranch_execz .LBB74_29
; %bb.28:
	v_dual_mov_b32 v45, v6 :: v_dual_mov_b32 v46, v5
	v_dual_mov_b32 v84, v22 :: v_dual_mov_b32 v85, v21
	;; [unrolled: 1-line block ×12, first 2 shown]
	v_mov_b32_e32 v2, v1
.LBB74_29:
	s_or_b32 exec_lo, exec_lo, s2
	s_delay_alu instid0(VALU_DEP_1)
	v_cmp_lt_f32_e32 vcc_lo, v2, v15
	v_dual_mov_b32 v40, v56 :: v_dual_mov_b32 v43, v59
	v_cmp_lt_f32_e64 s2, v8, v9
	v_dual_mov_b32 v41, v57 :: v_dual_mov_b32 v42, v58
	v_dual_cndmask_b32 v23, v15, v2 :: v_dual_cndmask_b32 v14, v14, v15
	v_dual_cndmask_b32 v46, v62, v61 :: v_dual_mov_b32 v39, v55
	s_delay_alu instid0(VALU_DEP_2) | instskip(SKIP_3) | instid1(VALU_DEP_4)
	v_dual_mov_b32 v44, v60 :: v_dual_mov_b32 v15, v23
	v_cndmask_b32_e32 v45, v61, v62, vcc_lo
	v_dual_cndmask_b32 v54, v31, v30 :: v_dual_cndmask_b32 v53, v30, v31
	v_dual_mov_b32 v47, v24 :: v_dual_mov_b32 v50, v27
	v_mov_b32_e32 v22, v15
	v_dual_mov_b32 v21, v14 :: v_dual_mov_b32 v20, v13
	v_dual_mov_b32 v19, v12 :: v_dual_mov_b32 v18, v11
	;; [unrolled: 1-line block ×5, first 2 shown]
	v_mov_b32_e32 v51, v28
	s_and_saveexec_b32 s3, s2
	s_delay_alu instid0(SALU_CYCLE_1)
	s_xor_b32 s2, exec_lo, s3
	s_cbranch_execz .LBB74_31
; %bb.30:
	v_dual_mov_b32 v16, v9 :: v_dual_mov_b32 v17, v8
	v_dual_mov_b32 v18, v10 :: v_dual_mov_b32 v19, v11
	;; [unrolled: 1-line block ×4, first 2 shown]
	s_delay_alu instid0(VALU_DEP_4)
	v_dual_mov_b32 v15, v16 :: v_dual_mov_b32 v40, v55
	v_dual_mov_b32 v16, v17 :: v_dual_mov_b32 v39, v56
	;; [unrolled: 1-line block ×10, first 2 shown]
.LBB74_31:
	s_or_b32 exec_lo, exec_lo, s2
	v_dual_mov_b32 v31, v39 :: v_dual_mov_b32 v32, v40
	v_dual_mov_b32 v78, v46 :: v_dual_mov_b32 v77, v45
	;; [unrolled: 1-line block ×22, first 2 shown]
	v_mov_b32_e32 v10, v17
	s_mov_b32 s2, exec_lo
	v_dual_mov_b32 v76, v44 :: v_dual_mov_b32 v75, v43
	v_dual_mov_b32 v68, v52 :: v_dual_mov_b32 v67, v51
	v_cmpx_lt_f32_e32 v9, v17
	s_cbranch_execz .LBB74_33
; %bb.32:
	v_dual_mov_b32 v1, v47 :: v_dual_mov_b32 v2, v48
	v_dual_mov_b32 v7, v53 :: v_dual_mov_b32 v8, v54
	v_mov_b32_e32 v2, v49
	v_dual_mov_b32 v3, v49 :: v_dual_mov_b32 v4, v50
	v_dual_mov_b32 v5, v51 :: v_dual_mov_b32 v6, v52
	v_dual_mov_b32 v62, v46 :: v_dual_mov_b32 v61, v45
	v_dual_mov_b32 v3, v48 :: v_dual_mov_b32 v58, v42
	v_dual_mov_b32 v57, v41 :: v_dual_mov_b32 v56, v40
	v_dual_mov_b32 v55, v39 :: v_dual_mov_b32 v60, v44
	v_dual_mov_b32 v59, v43 :: v_dual_mov_b32 v56, v41
	v_mov_b32_e32 v57, v40
	v_dual_mov_b32 v70, v8 :: v_dual_mov_b32 v69, v7
	v_dual_mov_b32 v64, v2 :: v_dual_mov_b32 v63, v1
	;; [unrolled: 1-line block ×6, first 2 shown]
	v_mov_b32_e32 v66, v50
	v_dual_mov_b32 v16, v17 :: v_dual_mov_b32 v75, v59
	v_dual_mov_b32 v17, v9 :: v_dual_mov_b32 v76, v60
	;; [unrolled: 1-line block ×17, first 2 shown]
.LBB74_33:
	s_or_b32 exec_lo, exec_lo, s2
	v_mov_b32_e32 v9, v18
	s_mov_b32 s2, exec_lo
	s_delay_alu instid0(VALU_DEP_2)
	v_cmpx_lt_f32_e32 v10, v18
	s_cbranch_execz .LBB74_35
; %bb.34:
	v_mov_b32_e32 v3, v50
	v_dual_mov_b32 v57, v42 :: v_dual_mov_b32 v70, v8
	v_mov_b32_e32 v66, v4
	v_dual_mov_b32 v78, v62 :: v_dual_mov_b32 v77, v61
	v_mov_b32_e32 v66, v49
	v_mov_b32_e32 v63, v1
	;; [unrolled: 1-line block ×3, first 2 shown]
	v_dual_mov_b32 v69, v7 :: v_dual_mov_b32 v68, v6
	v_dual_mov_b32 v67, v5 :: v_dual_mov_b32 v64, v2
	;; [unrolled: 1-line block ×4, first 2 shown]
	v_mov_b32_e32 v65, v3
	v_dual_mov_b32 v73, v57 :: v_dual_mov_b32 v72, v56
	v_mov_b32_e32 v74, v41
	v_dual_mov_b32 v18, v10 :: v_dual_mov_b32 v23, v63
	v_dual_mov_b32 v24, v64 :: v_dual_mov_b32 v31, v71
	s_delay_alu instid0(VALU_DEP_4)
	v_dual_mov_b32 v32, v72 :: v_dual_mov_b32 v27, v67
	v_dual_mov_b32 v28, v68 :: v_dual_mov_b32 v29, v69
	;; [unrolled: 1-line block ×10, first 2 shown]
	v_mov_b32_e32 v38, v46
	v_dual_mov_b32 v9, v10 :: v_dual_mov_b32 v42, v41
	v_mov_b32_e32 v50, v49
.LBB74_35:
	s_or_b32 exec_lo, exec_lo, s2
	v_mov_b32_e32 v4, v19
	s_mov_b32 s2, exec_lo
	v_cmpx_lt_f32_e32 v9, v19
	s_cbranch_execz .LBB74_37
; %bb.36:
	v_mov_b32_e32 v4, v51
	v_dual_mov_b32 v18, v19 :: v_dual_mov_b32 v19, v9
	v_mov_b32_e32 v58, v43
	v_dual_mov_b32 v30, v8 :: v_dual_mov_b32 v29, v7
	v_dual_mov_b32 v28, v6 :: v_dual_mov_b32 v25, v3
	v_dual_mov_b32 v23, v1 :: v_dual_mov_b32 v28, v52
	v_mov_b32_e32 v31, v55
	v_dual_mov_b32 v27, v5 :: v_dual_mov_b32 v32, v56
	v_dual_mov_b32 v35, v59 :: v_dual_mov_b32 v34, v58
	;; [unrolled: 4-line block ×3, first 2 shown]
	v_dual_mov_b32 v70, v8 :: v_dual_mov_b32 v65, v3
	v_dual_mov_b32 v26, v4 :: v_dual_mov_b32 v27, v50
	;; [unrolled: 1-line block ×11, first 2 shown]
	v_mov_b32_e32 v64, v2
	v_dual_mov_b32 v4, v9 :: v_dual_mov_b32 v51, v50
.LBB74_37:
	s_or_b32 exec_lo, exec_lo, s2
	v_mov_b32_e32 v1, v20
	s_mov_b32 s2, exec_lo
	s_delay_alu instid0(VALU_DEP_2)
	v_cmpx_lt_f32_e32 v4, v20
	s_cbranch_execz .LBB74_39
; %bb.38:
	v_dual_mov_b32 v67, v52 :: v_dual_mov_b32 v68, v51
	v_dual_mov_b32 v69, v53 :: v_dual_mov_b32 v76, v43
	;; [unrolled: 1-line block ×4, first 2 shown]
	v_mov_b32_e32 v19, v20
	v_dual_mov_b32 v20, v4 :: v_dual_mov_b32 v31, v71
	v_dual_mov_b32 v23, v63 :: v_dual_mov_b32 v24, v64
	;; [unrolled: 1-line block ×9, first 2 shown]
.LBB74_39:
	s_or_b32 exec_lo, exec_lo, s2
	s_delay_alu instid0(VALU_DEP_1)
	v_cmp_lt_f32_e32 vcc_lo, v1, v21
	v_mov_b32_e32 v4, v18
	v_mov_b32_e32 v8, v22
	s_mov_b32 s2, exec_lo
	v_dual_mov_b32 v2, v16 :: v_dual_cndmask_b32 v9, v37, v36
	v_cndmask_b32_e32 v36, v36, v37, vcc_lo
	v_cndmask_b32_e32 v10, v29, v28, vcc_lo
	v_dual_cndmask_b32 v28, v28, v29 :: v_dual_mov_b32 v3, v17
	v_cndmask_b32_e32 v7, v21, v1, vcc_lo
	v_dual_cndmask_b32 v6, v20, v21 :: v_dual_mov_b32 v5, v19
	v_mov_b32_e32 v1, v15
	v_cmpx_lt_f32_e32 v15, v16
	s_cbranch_execz .LBB74_41
; %bb.40:
	s_delay_alu instid0(VALU_DEP_2)
	v_dual_mov_b32 v39, v2 :: v_dual_mov_b32 v40, v1
	v_dual_mov_b32 v41, v3 :: v_dual_mov_b32 v42, v4
	;; [unrolled: 1-line block ×4, first 2 shown]
	v_mov_b32_e32 v11, v31
	v_mov_b32_e32 v12, v23
	v_dual_mov_b32 v1, v39 :: v_dual_mov_b32 v4, v42
	v_swap_b32 v31, v32
	v_swap_b32 v23, v24
	v_dual_mov_b32 v2, v40 :: v_dual_mov_b32 v3, v41
	v_dual_mov_b32 v5, v43 :: v_dual_mov_b32 v6, v44
	;; [unrolled: 1-line block ×3, first 2 shown]
	v_mov_b32_e32 v16, v15
.LBB74_41:
	s_or_b32 exec_lo, exec_lo, s2
	v_mov_b32_e32 v29, v10
	v_dual_mov_b32 v37, v9 :: v_dual_mov_b32 v54, v30
	v_mov_b32_e32 v46, v38
	v_dual_mov_b32 v44, v36 :: v_dual_mov_b32 v39, v31
	v_dual_mov_b32 v70, v38 :: v_dual_mov_b32 v49, v25
	s_delay_alu instid0(VALU_DEP_4)
	v_dual_mov_b32 v62, v30 :: v_dual_mov_b32 v45, v37
	v_dual_mov_b32 v43, v35 :: v_dual_mov_b32 v42, v34
	;; [unrolled: 1-line block ×12, first 2 shown]
	v_mov_b32_e32 v57, v25
	v_mov_b32_e32 v55, v23
	;; [unrolled: 1-line block ×3, first 2 shown]
	s_mov_b32 s2, exec_lo
	v_cmpx_lt_f32_e32 v16, v3
	s_cbranch_execz .LBB74_43
; %bb.42:
	v_dual_mov_b32 v62, v30 :: v_dual_mov_b32 v61, v29
	v_dual_mov_b32 v58, v26 :: v_dual_mov_b32 v57, v25
	;; [unrolled: 1-line block ×7, first 2 shown]
	s_delay_alu instid0(VALU_DEP_4)
	v_dual_mov_b32 v47, v55 :: v_dual_mov_b32 v48, v56
	v_dual_mov_b32 v68, v36 :: v_dual_mov_b32 v67, v35
	;; [unrolled: 1-line block ×16, first 2 shown]
	v_mov_b32_e32 v44, v36
	v_dual_mov_b32 v46, v38 :: v_dual_mov_b32 v11, v16
	v_mov_b32_e32 v33, v32
	v_mov_b32_e32 v25, v24
.LBB74_43:
	s_or_b32 exec_lo, exec_lo, s2
	v_mov_b32_e32 v12, v4
	s_mov_b32 s2, exec_lo
	v_cmpx_lt_f32_e32 v11, v4
	s_cbranch_execz .LBB74_45
; %bb.44:
	v_mov_b32_e32 v57, v26
	v_dual_mov_b32 v3, v4 :: v_dual_mov_b32 v4, v11
	v_mov_b32_e32 v65, v34
	v_dual_mov_b32 v47, v55 :: v_dual_mov_b32 v52, v60
	v_dual_mov_b32 v48, v56 :: v_dual_mov_b32 v39, v63
	v_dual_mov_b32 v42, v66 :: v_dual_mov_b32 v49, v57
	v_mov_b32_e32 v54, v62
	v_dual_mov_b32 v50, v58 :: v_dual_mov_b32 v51, v59
	v_mov_b32_e32 v50, v25
	v_dual_mov_b32 v53, v61 :: v_dual_mov_b32 v52, v28
	v_dual_mov_b32 v41, v65 :: v_dual_mov_b32 v44, v68
	;; [unrolled: 1-line block ×8, first 2 shown]
	v_mov_b32_e32 v12, v11
	v_mov_b32_e32 v34, v33
	;; [unrolled: 1-line block ×3, first 2 shown]
.LBB74_45:
	s_or_b32 exec_lo, exec_lo, s2
	v_mov_b32_e32 v11, v5
	s_mov_b32 s2, exec_lo
	v_cmpx_lt_f32_e32 v12, v5
	s_cbranch_execz .LBB74_47
; %bb.46:
	v_dual_mov_b32 v68, v36 :: v_dual_mov_b32 v69, v9
	v_dual_mov_b32 v58, v27 :: v_dual_mov_b32 v59, v26
	;; [unrolled: 1-line block ×4, first 2 shown]
	v_mov_b32_e32 v70, v38
	v_dual_mov_b32 v4, v5 :: v_dual_mov_b32 v5, v12
	v_dual_mov_b32 v62, v30 :: v_dual_mov_b32 v39, v63
	;; [unrolled: 1-line block ×10, first 2 shown]
.LBB74_47:
	s_or_b32 exec_lo, exec_lo, s2
	s_delay_alu instid0(VALU_DEP_1)
	v_cmp_lt_f32_e32 vcc_lo, v11, v6
	v_dual_mov_b32 v19, v1 :: v_dual_mov_b32 v26, v8
	v_mov_b32_e32 v21, v3
	v_mov_b32_e32 v25, v7
	v_dual_cndmask_b32 v27, v44, v43 :: v_dual_mov_b32 v20, v2
	v_dual_cndmask_b32 v43, v43, v44 :: v_dual_cndmask_b32 v28, v52, v51
	v_dual_cndmask_b32 v51, v51, v52 :: v_dual_cndmask_b32 v24, v6, v11
	v_dual_cndmask_b32 v23, v5, v6 :: v_dual_mov_b32 v22, v4
	s_mov_b32 s2, exec_lo
	v_cmpx_lt_f32_e32 v1, v2
	s_cbranch_execz .LBB74_49
; %bb.48:
	v_dual_mov_b32 v8, v25 :: v_dual_mov_b32 v9, v26
	v_dual_mov_b32 v2, v20 :: v_dual_mov_b32 v3, v19
	;; [unrolled: 1-line block ×4, first 2 shown]
	v_mov_b32_e32 v10, v39
	v_dual_mov_b32 v11, v47 :: v_dual_mov_b32 v26, v9
	v_swap_b32 v39, v40
	v_swap_b32 v47, v48
	v_dual_mov_b32 v25, v8 :: v_dual_mov_b32 v24, v7
	v_dual_mov_b32 v23, v6 :: v_dual_mov_b32 v22, v5
	;; [unrolled: 1-line block ×4, first 2 shown]
.LBB74_49:
	s_or_b32 exec_lo, exec_lo, s2
	v_mov_b32_e32 v52, v28
	v_mov_b32_e32 v44, v27
	;; [unrolled: 1-line block ×4, first 2 shown]
	v_dual_mov_b32 v11, v39 :: v_dual_mov_b32 v4, v48
	v_dual_mov_b32 v12, v40 :: v_dual_mov_b32 v13, v41
	;; [unrolled: 1-line block ×7, first 2 shown]
	v_mov_b32_e32 v10, v54
	s_mov_b32 s2, exec_lo
	v_cmpx_lt_f32_e32 v2, v21
	s_cbranch_execz .LBB74_51
; %bb.50:
	v_dual_mov_b32 v3, v47 :: v_dual_mov_b32 v4, v48
	v_dual_mov_b32 v9, v53 :: v_dual_mov_b32 v10, v54
	;; [unrolled: 1-line block ×17, first 2 shown]
	v_mov_b32_e32 v49, v48
.LBB74_51:
	s_or_b32 exec_lo, exec_lo, s2
	v_mov_b32_e32 v29, v22
	s_mov_b32 s2, exec_lo
	v_cmpx_lt_f32_e32 v1, v22
; %bb.52:
	v_dual_mov_b32 v21, v22 :: v_dual_mov_b32 v22, v1
	v_dual_mov_b32 v5, v50 :: v_dual_mov_b32 v6, v49
	;; [unrolled: 1-line block ×7, first 2 shown]
	v_mov_b32_e32 v29, v1
; %bb.53:
	s_or_b32 exec_lo, exec_lo, s2
	s_delay_alu instid0(VALU_DEP_1)
	v_cmp_lt_f32_e32 vcc_lo, v29, v23
	v_dual_mov_b32 v28, v20 :: v_dual_mov_b32 v33, v25
	v_mov_b32_e32 v32, v24
	v_dual_mov_b32 v34, v26 :: v_dual_cndmask_b32 v1, v15, v14
	v_cndmask_b32_e32 v14, v14, v15, vcc_lo
	v_cndmask_b32_e32 v2, v7, v6, vcc_lo
	v_dual_cndmask_b32 v6, v6, v7 :: v_dual_cndmask_b32 v31, v23, v29
	v_dual_cndmask_b32 v30, v22, v23 :: v_dual_mov_b32 v27, v19
	v_mov_b32_e32 v29, v21
	s_mov_b32 s2, exec_lo
	v_cmpx_lt_f32_e32 v19, v20
	s_cbranch_execz .LBB74_55
; %bb.54:
	v_dual_mov_b32 v20, v28 :: v_dual_mov_b32 v21, v27
	v_dual_mov_b32 v26, v33 :: v_dual_mov_b32 v27, v34
	;; [unrolled: 1-line block ×4, first 2 shown]
	s_delay_alu instid0(VALU_DEP_3)
	v_mov_b32_e32 v34, v27
	v_mov_b32_e32 v7, v11
	v_dual_mov_b32 v15, v3 :: v_dual_mov_b32 v28, v21
	v_swap_b32 v11, v12
	v_swap_b32 v3, v4
	v_dual_mov_b32 v33, v26 :: v_dual_mov_b32 v30, v23
	v_dual_mov_b32 v32, v25 :: v_dual_mov_b32 v31, v24
	v_mov_b32_e32 v29, v22
	v_dual_mov_b32 v27, v20 :: v_dual_mov_b32 v20, v19
.LBB74_55:
	s_or_b32 exec_lo, exec_lo, s2
	v_mov_b32_e32 v7, v2
	v_mov_b32_e32 v15, v1
	;; [unrolled: 1-line block ×3, first 2 shown]
	s_mov_b32 s2, exec_lo
	v_cmpx_lt_f32_e32 v20, v29
	s_cbranch_execz .LBB74_57
; %bb.56:
	v_dual_mov_b32 v42, v10 :: v_dual_mov_b32 v41, v9
	v_dual_mov_b32 v40, v8 :: v_dual_mov_b32 v39, v7
	;; [unrolled: 1-line block ×16, first 2 shown]
	v_mov_b32_e32 v18, v9
	s_delay_alu instid0(VALU_DEP_3) | instskip(NEXT) | instid1(VALU_DEP_4)
	v_dual_mov_b32 v16, v7 :: v_dual_mov_b32 v15, v6
	v_dual_mov_b32 v17, v8 :: v_dual_mov_b32 v14, v5
	;; [unrolled: 1-line block ×3, first 2 shown]
	v_mov_b32_e32 v11, v2
	v_dual_mov_b32 v3, v35 :: v_dual_mov_b32 v4, v36
	v_dual_mov_b32 v5, v37 :: v_dual_mov_b32 v6, v38
	v_dual_mov_b32 v7, v39 :: v_dual_mov_b32 v8, v40
	v_dual_mov_b32 v9, v41 :: v_dual_mov_b32 v10, v42
	v_mov_b32_e32 v19, v20
.LBB74_57:
	s_or_b32 exec_lo, exec_lo, s2
	s_delay_alu instid0(VALU_DEP_1)
	v_cmp_lt_f32_e32 vcc_lo, v19, v30
	v_dual_mov_b32 v20, v7 :: v_dual_mov_b32 v21, v8
	v_dual_mov_b32 v22, v9 :: v_dual_mov_b32 v23, v10
	v_dual_cndmask_b32 v1, v14, v13 :: v_dual_cndmask_b32 v36, v5, v6
	v_dual_cndmask_b32 v35, v13, v14 :: v_dual_cndmask_b32 v2, v6, v5
	;; [unrolled: 1-line block ×3, first 2 shown]
	v_dual_mov_b32 v6, v15 :: v_dual_mov_b32 v13, v16
	v_dual_mov_b32 v14, v17 :: v_dual_mov_b32 v19, v18
	;; [unrolled: 1-line block ×4, first 2 shown]
	v_mov_b32_e32 v29, v34
	s_mov_b32 s2, exec_lo
	v_cmpx_lt_f32_e32 v27, v28
	s_cbranch_execz .LBB74_59
; %bb.58:
	v_dual_mov_b32 v24, v28 :: v_dual_mov_b32 v37, v27
	v_dual_mov_b32 v6, v11 :: v_dual_mov_b32 v13, v16
	v_dual_mov_b32 v20, v3 :: v_dual_mov_b32 v19, v18
	v_swap_b32 v11, v12
	v_swap_b32 v3, v4
	v_dual_mov_b32 v28, v27 :: v_dual_mov_b32 v21, v8
	v_dual_mov_b32 v6, v15 :: v_dual_mov_b32 v23, v10
	;; [unrolled: 1-line block ×5, first 2 shown]
	v_mov_b32_e32 v24, v31
	v_mov_b32_e32 v26, v33
.LBB74_59:
	s_or_b32 exec_lo, exec_lo, s2
	s_clause 0x1
	s_load_b32 s8, s[0:1], 0x28
	s_load_b128 s[4:7], s[0:1], 0x10
	s_waitcnt lgkmcnt(0)
	s_cmp_lt_i32 s8, 1
	s_cbranch_scc1 .LBB74_65
; %bb.60:
	v_cmp_lt_f32_e32 vcc_lo, v28, v30
	v_mov_b32_e32 v9, 0
	s_mov_b32 s9, 0x76543210
	s_mov_b32 s10, s8
	v_mov_b32_e32 v8, 0
	v_dual_cndmask_b32 v10, v35, v12 :: v_dual_cndmask_b32 v17, v37, v30
	v_cndmask_b32_e32 v7, v36, v4, vcc_lo
	v_cndmask_b32_e32 v15, v4, v36, vcc_lo
	;; [unrolled: 1-line block ×4, first 2 shown]
	v_cmp_lt_f32_e64 s2, v27, v17
	s_delay_alu instid0(VALU_DEP_1)
	v_cndmask_b32_e64 v12, v15, v3, s2
	v_cndmask_b32_e64 v15, v3, v15, s2
	v_mov_b32_e32 v3, 0
	v_cndmask_b32_e64 v16, v17, v27, s2
	v_cndmask_b32_e64 v17, v27, v17, s2
	v_cndmask_b32_e64 v18, v28, v11, s2
	v_cndmask_b32_e64 v11, v11, v28, s2
	v_mov_b32_e32 v27, v0
.LBB74_61:                              ; =>This Inner Loop Header: Depth=1
	v_cmp_eq_u32_e32 vcc_lo, 1, v9
	v_cmp_eq_u32_e64 s2, 2, v9
	v_cmp_gt_u32_e64 s3, 8, v9
	v_dual_cndmask_b32 v28, v17, v16 :: v_dual_cndmask_b32 v31, v11, v18
	v_cndmask_b32_e32 v30, v15, v12, vcc_lo
	v_cmp_eq_u32_e32 vcc_lo, 3, v9
	s_delay_alu instid0(VALU_DEP_3) | instskip(NEXT) | instid1(VALU_DEP_4)
	v_cndmask_b32_e64 v28, v28, v4, s2
	v_cndmask_b32_e64 v31, v31, v10, s2
	s_delay_alu instid0(VALU_DEP_4) | instskip(SKIP_1) | instid1(VALU_DEP_4)
	v_cndmask_b32_e64 v30, v30, v7, s2
	v_cmp_eq_u32_e64 s2, 4, v9
	v_cndmask_b32_e32 v28, v28, v5, vcc_lo
	s_delay_alu instid0(VALU_DEP_3) | instskip(SKIP_1) | instid1(VALU_DEP_3)
	v_dual_cndmask_b32 v31, v31, v1 :: v_dual_cndmask_b32 v30, v30, v2
	v_cmp_eq_u32_e32 vcc_lo, 5, v9
	v_cndmask_b32_e64 v28, v28, v24, s2
	s_delay_alu instid0(VALU_DEP_3) | instskip(NEXT) | instid1(VALU_DEP_4)
	v_cndmask_b32_e64 v31, v31, v6, s2
	v_cndmask_b32_e64 v30, v30, v20, s2
	v_cmp_eq_u32_e64 s2, 6, v9
	s_delay_alu instid0(VALU_DEP_4) | instskip(NEXT) | instid1(VALU_DEP_4)
	v_cndmask_b32_e32 v28, v28, v25, vcc_lo
	v_cndmask_b32_e32 v31, v31, v13, vcc_lo
	s_delay_alu instid0(VALU_DEP_4) | instskip(SKIP_1) | instid1(VALU_DEP_4)
	v_cndmask_b32_e32 v30, v30, v21, vcc_lo
	v_cmp_eq_u32_e32 vcc_lo, 7, v9
	v_cndmask_b32_e64 v28, v28, v26, s2
	s_delay_alu instid0(VALU_DEP_3) | instskip(NEXT) | instid1(VALU_DEP_2)
	v_cndmask_b32_e64 v30, v30, v22, s2
	v_cndmask_b32_e32 v28, v28, v29, vcc_lo
	s_delay_alu instid0(VALU_DEP_2) | instskip(NEXT) | instid1(VALU_DEP_2)
	v_cndmask_b32_e32 v30, v30, v23, vcc_lo
	v_cndmask_b32_e64 v28, 0xff800000, v28, s3
	;;#ASMSTART
	v_max_f32 v32, v28, v28 quad_perm:[1,0,3,2] row_mask:0xf bank_mask:0xf bound_ctrl:1
	;;#ASMEND
	;;#ASMSTART
	v_max_f32 v33, v32, v32 quad_perm:[2,3,0,1] row_mask:0xf bank_mask:0xf bound_ctrl:1
	;;#ASMEND
	;;#ASMSTART
	v_max_f32 v32, v33, v33 row_half_mirror row_mask:0xf bank_mask:0xf bound_ctrl:1
	;;#ASMEND
	;;#ASMSTART
	v_max_f32 v33, v32, v32 row_mirror row_mask:0xf bank_mask:0xf bound_ctrl:1
	;;#ASMEND
	v_permlanex16_b32 v32, v33, s9, 0xfedcba98 op_sel:[1,1]
	s_delay_alu instid0(VALU_DEP_1) | instskip(SKIP_1) | instid1(VALU_DEP_2)
	v_dual_max_f32 v33, v33, v33 :: v_dual_max_f32 v32, v32, v32
	v_cndmask_b32_e64 v31, v31, v14, s2
	v_max_f32_e32 v32, v33, v32
	s_delay_alu instid0(VALU_DEP_1) | instskip(SKIP_1) | instid1(VALU_DEP_2)
	v_cmp_eq_f32_e64 s2, v28, v32
	v_cndmask_b32_e64 v28, 0, v30, s3
	s_ctz_i32_b32 s11, s2
	s_cmp_lg_u32 s2, 0
	s_cselect_b32 s2, s11, 0
	s_add_i32 s10, s10, -1
	v_readlane_b32 s11, v28, s2
	v_cndmask_b32_e32 v28, v31, v19, vcc_lo
	s_delay_alu instid0(VALU_DEP_2)
	v_cmp_eq_u32_e32 vcc_lo, s11, v30
	s_and_b32 s2, s11, 31
	s_and_b32 vcc_lo, s3, vcc_lo
	s_cmp_eq_u32 s10, 0
	v_cndmask_b32_e32 v28, 0, v28, vcc_lo
	v_add_co_ci_u32_e32 v9, vcc_lo, 0, v9, vcc_lo
	s_delay_alu instid0(VALU_DEP_2) | instskip(SKIP_2) | instid1(VALU_DEP_2)
	v_readlane_b32 s3, v28, s2
	v_cmp_eq_u32_e64 s2, 0, v27
	v_add_nc_u32_e32 v27, -1, v27
	v_cndmask_b32_e64 v8, v8, s3, s2
	v_cndmask_b32_e64 v3, v3, s11, s2
	s_cbranch_scc0 .LBB74_61
; %bb.62:
	s_mov_b32 s2, exec_lo
	v_cmpx_gt_i32_e64 s8, v0
	s_cbranch_execz .LBB74_64
.LBB74_63:
	s_clause 0x1
	s_load_b64 s[2:3], s[0:1], 0x20
	s_load_b32 s8, s[0:1], 0x30
	s_ashr_i32 s0, s15, 31
	s_waitcnt lgkmcnt(0)
	s_mul_i32 s1, s15, s3
	s_mul_hi_u32 s3, s15, s2
	s_mul_i32 s0, s0, s2
	s_add_i32 s1, s3, s1
	v_mul_f32_e32 v0, s8, v8
	s_add_i32 s1, s1, s0
	s_mul_i32 s0, s15, s2
	s_delay_alu instid0(SALU_CYCLE_1) | instskip(NEXT) | instid1(SALU_CYCLE_1)
	s_lshl_b64 s[0:1], s[0:1], 2
	s_add_u32 s2, s4, s0
	s_addc_u32 s3, s5, s1
	s_add_u32 s0, s6, s0
	s_addc_u32 s1, s7, s1
	s_clause 0x1
	global_store_b32 v103, v0, s[2:3]
	global_store_b32 v103, v3, s[0:1]
.LBB74_64:
	s_nop 0
	s_sendmsg sendmsg(MSG_DEALLOC_VGPRS)
	s_endpgm
.LBB74_65:
	v_dual_mov_b32 v3, 0 :: v_dual_mov_b32 v8, 0
	s_mov_b32 s2, exec_lo
	v_cmpx_gt_i32_e64 s8, v0
	s_cbranch_execnz .LBB74_63
	s_branch .LBB74_64
	.section	.rodata,"a",@progbits
	.p2align	6, 0x0
	.amdhsa_kernel _ZN5aiter24topk_softplus_kernel_optIf12hip_bfloat16Li256ELb0ELi1EEEvPKT_PKT0_PfPimiif
		.amdhsa_group_segment_fixed_size 0
		.amdhsa_private_segment_fixed_size 0
		.amdhsa_kernarg_size 52
		.amdhsa_user_sgpr_count 15
		.amdhsa_user_sgpr_dispatch_ptr 0
		.amdhsa_user_sgpr_queue_ptr 0
		.amdhsa_user_sgpr_kernarg_segment_ptr 1
		.amdhsa_user_sgpr_dispatch_id 0
		.amdhsa_user_sgpr_private_segment_size 0
		.amdhsa_wavefront_size32 1
		.amdhsa_uses_dynamic_stack 0
		.amdhsa_enable_private_segment 0
		.amdhsa_system_sgpr_workgroup_id_x 1
		.amdhsa_system_sgpr_workgroup_id_y 0
		.amdhsa_system_sgpr_workgroup_id_z 0
		.amdhsa_system_sgpr_workgroup_info 0
		.amdhsa_system_vgpr_workitem_id 0
		.amdhsa_next_free_vgpr 104
		.amdhsa_next_free_sgpr 16
		.amdhsa_reserve_vcc 1
		.amdhsa_float_round_mode_32 0
		.amdhsa_float_round_mode_16_64 0
		.amdhsa_float_denorm_mode_32 3
		.amdhsa_float_denorm_mode_16_64 3
		.amdhsa_dx10_clamp 1
		.amdhsa_ieee_mode 1
		.amdhsa_fp16_overflow 0
		.amdhsa_workgroup_processor_mode 1
		.amdhsa_memory_ordered 1
		.amdhsa_forward_progress 0
		.amdhsa_shared_vgpr_count 0
		.amdhsa_exception_fp_ieee_invalid_op 0
		.amdhsa_exception_fp_denorm_src 0
		.amdhsa_exception_fp_ieee_div_zero 0
		.amdhsa_exception_fp_ieee_overflow 0
		.amdhsa_exception_fp_ieee_underflow 0
		.amdhsa_exception_fp_ieee_inexact 0
		.amdhsa_exception_int_div_zero 0
	.end_amdhsa_kernel
	.section	.text._ZN5aiter24topk_softplus_kernel_optIf12hip_bfloat16Li256ELb0ELi1EEEvPKT_PKT0_PfPimiif,"axG",@progbits,_ZN5aiter24topk_softplus_kernel_optIf12hip_bfloat16Li256ELb0ELi1EEEvPKT_PKT0_PfPimiif,comdat
.Lfunc_end74:
	.size	_ZN5aiter24topk_softplus_kernel_optIf12hip_bfloat16Li256ELb0ELi1EEEvPKT_PKT0_PfPimiif, .Lfunc_end74-_ZN5aiter24topk_softplus_kernel_optIf12hip_bfloat16Li256ELb0ELi1EEEvPKT_PKT0_PfPimiif
                                        ; -- End function
	.section	.AMDGPU.csdata,"",@progbits
; Kernel info:
; codeLenInByte = 6796
; NumSgprs: 18
; NumVgprs: 104
; ScratchSize: 0
; MemoryBound: 0
; FloatMode: 240
; IeeeMode: 1
; LDSByteSize: 0 bytes/workgroup (compile time only)
; SGPRBlocks: 2
; VGPRBlocks: 12
; NumSGPRsForWavesPerEU: 18
; NumVGPRsForWavesPerEU: 104
; Occupancy: 12
; WaveLimiterHint : 0
; COMPUTE_PGM_RSRC2:SCRATCH_EN: 0
; COMPUTE_PGM_RSRC2:USER_SGPR: 15
; COMPUTE_PGM_RSRC2:TRAP_HANDLER: 0
; COMPUTE_PGM_RSRC2:TGID_X_EN: 1
; COMPUTE_PGM_RSRC2:TGID_Y_EN: 0
; COMPUTE_PGM_RSRC2:TGID_Z_EN: 0
; COMPUTE_PGM_RSRC2:TIDIG_COMP_CNT: 0
	.section	.text._ZN5aiter24topk_softplus_kernel_optIf12hip_bfloat16Li384ELb1ELi1EEEvPKT_PKT0_PfPimiif,"axG",@progbits,_ZN5aiter24topk_softplus_kernel_optIf12hip_bfloat16Li384ELb1ELi1EEEvPKT_PKT0_PfPimiif,comdat
	.protected	_ZN5aiter24topk_softplus_kernel_optIf12hip_bfloat16Li384ELb1ELi1EEEvPKT_PKT0_PfPimiif ; -- Begin function _ZN5aiter24topk_softplus_kernel_optIf12hip_bfloat16Li384ELb1ELi1EEEvPKT_PKT0_PfPimiif
	.globl	_ZN5aiter24topk_softplus_kernel_optIf12hip_bfloat16Li384ELb1ELi1EEEvPKT_PKT0_PfPimiif
	.p2align	8
	.type	_ZN5aiter24topk_softplus_kernel_optIf12hip_bfloat16Li384ELb1ELi1EEEvPKT_PKT0_PfPimiif,@function
_ZN5aiter24topk_softplus_kernel_optIf12hip_bfloat16Li384ELb1ELi1EEEvPKT_PKT0_PfPimiif: ; @_ZN5aiter24topk_softplus_kernel_optIf12hip_bfloat16Li384ELb1ELi1EEEvPKT_PKT0_PfPimiif
; %bb.0:
	s_load_b128 s[4:7], s[0:1], 0x0
	s_mul_i32 s2, s15, 0x180
	v_lshlrev_b32_e32 v183, 2, v0
	s_ashr_i32 s3, s2, 31
	v_lshlrev_b32_e32 v3, 1, v0
	s_lshl_b64 s[2:3], s[2:3], 2
	s_waitcnt lgkmcnt(0)
	s_add_u32 s4, s4, s2
	s_addc_u32 s5, s5, s3
	s_cmp_lg_u64 s[6:7], 0
	global_load_b32 v1, v183, s[4:5]
	s_cselect_b32 s2, -1, 0
	s_waitcnt vmcnt(0)
	v_mul_f32_e32 v2, 0xbfb8aa3b, v1
	s_delay_alu instid0(VALU_DEP_1) | instskip(SKIP_1) | instid1(VALU_DEP_1)
	v_cmp_gt_f32_e32 vcc_lo, 0xc2fc0000, v2
	v_cndmask_b32_e64 v2, 0, 0x42800000, vcc_lo
	v_fmac_f32_e32 v2, 0xbfb8aa3b, v1
	s_delay_alu instid0(VALU_DEP_1) | instskip(SKIP_4) | instid1(VALU_DEP_1)
	v_exp_f32_e32 v1, v2
	v_cndmask_b32_e64 v2, 1.0, 0x1f800000, vcc_lo
	s_and_b32 vcc_lo, exec_lo, s2
	s_waitcnt_depctr 0xfff
	v_fma_f32 v1, v1, v2, 1.0
	v_rcp_f32_e32 v37, v1
	v_add_co_u32 v1, s3, s4, v183
	s_delay_alu instid0(VALU_DEP_1)
	v_add_co_ci_u32_e64 v2, null, s5, 0, s3
	s_waitcnt_depctr 0xfff
	v_mov_b32_e32 v48, v37
	s_cbranch_vccz .LBB75_2
; %bb.1:
	global_load_u16 v4, v3, s[6:7]
	s_waitcnt vmcnt(0)
	v_lshlrev_b32_e32 v4, 16, v4
	s_delay_alu instid0(VALU_DEP_1)
	v_add_f32_e32 v48, v37, v4
.LBB75_2:
	global_load_b32 v4, v[1:2], off offset:128
	s_waitcnt vmcnt(0)
	v_mul_f32_e32 v5, 0xbfb8aa3b, v4
	s_delay_alu instid0(VALU_DEP_1) | instskip(SKIP_3) | instid1(VALU_DEP_2)
	v_cmp_gt_f32_e32 vcc_lo, 0xc2fc0000, v5
	v_cndmask_b32_e64 v6, 0, 0x42800000, vcc_lo
	v_cndmask_b32_e64 v5, 1.0, 0x1f800000, vcc_lo
	s_and_not1_b32 vcc_lo, exec_lo, s2
	v_fmac_f32_e32 v6, 0xbfb8aa3b, v4
	s_delay_alu instid0(VALU_DEP_1) | instskip(SKIP_2) | instid1(VALU_DEP_1)
	v_exp_f32_e32 v4, v6
	s_waitcnt_depctr 0xfff
	v_fma_f32 v4, v4, v5, 1.0
	v_rcp_f32_e32 v14, v4
	v_cndmask_b32_e64 v4, 0, 1, s2
	s_waitcnt_depctr 0xfff
	v_mov_b32_e32 v49, v14
	s_cbranch_vccnz .LBB75_4
; %bb.3:
	global_load_u16 v5, v3, s[6:7] offset:64
	s_waitcnt vmcnt(0)
	v_lshlrev_b32_e32 v5, 16, v5
	s_delay_alu instid0(VALU_DEP_1)
	v_add_f32_e32 v49, v14, v5
.LBB75_4:
	global_load_b32 v5, v[1:2], off offset:256
	s_waitcnt vmcnt(0)
	v_mul_f32_e32 v6, 0xbfb8aa3b, v5
	s_delay_alu instid0(VALU_DEP_1) | instskip(SKIP_3) | instid1(VALU_DEP_3)
	v_cmp_gt_f32_e32 vcc_lo, 0xc2fc0000, v6
	v_cndmask_b32_e64 v7, 0, 0x42800000, vcc_lo
	v_cndmask_b32_e64 v6, 1.0, 0x1f800000, vcc_lo
	v_cmp_ne_u32_e32 vcc_lo, 1, v4
	v_fmac_f32_e32 v7, 0xbfb8aa3b, v5
	s_and_b32 vcc_lo, exec_lo, vcc_lo
	s_delay_alu instid0(VALU_DEP_1) | instskip(SKIP_2) | instid1(VALU_DEP_1)
	v_exp_f32_e32 v5, v7
	s_waitcnt_depctr 0xfff
	v_fma_f32 v5, v5, v6, 1.0
	v_rcp_f32_e32 v15, v5
	s_waitcnt_depctr 0xfff
	v_mov_b32_e32 v50, v15
	s_cbranch_vccnz .LBB75_6
; %bb.5:
	global_load_u16 v5, v3, s[6:7] offset:128
	s_waitcnt vmcnt(0)
	v_lshlrev_b32_e32 v5, 16, v5
	s_delay_alu instid0(VALU_DEP_1)
	v_add_f32_e32 v50, v15, v5
.LBB75_6:
	global_load_b32 v5, v[1:2], off offset:384
	s_waitcnt vmcnt(0)
	v_mul_f32_e32 v6, 0xbfb8aa3b, v5
	s_delay_alu instid0(VALU_DEP_1) | instskip(SKIP_3) | instid1(VALU_DEP_3)
	v_cmp_gt_f32_e32 vcc_lo, 0xc2fc0000, v6
	v_cndmask_b32_e64 v7, 0, 0x42800000, vcc_lo
	v_cndmask_b32_e64 v6, 1.0, 0x1f800000, vcc_lo
	v_cmp_ne_u32_e32 vcc_lo, 1, v4
	v_fmac_f32_e32 v7, 0xbfb8aa3b, v5
	s_and_b32 vcc_lo, exec_lo, vcc_lo
	s_delay_alu instid0(VALU_DEP_1) | instskip(SKIP_2) | instid1(VALU_DEP_1)
	v_exp_f32_e32 v5, v7
	s_waitcnt_depctr 0xfff
	v_fma_f32 v5, v5, v6, 1.0
	v_rcp_f32_e32 v16, v5
	;; [unrolled: 25-line block ×9, first 2 shown]
	s_waitcnt_depctr 0xfff
	v_mov_b32_e32 v58, v23
	s_cbranch_vccnz .LBB75_22
; %bb.21:
	global_load_u16 v5, v3, s[6:7] offset:640
	s_waitcnt vmcnt(0)
	v_lshlrev_b32_e32 v5, 16, v5
	s_delay_alu instid0(VALU_DEP_1)
	v_add_f32_e32 v58, v23, v5
.LBB75_22:
	global_load_b32 v1, v[1:2], off offset:1408
	s_waitcnt vmcnt(0)
	v_mul_f32_e32 v2, 0xbfb8aa3b, v1
	s_delay_alu instid0(VALU_DEP_1) | instskip(SKIP_3) | instid1(VALU_DEP_3)
	v_cmp_gt_f32_e32 vcc_lo, 0xc2fc0000, v2
	v_cndmask_b32_e64 v5, 0, 0x42800000, vcc_lo
	v_cndmask_b32_e64 v2, 1.0, 0x1f800000, vcc_lo
	v_cmp_ne_u32_e32 vcc_lo, 1, v4
	v_fmac_f32_e32 v5, 0xbfb8aa3b, v1
	s_delay_alu instid0(VALU_DEP_1) | instskip(SKIP_2) | instid1(VALU_DEP_1)
	v_exp_f32_e32 v1, v5
	s_waitcnt_depctr 0xfff
	v_fma_f32 v1, v1, v2, 1.0
	v_rcp_f32_e32 v24, v1
	s_cbranch_vccnz .LBB75_24
; %bb.23:
	global_load_u16 v1, v3, s[6:7] offset:704
	s_waitcnt vmcnt(0)
	v_lshlrev_b32_e32 v1, 16, v1
	s_delay_alu instid0(VALU_DEP_1)
	v_add_f32_e32 v59, v24, v1
	s_branch .LBB75_25
.LBB75_24:
	s_waitcnt_depctr 0xfff
	v_mov_b32_e32 v59, v24
.LBB75_25:
	v_dual_mov_b32 v1, v48 :: v_dual_add_nc_u32 v26, 32, v0
	v_dual_mov_b32 v2, v49 :: v_dual_add_nc_u32 v27, 64, v0
	v_dual_mov_b32 v3, v50 :: v_dual_add_nc_u32 v28, 0x60, v0
	v_dual_mov_b32 v4, v51 :: v_dual_add_nc_u32 v29, 0x80, v0
	v_dual_mov_b32 v5, v52 :: v_dual_add_nc_u32 v30, 0xa0, v0
	v_dual_mov_b32 v6, v53 :: v_dual_add_nc_u32 v31, 0xc0, v0
	v_dual_mov_b32 v7, v54 :: v_dual_add_nc_u32 v32, 0xe0, v0
	v_dual_mov_b32 v8, v55 :: v_dual_add_nc_u32 v33, 0x100, v0
	v_dual_mov_b32 v9, v56 :: v_dual_add_nc_u32 v34, 0x120, v0
	v_dual_mov_b32 v10, v57 :: v_dual_add_nc_u32 v35, 0x140, v0
	v_dual_mov_b32 v11, v58 :: v_dual_add_nc_u32 v36, 0x160, v0
	v_dual_mov_b32 v12, v59 :: v_dual_mov_b32 v13, v37
	v_mov_b32_e32 v25, v0
	s_mov_b32 s2, exec_lo
	v_cmpx_lt_f32_e32 v48, v49
	s_xor_b32 s2, exec_lo, s2
; %bb.26:
	v_dual_mov_b32 v1, v49 :: v_dual_mov_b32 v2, v48
	v_dual_mov_b32 v3, v50 :: v_dual_mov_b32 v4, v51
	;; [unrolled: 1-line block ×6, first 2 shown]
	v_mov_b32_e32 v49, v48
	v_dual_mov_b32 v13, v14 :: v_dual_mov_b32 v14, v37
	v_dual_mov_b32 v25, v26 :: v_dual_mov_b32 v26, v0
; %bb.27:
	s_or_b32 exec_lo, exec_lo, s2
	v_dual_mov_b32 v122, v24 :: v_dual_mov_b32 v119, v21
	v_dual_mov_b32 v86, v24 :: v_dual_mov_b32 v85, v23
	;; [unrolled: 1-line block ×37, first 2 shown]
	s_clause 0x8
	scratch_store_b128 off, v[13:16], off
	scratch_store_b128 off, v[17:20], off offset:16
	scratch_store_b128 off, v[21:24], off offset:32
	scratch_store_b128 off, v[13:16], off offset:48
	scratch_store_b128 off, v[17:20], off offset:64
	scratch_store_b128 off, v[21:24], off offset:80
	scratch_store_b128 off, v[13:16], off offset:96
	scratch_store_b128 off, v[17:20], off offset:112
	scratch_store_b128 off, v[21:24], off offset:128
	v_dual_mov_b32 v72, v34 :: v_dual_mov_b32 v69, v31
	v_dual_mov_b32 v70, v32 :: v_dual_mov_b32 v67, v29
	;; [unrolled: 1-line block ×29, first 2 shown]
	v_mov_b32_e32 v160, v26
	s_clause 0x2
	scratch_store_b128 off, v[25:28], off offset:144
	scratch_store_b128 off, v[29:32], off offset:160
	;; [unrolled: 1-line block ×3, first 2 shown]
	s_mov_b32 s2, exec_lo
	v_dual_mov_b32 v182, v36 :: v_dual_mov_b32 v179, v33
	v_dual_mov_b32 v181, v35 :: v_dual_mov_b32 v180, v34
	;; [unrolled: 1-line block ×6, first 2 shown]
	v_cmpx_lt_f32_e32 v49, v3
	s_cbranch_execz .LBB75_29
; %bb.28:
	v_dual_mov_b32 v182, v36 :: v_dual_mov_b32 v179, v33
	v_dual_mov_b32 v174, v28 :: v_dual_mov_b32 v171, v25
	;; [unrolled: 1-line block ×3, first 2 shown]
	v_mov_b32_e32 v172, v26
	v_dual_mov_b32 v62, v49 :: v_dual_mov_b32 v181, v35
	v_dual_mov_b32 v180, v34 :: v_dual_mov_b32 v177, v31
	;; [unrolled: 1-line block ×11, first 2 shown]
	v_mov_b32_e32 v125, v14
	v_dual_mov_b32 v162, v174 :: v_dual_mov_b32 v163, v175
	v_dual_mov_b32 v164, v176 :: v_dual_mov_b32 v165, v177
	;; [unrolled: 1-line block ×5, first 2 shown]
	v_mov_b32_e32 v162, v28
	v_dual_mov_b32 v170, v182 :: v_dual_mov_b32 v37, v159
	s_clause 0x2
	scratch_store_b128 off, v[123:126], off offset:96
	scratch_store_b128 off, v[127:130], off offset:112
	;; [unrolled: 1-line block ×3, first 2 shown]
	v_dual_mov_b32 v42, v164 :: v_dual_mov_b32 v47, v169
	v_dual_mov_b32 v126, v16 :: v_dual_mov_b32 v45, v167
	;; [unrolled: 1-line block ×5, first 2 shown]
	v_mov_b32_e32 v38, v160
	v_mov_b32_e32 v40, v162
	s_clause 0x2
	scratch_store_b128 off, v[37:40], off offset:144
	scratch_store_b128 off, v[41:44], off offset:160
	;; [unrolled: 1-line block ×3, first 2 shown]
	v_dual_mov_b32 v2, v3 :: v_dual_mov_b32 v3, v49
	v_mov_b32_e32 v147, v159
	v_mov_b32_e32 v127, v17
	;; [unrolled: 1-line block ×3, first 2 shown]
	v_dual_mov_b32 v151, v163 :: v_dual_mov_b32 v148, v160
	v_dual_mov_b32 v153, v165 :: v_dual_mov_b32 v152, v164
	;; [unrolled: 1-line block ×3, first 2 shown]
	v_mov_b32_e32 v158, v170
	v_dual_mov_b32 v150, v162 :: v_dual_mov_b32 v155, v167
	v_mov_b32_e32 v156, v168
	v_mov_b32_e32 v152, v30
	;; [unrolled: 1-line block ×3, first 2 shown]
	v_dual_mov_b32 v27, v26 :: v_dual_mov_b32 v42, v128
	v_mov_b32_e32 v37, v123
	v_dual_mov_b32 v43, v129 :: v_dual_mov_b32 v44, v130
	v_mov_b32_e32 v39, v125
	v_dual_mov_b32 v45, v131 :: v_dual_mov_b32 v46, v132
	v_dual_mov_b32 v47, v133 :: v_dual_mov_b32 v48, v134
	v_mov_b32_e32 v38, v124
	v_mov_b32_e32 v40, v126
	s_clause 0x2
	scratch_store_b128 off, v[37:40], off offset:48
	scratch_store_b128 off, v[41:44], off offset:64
	;; [unrolled: 1-line block ×3, first 2 shown]
	v_mov_b32_e32 v37, v123
	v_mov_b32_e32 v39, v125
	v_dual_mov_b32 v41, v127 :: v_dual_mov_b32 v38, v124
	v_mov_b32_e32 v99, v147
	v_mov_b32_e32 v105, v153
	v_dual_mov_b32 v105, v31 :: v_dual_mov_b32 v106, v154
	v_dual_mov_b32 v40, v126 :: v_dual_mov_b32 v101, v149
	;; [unrolled: 1-line block ×3, first 2 shown]
	v_mov_b32_e32 v110, v158
	v_mov_b32_e32 v50, v123
	v_dual_mov_b32 v100, v148 :: v_dual_mov_b32 v107, v155
	v_dual_mov_b32 v102, v150 :: v_dual_mov_b32 v109, v157
	;; [unrolled: 1-line block ×7, first 2 shown]
	v_mov_b32_e32 v58, v131
	v_mov_b32_e32 v56, v19
	s_clause 0x2
	scratch_store_b128 off, v[37:40], off
	scratch_store_b128 off, v[41:44], off offset:16
	scratch_store_b128 off, v[45:48], off offset:32
	v_dual_mov_b32 v60, v133 :: v_dual_mov_b32 v55, v128
	v_mov_b32_e32 v37, v99
	v_mov_b32_e32 v41, v103
	;; [unrolled: 1-line block ×3, first 2 shown]
	v_dual_mov_b32 v43, v105 :: v_dual_mov_b32 v48, v110
	v_dual_mov_b32 v38, v100 :: v_dual_mov_b32 v45, v107
	v_mov_b32_e32 v44, v106
	v_dual_mov_b32 v122, v61 :: v_dual_mov_b32 v113, v52
	v_dual_mov_b32 v40, v102 :: v_dual_mov_b32 v47, v109
	;; [unrolled: 1-line block ×7, first 2 shown]
	v_mov_b32_e32 v114, v53
	v_mov_b32_e32 v116, v55
	;; [unrolled: 1-line block ×4, first 2 shown]
	v_dual_mov_b32 v98, v48 :: v_dual_mov_b32 v95, v45
	v_mov_b32_e32 v95, v33
	v_mov_b32_e32 v93, v43
	;; [unrolled: 1-line block ×4, first 2 shown]
	v_dual_mov_b32 v87, v37 :: v_dual_mov_b32 v146, v122
	v_dual_mov_b32 v137, v113 :: v_dual_mov_b32 v96, v46
	v_dual_mov_b32 v145, v121 :: v_dual_mov_b32 v144, v120
	v_mov_b32_e32 v135, v111
	v_dual_mov_b32 v97, v47 :: v_dual_mov_b32 v94, v44
	v_dual_mov_b32 v92, v42 :: v_dual_mov_b32 v143, v119
	;; [unrolled: 1-line block ×4, first 2 shown]
	v_mov_b32_e32 v138, v114
	v_dual_mov_b32 v142, v118 :: v_dual_mov_b32 v143, v21
	v_dual_mov_b32 v140, v116 :: v_dual_mov_b32 v63, v87
	;; [unrolled: 1-line block ×8, first 2 shown]
	v_mov_b32_e32 v86, v146
	v_dual_mov_b32 v64, v88 :: v_dual_mov_b32 v69, v93
	v_dual_mov_b32 v66, v90 :: v_dual_mov_b32 v71, v95
	v_dual_mov_b32 v70, v94 :: v_dual_mov_b32 v73, v35
	v_dual_mov_b32 v72, v34 :: v_dual_mov_b32 v79, v139
	v_dual_mov_b32 v74, v36 :: v_dual_mov_b32 v81, v141
	v_dual_mov_b32 v76, v136 :: v_dual_mov_b32 v83, v143
	v_dual_mov_b32 v80, v140 :: v_dual_mov_b32 v85, v23
	v_mov_b32_e32 v82, v142
	v_mov_b32_e32 v84, v22
	;; [unrolled: 1-line block ×3, first 2 shown]
.LBB75_29:
	s_or_b32 exec_lo, exec_lo, s2
	v_mov_b32_e32 v13, v4
	s_mov_b32 s2, exec_lo
	v_cmpx_lt_f32_e32 v62, v4
	s_cbranch_execz .LBB75_31
; %bb.30:
	s_clause 0x2
	scratch_load_b128 v[37:40], off, off offset:96
	scratch_load_b128 v[41:44], off, off offset:112
	;; [unrolled: 1-line block ×3, first 2 shown]
	v_dual_mov_b32 v173, v28 :: v_dual_mov_b32 v28, v27
	v_mov_b32_e32 v3, v4
	s_waitcnt vmcnt(0)
	v_dual_mov_b32 v13, v62 :: v_dual_mov_b32 v134, v48
	v_dual_mov_b32 v133, v47 :: v_dual_mov_b32 v124, v38
	;; [unrolled: 1-line block ×3, first 2 shown]
	v_mov_b32_e32 v125, v16
	v_dual_mov_b32 v159, v171 :: v_dual_mov_b32 v160, v172
	s_delay_alu instid0(VALU_DEP_3) | instskip(NEXT) | instid1(VALU_DEP_3)
	v_dual_mov_b32 v162, v174 :: v_dual_mov_b32 v37, v123
	v_dual_mov_b32 v38, v124 :: v_dual_mov_b32 v39, v125
	;; [unrolled: 1-line block ×5, first 2 shown]
	v_mov_b32_e32 v126, v15
	s_clause 0x2
	scratch_store_b128 off, v[37:40], off offset:96
	scratch_store_b128 off, v[41:44], off offset:112
	;; [unrolled: 1-line block ×3, first 2 shown]
	v_dual_mov_b32 v161, v173 :: v_dual_mov_b32 v164, v176
	v_dual_mov_b32 v167, v179 :: v_dual_mov_b32 v170, v182
	v_dual_mov_b32 v163, v175 :: v_dual_mov_b32 v166, v178
	v_dual_mov_b32 v165, v177 :: v_dual_mov_b32 v168, v180
	v_dual_mov_b32 v169, v181 :: v_dual_mov_b32 v162, v27
	s_delay_alu instid0(VALU_DEP_2) | instskip(SKIP_2) | instid1(VALU_DEP_4)
	v_dual_mov_b32 v42, v164 :: v_dual_mov_b32 v43, v165
	v_dual_mov_b32 v48, v170 :: v_dual_mov_b32 v37, v159
	;; [unrolled: 1-line block ×6, first 2 shown]
	s_clause 0x2
	scratch_store_b128 off, v[37:40], off offset:144
	scratch_store_b128 off, v[41:44], off offset:160
	;; [unrolled: 1-line block ×3, first 2 shown]
	v_dual_mov_b32 v42, v128 :: v_dual_mov_b32 v43, v129
	v_dual_mov_b32 v48, v134 :: v_dual_mov_b32 v37, v123
	;; [unrolled: 1-line block ×6, first 2 shown]
	s_clause 0x2
	scratch_store_b128 off, v[37:40], off offset:48
	scratch_store_b128 off, v[41:44], off offset:64
	;; [unrolled: 1-line block ×3, first 2 shown]
	v_dual_mov_b32 v147, v159 :: v_dual_mov_b32 v148, v160
	v_dual_mov_b32 v151, v163 :: v_dual_mov_b32 v152, v164
	;; [unrolled: 1-line block ×10, first 2 shown]
	s_delay_alu instid0(VALU_DEP_4)
	v_dual_mov_b32 v106, v154 :: v_dual_mov_b32 v107, v155
	v_mov_b32_e32 v110, v158
	v_dual_mov_b32 v100, v148 :: v_dual_mov_b32 v101, v149
	v_dual_mov_b32 v104, v152 :: v_dual_mov_b32 v105, v153
	;; [unrolled: 1-line block ×5, first 2 shown]
	v_mov_b32_e32 v61, v134
	s_clause 0x2
	scratch_store_b128 off, v[37:40], off
	scratch_store_b128 off, v[41:44], off offset:16
	scratch_store_b128 off, v[45:48], off offset:32
	v_dual_mov_b32 v54, v127 :: v_dual_mov_b32 v55, v128
	v_dual_mov_b32 v56, v129 :: v_dual_mov_b32 v57, v130
	;; [unrolled: 1-line block ×8, first 2 shown]
	v_mov_b32_e32 v48, v110
	v_mov_b32_e32 v44, v32
	v_dual_mov_b32 v42, v104 :: v_dual_mov_b32 v43, v105
	v_dual_mov_b32 v46, v108 :: v_dual_mov_b32 v47, v109
	;; [unrolled: 1-line block ×9, first 2 shown]
	v_mov_b32_e32 v114, v53
	v_mov_b32_e32 v112, v51
	v_dual_mov_b32 v98, v48 :: v_dual_mov_b32 v91, v41
	v_dual_mov_b32 v94, v44 :: v_dual_mov_b32 v87, v37
	;; [unrolled: 1-line block ×3, first 2 shown]
	v_mov_b32_e32 v89, v39
	v_mov_b32_e32 v95, v45
	v_dual_mov_b32 v93, v43 :: v_dual_mov_b32 v146, v122
	v_dual_mov_b32 v143, v119 :: v_dual_mov_b32 v140, v116
	v_dual_mov_b32 v135, v111 :: v_dual_mov_b32 v88, v38
	v_dual_mov_b32 v145, v121 :: v_dual_mov_b32 v144, v120
	v_dual_mov_b32 v139, v115 :: v_dual_mov_b32 v142, v118
	v_dual_mov_b32 v137, v113 :: v_dual_mov_b32 v92, v42
	v_dual_mov_b32 v95, v33 :: v_dual_mov_b32 v90, v40
	v_dual_mov_b32 v16, v15 :: v_dual_mov_b32 v141, v117
	v_dual_mov_b32 v138, v114 :: v_dual_mov_b32 v143, v21
	v_dual_mov_b32 v136, v112 :: v_dual_mov_b32 v63, v87
	v_dual_mov_b32 v72, v96 :: v_dual_mov_b32 v73, v97
	v_dual_mov_b32 v72, v34 :: v_dual_mov_b32 v75, v135
	v_dual_mov_b32 v74, v98 :: v_dual_mov_b32 v73, v35
	v_dual_mov_b32 v82, v142 :: v_dual_mov_b32 v85, v145
	v_dual_mov_b32 v84, v144 :: v_dual_mov_b32 v85, v23
	v_mov_b32_e32 v86, v146
	v_dual_mov_b32 v64, v88 :: v_dual_mov_b32 v65, v89
	v_dual_mov_b32 v66, v90 :: v_dual_mov_b32 v67, v91
	;; [unrolled: 1-line block ×8, first 2 shown]
	v_mov_b32_e32 v84, v22
	v_mov_b32_e32 v86, v24
.LBB75_31:
	s_or_b32 exec_lo, exec_lo, s2
	v_mov_b32_e32 v14, v5
	s_mov_b32 s2, exec_lo
	v_cmpx_lt_f32_e32 v13, v5
	s_cbranch_execz .LBB75_33
; %bb.32:
	s_clause 0x2
	scratch_load_b128 v[37:40], off, off offset:96
	scratch_load_b128 v[41:44], off, off offset:112
	;; [unrolled: 1-line block ×3, first 2 shown]
	v_mov_b32_e32 v174, v29
	v_mov_b32_e32 v14, v13
	;; [unrolled: 1-line block ×3, first 2 shown]
	v_dual_mov_b32 v17, v16 :: v_dual_mov_b32 v4, v5
	v_mov_b32_e32 v29, v28
	s_waitcnt vmcnt(0)
	v_dual_mov_b32 v73, v48 :: v_dual_mov_b32 v64, v39
	v_dual_mov_b32 v70, v45 :: v_dual_mov_b32 v69, v44
	;; [unrolled: 1-line block ×18, first 2 shown]
	v_mov_b32_e32 v127, v16
	v_dual_mov_b32 v147, v159 :: v_dual_mov_b32 v148, v160
	v_dual_mov_b32 v149, v161 :: v_dual_mov_b32 v152, v164
	;; [unrolled: 1-line block ×19, first 2 shown]
	v_mov_b32_e32 v61, v134
	s_clause 0x2
	scratch_store_b128 off, v[37:40], off
	scratch_store_b128 off, v[41:44], off offset:16
	scratch_store_b128 off, v[45:48], off offset:32
	v_dual_mov_b32 v53, v126 :: v_dual_mov_b32 v54, v127
	v_dual_mov_b32 v101, v149 :: v_dual_mov_b32 v102, v150
	v_dual_mov_b32 v55, v128 :: v_dual_mov_b32 v56, v129
	v_dual_mov_b32 v57, v130 :: v_dual_mov_b32 v58, v131
	v_dual_mov_b32 v59, v132 :: v_dual_mov_b32 v60, v133
	v_dual_mov_b32 v37, v99 :: v_dual_mov_b32 v38, v100
	v_dual_mov_b32 v51, v124 :: v_dual_mov_b32 v52, v125
	v_dual_mov_b32 v56, v19 :: v_dual_mov_b32 v47, v109
	v_dual_mov_b32 v48, v110 :: v_dual_mov_b32 v41, v103
	v_dual_mov_b32 v42, v104 :: v_dual_mov_b32 v45, v107
	v_mov_b32_e32 v46, v108
	v_dual_mov_b32 v122, v61 :: v_dual_mov_b32 v121, v60
	v_dual_mov_b32 v43, v105 :: v_dual_mov_b32 v44, v106
	;; [unrolled: 1-line block ×8, first 2 shown]
	v_mov_b32_e32 v112, v51
	v_mov_b32_e32 v118, v20
	v_dual_mov_b32 v98, v48 :: v_dual_mov_b32 v93, v43
	v_dual_mov_b32 v92, v42 :: v_dual_mov_b32 v87, v37
	v_mov_b32_e32 v97, v47
	v_dual_mov_b32 v95, v45 :: v_dual_mov_b32 v146, v122
	v_dual_mov_b32 v143, v119 :: v_dual_mov_b32 v138, v114
	;; [unrolled: 1-line block ×7, first 2 shown]
	v_mov_b32_e32 v89, v39
	s_clause 0x5
	scratch_store_b128 off, v[62:65], off offset:48
	scratch_store_b128 off, v[66:69], off offset:64
	;; [unrolled: 1-line block ×6, first 2 shown]
	v_dual_mov_b32 v142, v118 :: v_dual_mov_b32 v139, v115
	v_dual_mov_b32 v140, v116 :: v_dual_mov_b32 v137, v113
	;; [unrolled: 1-line block ×17, first 2 shown]
	v_mov_b32_e32 v84, v22
	v_mov_b32_e32 v86, v24
.LBB75_33:
	s_or_b32 exec_lo, exec_lo, s2
	v_mov_b32_e32 v13, v6
	s_mov_b32 s2, exec_lo
	v_cmpx_lt_f32_e32 v14, v6
	s_cbranch_execz .LBB75_35
; %bb.34:
	s_clause 0x2
	scratch_load_b128 v[37:40], off, off offset:144
	scratch_load_b128 v[41:44], off, off offset:160
	scratch_load_b128 v[45:48], off, off offset:176
	v_mov_b32_e32 v5, v6
	s_waitcnt vmcnt(0)
	v_dual_mov_b32 v13, v14 :: v_dual_mov_b32 v170, v48
	v_dual_mov_b32 v169, v47 :: v_dual_mov_b32 v162, v40
	;; [unrolled: 1-line block ×6, first 2 shown]
	s_clause 0x2
	scratch_load_b128 v[37:40], off, off offset:48
	scratch_load_b128 v[41:44], off, off offset:64
	;; [unrolled: 1-line block ×3, first 2 shown]
	v_dual_mov_b32 v163, v30 :: v_dual_mov_b32 v30, v29
	s_waitcnt vmcnt(0)
	v_dual_mov_b32 v73, v48 :: v_dual_mov_b32 v72, v47
	v_dual_mov_b32 v65, v40 :: v_dual_mov_b32 v62, v37
	v_mov_b32_e32 v63, v38
	v_dual_mov_b32 v67, v42 :: v_dual_mov_b32 v64, v39
	v_dual_mov_b32 v71, v46 :: v_dual_mov_b32 v70, v45
	;; [unrolled: 1-line block ×4, first 2 shown]
	v_mov_b32_e32 v148, v160
	v_dual_mov_b32 v134, v73 :: v_dual_mov_b32 v133, v72
	v_dual_mov_b32 v124, v63 :: v_dual_mov_b32 v123, v62
	;; [unrolled: 1-line block ×11, first 2 shown]
	v_mov_b32_e32 v128, v17
	v_mov_b32_e32 v152, v29
	v_dual_mov_b32 v50, v123 :: v_dual_mov_b32 v51, v124
	v_mov_b32_e32 v99, v147
	s_delay_alu instid0(VALU_DEP_3)
	v_dual_mov_b32 v53, v126 :: v_dual_mov_b32 v104, v152
	v_dual_mov_b32 v105, v153 :: v_dual_mov_b32 v100, v148
	;; [unrolled: 1-line block ×7, first 2 shown]
	v_mov_b32_e32 v57, v130
	v_dual_mov_b32 v102, v150 :: v_dual_mov_b32 v103, v151
	v_dual_mov_b32 v108, v156 :: v_dual_mov_b32 v109, v157
	;; [unrolled: 1-line block ×3, first 2 shown]
	v_mov_b32_e32 v58, v131
	v_mov_b32_e32 v56, v19
	v_dual_mov_b32 v37, v99 :: v_dual_mov_b32 v38, v100
	v_mov_b32_e32 v39, v101
	v_dual_mov_b32 v43, v105 :: v_dual_mov_b32 v48, v110
	s_delay_alu instid0(VALU_DEP_4)
	v_dual_mov_b32 v122, v61 :: v_dual_mov_b32 v117, v56
	v_dual_mov_b32 v42, v104 :: v_dual_mov_b32 v45, v107
	;; [unrolled: 1-line block ×9, first 2 shown]
	v_mov_b32_e32 v118, v20
	v_mov_b32_e32 v44, v32
	;; [unrolled: 1-line block ×3, first 2 shown]
	v_dual_mov_b32 v98, v48 :: v_dual_mov_b32 v95, v45
	v_dual_mov_b32 v146, v122 :: v_dual_mov_b32 v145, v121
	s_delay_alu instid0(VALU_DEP_4)
	v_dual_mov_b32 v94, v44 :: v_dual_mov_b32 v87, v37
	v_dual_mov_b32 v97, v47 :: v_dual_mov_b32 v144, v120
	;; [unrolled: 1-line block ×5, first 2 shown]
	v_mov_b32_e32 v93, v43
	v_dual_mov_b32 v91, v41 :: v_dual_mov_b32 v90, v40
	v_dual_mov_b32 v141, v117 :: v_dual_mov_b32 v88, v38
	;; [unrolled: 1-line block ×6, first 2 shown]
	s_clause 0x2
	scratch_store_b128 off, v[62:65], off
	scratch_store_b128 off, v[66:69], off offset:16
	scratch_store_b128 off, v[70:73], off offset:32
	v_dual_mov_b32 v63, v87 :: v_dual_mov_b32 v74, v98
	v_dual_mov_b32 v75, v135 :: v_dual_mov_b32 v72, v96
	;; [unrolled: 1-line block ×14, first 2 shown]
	v_mov_b32_e32 v84, v22
	v_mov_b32_e32 v86, v24
	;; [unrolled: 1-line block ×3, first 2 shown]
.LBB75_35:
	s_or_b32 exec_lo, exec_lo, s2
	v_mov_b32_e32 v14, v7
	s_mov_b32 s2, exec_lo
	v_cmpx_lt_f32_e32 v13, v7
	s_cbranch_execz .LBB75_37
; %bb.36:
	s_clause 0x2
	scratch_load_b128 v[37:40], off, off
	scratch_load_b128 v[41:44], off, off offset:16
	scratch_load_b128 v[45:48], off, off offset:32
	v_mov_b32_e32 v164, v31
	v_dual_mov_b32 v14, v13 :: v_dual_mov_b32 v31, v30
	s_waitcnt vmcnt(0)
	v_dual_mov_b32 v134, v48 :: v_dual_mov_b32 v133, v47
	v_dual_mov_b32 v130, v44 :: v_dual_mov_b32 v127, v41
	;; [unrolled: 1-line block ×5, first 2 shown]
	v_mov_b32_e32 v125, v39
	v_dual_mov_b32 v99, v159 :: v_dual_mov_b32 v100, v160
	v_dual_mov_b32 v128, v19 :: v_dual_mov_b32 v101, v161
	v_mov_b32_e32 v110, v170
	v_dual_mov_b32 v50, v123 :: v_dual_mov_b32 v53, v126
	v_dual_mov_b32 v106, v166 :: v_dual_mov_b32 v107, v167
	;; [unrolled: 1-line block ×19, first 2 shown]
	v_mov_b32_e32 v47, v109
	v_dual_mov_b32 v114, v53 :: v_dual_mov_b32 v111, v50
	v_mov_b32_e32 v118, v20
	v_dual_mov_b32 v120, v59 :: v_dual_mov_b32 v117, v56
	v_dual_mov_b32 v116, v55 :: v_dual_mov_b32 v113, v52
	v_mov_b32_e32 v44, v32
	v_mov_b32_e32 v112, v51
	v_dual_mov_b32 v98, v48 :: v_dual_mov_b32 v95, v45
	v_dual_mov_b32 v146, v122 :: v_dual_mov_b32 v145, v121
	;; [unrolled: 1-line block ×8, first 2 shown]
	v_mov_b32_e32 v89, v39
	v_dual_mov_b32 v93, v43 :: v_dual_mov_b32 v88, v38
	v_dual_mov_b32 v141, v117 :: v_dual_mov_b32 v140, v116
	v_mov_b32_e32 v95, v33
	v_dual_mov_b32 v139, v115 :: v_dual_mov_b32 v138, v114
	v_dual_mov_b32 v143, v21 :: v_dual_mov_b32 v136, v112
	;; [unrolled: 1-line block ×24, first 2 shown]
	v_mov_b32_e32 v158, v170
.LBB75_37:
	s_or_b32 exec_lo, exec_lo, s2
	v_mov_b32_e32 v13, v8
	s_mov_b32 s2, exec_lo
	v_cmpx_lt_f32_e32 v14, v8
	s_cbranch_execz .LBB75_39
; %bb.38:
	v_mov_b32_e32 v129, v20
	v_mov_b32_e32 v153, v32
	v_dual_mov_b32 v111, v123 :: v_dual_mov_b32 v114, v126
	v_dual_mov_b32 v37, v147 :: v_dual_mov_b32 v38, v148
	;; [unrolled: 1-line block ×10, first 2 shown]
	v_mov_b32_e32 v120, v132
	v_dual_mov_b32 v116, v128 :: v_dual_mov_b32 v121, v133
	v_mov_b32_e32 v44, v31
	v_dual_mov_b32 v119, v131 :: v_dual_mov_b32 v98, v48
	v_dual_mov_b32 v118, v19 :: v_dual_mov_b32 v95, v45
	;; [unrolled: 1-line block ×13, first 2 shown]
	v_mov_b32_e32 v95, v33
	v_dual_mov_b32 v7, v8 :: v_dual_mov_b32 v8, v14
	v_mov_b32_e32 v143, v21
	v_dual_mov_b32 v63, v87 :: v_dual_mov_b32 v68, v92
	v_dual_mov_b32 v64, v88 :: v_dual_mov_b32 v75, v135
	v_dual_mov_b32 v80, v140 :: v_dual_mov_b32 v67, v91
	v_dual_mov_b32 v72, v96 :: v_dual_mov_b32 v69, v93
	v_dual_mov_b32 v74, v98 :: v_dual_mov_b32 v73, v97
	v_dual_mov_b32 v78, v138 :: v_dual_mov_b32 v79, v139
	v_dual_mov_b32 v84, v144 :: v_dual_mov_b32 v81, v141
	v_dual_mov_b32 v86, v146 :: v_dual_mov_b32 v85, v145
	v_mov_b32_e32 v74, v36
	v_dual_mov_b32 v50, v123 :: v_dual_mov_b32 v51, v124
	v_dual_mov_b32 v99, v147 :: v_dual_mov_b32 v100, v148
	v_dual_mov_b32 v65, v89 :: v_dual_mov_b32 v70, v94
	v_dual_mov_b32 v66, v90 :: v_dual_mov_b32 v71, v95
	v_dual_mov_b32 v76, v136 :: v_dual_mov_b32 v77, v137
	v_dual_mov_b32 v82, v142 :: v_dual_mov_b32 v83, v143
	v_dual_mov_b32 v72, v34 :: v_dual_mov_b32 v73, v35
	v_dual_mov_b32 v84, v22 :: v_dual_mov_b32 v85, v23
	v_mov_b32_e32 v86, v24
	v_dual_mov_b32 v52, v125 :: v_dual_mov_b32 v53, v126
	v_dual_mov_b32 v54, v127 :: v_dual_mov_b32 v55, v128
	v_dual_mov_b32 v56, v129 :: v_dual_mov_b32 v57, v130
	v_dual_mov_b32 v58, v131 :: v_dual_mov_b32 v59, v132
	v_dual_mov_b32 v60, v133 :: v_dual_mov_b32 v61, v134
	v_dual_mov_b32 v101, v149 :: v_dual_mov_b32 v102, v150
	v_dual_mov_b32 v103, v151 :: v_dual_mov_b32 v104, v152
	v_dual_mov_b32 v105, v153 :: v_dual_mov_b32 v106, v154
	v_dual_mov_b32 v107, v155 :: v_dual_mov_b32 v108, v156
	;; [unrolled: 1-line block ×4, first 2 shown]
	v_mov_b32_e32 v32, v31
.LBB75_39:
	s_or_b32 exec_lo, exec_lo, s2
	v_mov_b32_e32 v14, v9
	s_mov_b32 s2, exec_lo
	v_cmpx_lt_f32_e32 v13, v9
	s_cbranch_execz .LBB75_41
; %bb.40:
	v_mov_b32_e32 v57, v21
	v_mov_b32_e32 v106, v33
	v_dual_mov_b32 v146, v61 :: v_dual_mov_b32 v145, v60
	v_dual_mov_b32 v87, v99 :: v_dual_mov_b32 v90, v102
	v_mov_b32_e32 v88, v100
	v_dual_mov_b32 v136, v51 :: v_dual_mov_b32 v135, v50
	v_dual_mov_b32 v91, v103 :: v_dual_mov_b32 v94, v106
	;; [unrolled: 1-line block ×7, first 2 shown]
	v_mov_b32_e32 v139, v54
	v_dual_mov_b32 v89, v101 :: v_dual_mov_b32 v92, v104
	v_dual_mov_b32 v138, v53 :: v_dual_mov_b32 v137, v52
	;; [unrolled: 1-line block ×3, first 2 shown]
	v_mov_b32_e32 v143, v20
	s_delay_alu instid0(VALU_DEP_4)
	v_dual_mov_b32 v63, v87 :: v_dual_mov_b32 v68, v92
	v_dual_mov_b32 v66, v90 :: v_dual_mov_b32 v75, v135
	;; [unrolled: 1-line block ×8, first 2 shown]
	v_mov_b32_e32 v74, v36
	v_dual_mov_b32 v122, v61 :: v_dual_mov_b32 v121, v60
	v_dual_mov_b32 v37, v99 :: v_dual_mov_b32 v38, v100
	;; [unrolled: 1-line block ×20, first 2 shown]
	v_mov_b32_e32 v33, v32
.LBB75_41:
	s_or_b32 exec_lo, exec_lo, s2
	v_mov_b32_e32 v15, v10
	s_mov_b32 s2, exec_lo
	v_cmpx_lt_f32_e32 v14, v10
	s_cbranch_execz .LBB75_43
; %bb.42:
	v_mov_b32_e32 v45, v34
	v_dual_mov_b32 v9, v10 :: v_dual_mov_b32 v74, v48
	v_mov_b32_e32 v72, v46
	v_mov_b32_e32 v72, v33
	s_delay_alu instid0(VALU_DEP_4) | instskip(SKIP_4) | instid1(VALU_DEP_4)
	v_mov_b32_e32 v71, v45
	v_dual_mov_b32 v119, v22 :: v_dual_mov_b32 v70, v44
	v_dual_mov_b32 v75, v111 :: v_dual_mov_b32 v78, v114
	;; [unrolled: 1-line block ×27, first 2 shown]
	v_mov_b32_e32 v34, v33
.LBB75_43:
	s_or_b32 exec_lo, exec_lo, s2
	v_mov_b32_e32 v13, v11
	s_mov_b32 s2, exec_lo
	v_cmpx_lt_f32_e32 v15, v11
	s_cbranch_execz .LBB75_45
; %bb.44:
	v_dual_mov_b32 v144, v23 :: v_dual_mov_b32 v145, v22
	v_dual_mov_b32 v96, v35 :: v_dual_mov_b32 v97, v34
	v_mov_b32_e32 v146, v24
	v_mov_b32_e32 v10, v11
	v_dual_mov_b32 v11, v15 :: v_dual_mov_b32 v98, v36
	v_dual_mov_b32 v75, v135 :: v_dual_mov_b32 v84, v144
	;; [unrolled: 1-line block ×3, first 2 shown]
	v_mov_b32_e32 v79, v139
	v_dual_mov_b32 v77, v137 :: v_dual_mov_b32 v78, v138
	v_dual_mov_b32 v81, v141 :: v_dual_mov_b32 v80, v140
	;; [unrolled: 1-line block ×10, first 2 shown]
.LBB75_45:
	s_or_b32 exec_lo, exec_lo, s2
	s_delay_alu instid0(VALU_DEP_1)
	v_cmp_lt_f32_e32 vcc_lo, v13, v12
	v_cmp_lt_f32_e64 s2, v1, v2
	v_dual_mov_b32 v40, v76 :: v_dual_mov_b32 v41, v77
	v_dual_mov_b32 v43, v79 :: v_dual_mov_b32 v44, v80
	v_dual_cndmask_b32 v23, v12, v13 :: v_dual_mov_b32 v42, v78
	v_dual_cndmask_b32 v11, v11, v12 :: v_dual_cndmask_b32 v62, v74, v73
	s_delay_alu instid0(VALU_DEP_2) | instskip(SKIP_3) | instid1(VALU_DEP_4)
	v_dual_cndmask_b32 v49, v85, v86 :: v_dual_mov_b32 v12, v23
	v_dual_cndmask_b32 v61, v73, v74 :: v_dual_cndmask_b32 v50, v86, v85
	v_mov_b32_e32 v39, v75
	v_dual_mov_b32 v45, v81 :: v_dual_mov_b32 v48, v84
	v_dual_mov_b32 v38, v12 :: v_dual_mov_b32 v37, v11
	;; [unrolled: 1-line block ×13, first 2 shown]
	s_and_saveexec_b32 s3, s2
	s_delay_alu instid0(SALU_CYCLE_1)
	s_xor_b32 s2, exec_lo, s3
	s_cbranch_execz .LBB75_47
; %bb.46:
	v_dual_mov_b32 v12, v2 :: v_dual_mov_b32 v13, v1
	v_dual_mov_b32 v14, v3 :: v_dual_mov_b32 v15, v4
	;; [unrolled: 1-line block ×6, first 2 shown]
	s_delay_alu instid0(VALU_DEP_2) | instskip(NEXT) | instid1(VALU_DEP_2)
	v_dual_mov_b32 v38, v23 :: v_dual_mov_b32 v35, v20
	v_dual_mov_b32 v36, v21 :: v_dual_mov_b32 v37, v22
	;; [unrolled: 1-line block ×15, first 2 shown]
	v_mov_b32_e32 v58, v70
	v_mov_b32_e32 v60, v72
.LBB75_47:
	s_or_b32 exec_lo, exec_lo, s2
	v_dual_mov_b32 v1, v29 :: v_dual_mov_b32 v122, v50
	v_dual_mov_b32 v15, v39 :: v_dual_mov_b32 v16, v40
	;; [unrolled: 1-line block ×30, first 2 shown]
	v_mov_b32_e32 v135, v39
	s_clause 0x2
	scratch_store_b128 off, v[39:42], off offset:48
	scratch_store_b128 off, v[43:46], off offset:64
	;; [unrolled: 1-line block ×3, first 2 shown]
	v_dual_mov_b32 v3, v51 :: v_dual_mov_b32 v6, v54
	v_dual_mov_b32 v13, v61 :: v_dual_mov_b32 v74, v62
	v_dual_mov_b32 v63, v51 :: v_dual_mov_b32 v98, v62
	v_dual_mov_b32 v87, v51 :: v_dual_mov_b32 v134, v62
	v_dual_mov_b32 v123, v51 :: v_dual_mov_b32 v158, v62
	v_dual_mov_b32 v147, v51 :: v_dual_mov_b32 v170, v62
	v_dual_mov_b32 v5, v53 :: v_dual_mov_b32 v8, v56
	v_dual_mov_b32 v7, v55 :: v_dual_mov_b32 v10, v58
	v_dual_mov_b32 v9, v57 :: v_dual_mov_b32 v12, v60
	v_dual_mov_b32 v11, v59 :: v_dual_mov_b32 v14, v62
	v_dual_mov_b32 v71, v59 :: v_dual_mov_b32 v70, v58
	v_dual_mov_b32 v69, v57 :: v_dual_mov_b32 v68, v56
	v_dual_mov_b32 v67, v55 :: v_dual_mov_b32 v66, v54
	v_dual_mov_b32 v65, v53 :: v_dual_mov_b32 v64, v52
	v_dual_mov_b32 v97, v61 :: v_dual_mov_b32 v96, v60
	v_dual_mov_b32 v95, v59 :: v_dual_mov_b32 v94, v58
	v_dual_mov_b32 v93, v57 :: v_dual_mov_b32 v92, v56
	v_dual_mov_b32 v91, v55 :: v_dual_mov_b32 v90, v54
	v_dual_mov_b32 v89, v53 :: v_dual_mov_b32 v88, v52
	v_dual_mov_b32 v133, v61 :: v_dual_mov_b32 v132, v60
	v_dual_mov_b32 v131, v59 :: v_dual_mov_b32 v130, v58
	v_dual_mov_b32 v129, v57 :: v_dual_mov_b32 v128, v56
	v_dual_mov_b32 v127, v55 :: v_dual_mov_b32 v126, v54
	v_dual_mov_b32 v125, v53 :: v_dual_mov_b32 v124, v52
	v_dual_mov_b32 v157, v61 :: v_dual_mov_b32 v156, v60
	v_dual_mov_b32 v155, v59 :: v_dual_mov_b32 v154, v58
	v_dual_mov_b32 v153, v57 :: v_dual_mov_b32 v152, v56
	v_dual_mov_b32 v151, v55 :: v_dual_mov_b32 v150, v54
	v_dual_mov_b32 v149, v53 :: v_dual_mov_b32 v148, v52
	v_dual_mov_b32 v169, v61 :: v_dual_mov_b32 v168, v60
	v_dual_mov_b32 v167, v59 :: v_dual_mov_b32 v166, v58
	v_dual_mov_b32 v165, v57 :: v_dual_mov_b32 v164, v56
	v_dual_mov_b32 v163, v55 :: v_dual_mov_b32 v162, v54
	v_dual_mov_b32 v161, v53 :: v_dual_mov_b32 v160, v52
	v_mov_b32_e32 v159, v51
	s_mov_b32 s2, exec_lo
	v_dual_mov_b32 v73, v61 :: v_dual_mov_b32 v72, v60
	v_mov_b32_e32 v4, v52
	s_clause 0x2
	scratch_store_b128 off, v[51:54], off
	scratch_store_b128 off, v[55:58], off offset:16
	scratch_store_b128 off, v[59:62], off offset:32
	v_dual_mov_b32 v182, v50 :: v_dual_mov_b32 v181, v49
	v_dual_mov_b32 v180, v48 :: v_dual_mov_b32 v179, v47
	;; [unrolled: 1-line block ×6, first 2 shown]
	v_cmpx_lt_f32_e32 v2, v29
	s_cbranch_execz .LBB75_49
; %bb.48:
	v_dual_mov_b32 v170, v62 :: v_dual_mov_b32 v169, v61
	v_dual_mov_b32 v162, v54 :: v_dual_mov_b32 v161, v53
	;; [unrolled: 1-line block ×7, first 2 shown]
	s_clause 0x2
	scratch_store_b128 off, v[159:162], off
	scratch_store_b128 off, v[163:166], off offset:16
	scratch_store_b128 off, v[167:170], off offset:32
	v_dual_mov_b32 v182, v50 :: v_dual_mov_b32 v181, v49
	v_dual_mov_b32 v172, v40 :: v_dual_mov_b32 v171, v39
	;; [unrolled: 1-line block ×8, first 2 shown]
	s_delay_alu instid0(VALU_DEP_3)
	v_dual_mov_b32 v140, v176 :: v_dual_mov_b32 v141, v177
	v_dual_mov_b32 v138, v174 :: v_dual_mov_b32 v139, v175
	;; [unrolled: 1-line block ×3, first 2 shown]
	v_mov_b32_e32 v146, v182
	v_dual_mov_b32 v136, v172 :: v_dual_mov_b32 v137, v173
	v_mov_b32_e32 v138, v42
	v_dual_mov_b32 v142, v178 :: v_dual_mov_b32 v143, v179
	v_mov_b32_e32 v53, v52
	v_mov_b32_e32 v139, v43
	;; [unrolled: 1-line block ×3, first 2 shown]
	v_dual_mov_b32 v147, v159 :: v_dual_mov_b32 v148, v160
	v_mov_b32_e32 v151, v163
	v_dual_mov_b32 v149, v161 :: v_dual_mov_b32 v150, v162
	v_dual_mov_b32 v153, v165 :: v_dual_mov_b32 v152, v164
	;; [unrolled: 1-line block ×16, first 2 shown]
	v_mov_b32_e32 v122, v146
	v_dual_mov_b32 v114, v138 :: v_dual_mov_b32 v117, v141
	v_dual_mov_b32 v116, v140 :: v_dual_mov_b32 v119, v143
	;; [unrolled: 1-line block ×14, first 2 shown]
	v_mov_b32_e32 v82, v118
	v_dual_mov_b32 v76, v112 :: v_dual_mov_b32 v81, v117
	v_dual_mov_b32 v80, v116 :: v_dual_mov_b32 v85, v121
	;; [unrolled: 1-line block ×6, first 2 shown]
	v_mov_b32_e32 v81, v45
	v_dual_mov_b32 v65, v89 :: v_dual_mov_b32 v72, v96
	v_mov_b32_e32 v29, v2
	s_delay_alu instid0(VALU_DEP_3)
	v_dual_mov_b32 v110, v86 :: v_dual_mov_b32 v105, v81
	v_dual_mov_b32 v70, v94 :: v_dual_mov_b32 v73, v97
	v_dual_mov_b32 v106, v82 :: v_dual_mov_b32 v103, v79
	v_dual_mov_b32 v102, v78 :: v_dual_mov_b32 v99, v75
	v_dual_mov_b32 v64, v88 :: v_dual_mov_b32 v67, v91
	v_dual_mov_b32 v66, v90 :: v_dual_mov_b32 v69, v93
	v_dual_mov_b32 v68, v92 :: v_dual_mov_b32 v71, v95
	v_dual_mov_b32 v74, v98 :: v_dual_mov_b32 v109, v85
	v_dual_mov_b32 v70, v58 :: v_dual_mov_b32 v107, v83
	v_dual_mov_b32 v1, v2 :: v_dual_mov_b32 v108, v84
	v_dual_mov_b32 v104, v80 :: v_dual_mov_b32 v101, v77
	v_mov_b32_e32 v106, v46
	s_clause 0x2
	scratch_store_b128 off, v[3:6], off offset:48
	scratch_store_b128 off, v[7:10], off offset:64
	;; [unrolled: 1-line block ×3, first 2 shown]
	v_dual_mov_b32 v100, v76 :: v_dual_mov_b32 v3, v63
	v_dual_mov_b32 v12, v72 :: v_dual_mov_b32 v5, v65
	;; [unrolled: 1-line block ×16, first 2 shown]
	v_mov_b32_e32 v26, v50
.LBB75_49:
	s_or_b32 exec_lo, exec_lo, s2
	v_mov_b32_e32 v2, v30
	s_mov_b32 s2, exec_lo
	v_cmpx_lt_f32_e32 v1, v30
	s_cbranch_execz .LBB75_51
; %bb.50:
	s_clause 0x2
	scratch_load_b128 v[2:5], off, off
	scratch_load_b128 v[6:9], off, off offset:16
	scratch_load_b128 v[10:13], off, off offset:32
	v_dual_mov_b32 v29, v30 :: v_dual_mov_b32 v30, v1
	v_dual_mov_b32 v161, v54 :: v_dual_mov_b32 v54, v53
	s_waitcnt vmcnt(0)
	v_dual_mov_b32 v170, v13 :: v_dual_mov_b32 v169, v12
	v_mov_b32_e32 v160, v3
	v_dual_mov_b32 v162, v5 :: v_dual_mov_b32 v159, v2
	v_dual_mov_b32 v173, v42 :: v_dual_mov_b32 v168, v11
	;; [unrolled: 1-line block ×3, first 2 shown]
	s_delay_alu instid0(VALU_DEP_3)
	v_dual_mov_b32 v165, v8 :: v_dual_mov_b32 v2, v159
	v_dual_mov_b32 v3, v160 :: v_dual_mov_b32 v4, v161
	;; [unrolled: 1-line block ×3, first 2 shown]
	s_clause 0x2
	scratch_store_b128 off, v[2:5], off
	scratch_store_b128 off, v[6:9], off offset:16
	scratch_store_b128 off, v[10:13], off offset:32
	v_dual_mov_b32 v162, v53 :: v_dual_mov_b32 v135, v171
	v_dual_mov_b32 v140, v176 :: v_dual_mov_b32 v141, v177
	;; [unrolled: 1-line block ×14, first 2 shown]
	v_mov_b32_e32 v137, v173
	v_dual_mov_b32 v123, v147 :: v_dual_mov_b32 v126, v150
	v_dual_mov_b32 v124, v148 :: v_dual_mov_b32 v111, v135
	s_delay_alu instid0(VALU_DEP_4)
	v_dual_mov_b32 v112, v136 :: v_dual_mov_b32 v125, v149
	v_dual_mov_b32 v128, v152 :: v_dual_mov_b32 v115, v139
	v_dual_mov_b32 v116, v140 :: v_dual_mov_b32 v121, v145
	v_dual_mov_b32 v122, v146 :: v_dual_mov_b32 v127, v151
	v_dual_mov_b32 v130, v154 :: v_dual_mov_b32 v129, v153
	v_dual_mov_b32 v132, v156 :: v_dual_mov_b32 v131, v155
	v_dual_mov_b32 v134, v158 :: v_dual_mov_b32 v133, v157
	v_mov_b32_e32 v128, v56
	v_dual_mov_b32 v116, v44 :: v_dual_mov_b32 v87, v123
	v_dual_mov_b32 v113, v137 :: v_dual_mov_b32 v114, v138
	v_dual_mov_b32 v117, v141 :: v_dual_mov_b32 v118, v142
	v_dual_mov_b32 v119, v143 :: v_dual_mov_b32 v120, v144
	v_dual_mov_b32 v75, v111 :: v_dual_mov_b32 v76, v112
	v_dual_mov_b32 v2, v135 :: v_dual_mov_b32 v3, v136
	v_dual_mov_b32 v88, v124 :: v_dual_mov_b32 v89, v125
	v_dual_mov_b32 v85, v121 :: v_dual_mov_b32 v86, v122
	v_dual_mov_b32 v8, v141 :: v_dual_mov_b32 v9, v142
	v_dual_mov_b32 v10, v143 :: v_dual_mov_b32 v11, v144
	v_dual_mov_b32 v12, v145 :: v_dual_mov_b32 v13, v146
	v_dual_mov_b32 v4, v137 :: v_dual_mov_b32 v5, v138
	v_dual_mov_b32 v90, v126 :: v_dual_mov_b32 v91, v127
	v_dual_mov_b32 v92, v128 :: v_dual_mov_b32 v93, v129
	v_dual_mov_b32 v94, v130 :: v_dual_mov_b32 v95, v131
	v_dual_mov_b32 v98, v134 :: v_dual_mov_b32 v93, v57
	v_dual_mov_b32 v79, v115 :: v_dual_mov_b32 v80, v116
	v_dual_mov_b32 v96, v132 :: v_dual_mov_b32 v97, v133
	v_dual_mov_b32 v77, v113 :: v_dual_mov_b32 v78, v114
	v_dual_mov_b32 v81, v117 :: v_dual_mov_b32 v82, v118
	v_dual_mov_b32 v83, v119 :: v_dual_mov_b32 v84, v120
	v_mov_b32_e32 v81, v45
	v_dual_mov_b32 v63, v87 :: v_dual_mov_b32 v66, v90
	v_mov_b32_e32 v64, v88
	v_dual_mov_b32 v110, v86 :: v_dual_mov_b32 v109, v85
	v_dual_mov_b32 v65, v89 :: v_dual_mov_b32 v68, v92
	;; [unrolled: 1-line block ×9, first 2 shown]
	v_mov_b32_e32 v102, v78
	v_dual_mov_b32 v42, v41 :: v_dual_mov_b32 v103, v79
	v_mov_b32_e32 v100, v76
	v_mov_b32_e32 v106, v46
	s_clause 0x2
	scratch_store_b128 off, v[2:5], off offset:48
	scratch_store_b128 off, v[6:9], off offset:64
	;; [unrolled: 1-line block ×3, first 2 shown]
	v_dual_mov_b32 v2, v1 :: v_dual_mov_b32 v107, v83
	v_mov_b32_e32 v3, v63
	v_mov_b32_e32 v5, v65
	v_dual_mov_b32 v7, v67 :: v_dual_mov_b32 v14, v74
	v_dual_mov_b32 v15, v99 :: v_dual_mov_b32 v6, v66
	;; [unrolled: 1-line block ×14, first 2 shown]
	v_mov_b32_e32 v24, v48
	v_mov_b32_e32 v26, v50
.LBB75_51:
	s_or_b32 exec_lo, exec_lo, s2
	v_mov_b32_e32 v1, v31
	s_mov_b32 s2, exec_lo
	v_cmpx_lt_f32_e32 v2, v31
	s_cbranch_execz .LBB75_53
; %bb.52:
	s_clause 0x2
	scratch_load_b128 v[3:6], off, off
	scratch_load_b128 v[7:10], off, off offset:16
	scratch_load_b128 v[11:14], off, off offset:32
	v_dual_mov_b32 v30, v31 :: v_dual_mov_b32 v31, v2
	v_mov_b32_e32 v1, v2
	s_waitcnt vmcnt(0)
	v_dual_mov_b32 v170, v14 :: v_dual_mov_b32 v169, v13
	v_dual_mov_b32 v161, v5 :: v_dual_mov_b32 v160, v4
	;; [unrolled: 1-line block ×5, first 2 shown]
	v_mov_b32_e32 v174, v43
	v_mov_b32_e32 v159, v3
	;; [unrolled: 1-line block ×3, first 2 shown]
	v_dual_mov_b32 v135, v171 :: v_dual_mov_b32 v136, v172
	v_mov_b32_e32 v137, v173
	s_delay_alu instid0(VALU_DEP_4) | instskip(NEXT) | instid1(VALU_DEP_4)
	v_dual_mov_b32 v147, v159 :: v_dual_mov_b32 v148, v160
	v_dual_mov_b32 v149, v161 :: v_dual_mov_b32 v150, v162
	v_dual_mov_b32 v151, v163 :: v_dual_mov_b32 v156, v168
	v_dual_mov_b32 v157, v169 :: v_dual_mov_b32 v158, v170
	v_dual_mov_b32 v139, v175 :: v_dual_mov_b32 v152, v164
	v_dual_mov_b32 v153, v165 :: v_dual_mov_b32 v154, v166
	v_dual_mov_b32 v155, v167 :: v_dual_mov_b32 v138, v174
	v_dual_mov_b32 v140, v176 :: v_dual_mov_b32 v141, v177
	v_dual_mov_b32 v142, v178 :: v_dual_mov_b32 v143, v179
	v_dual_mov_b32 v144, v180 :: v_dual_mov_b32 v145, v181
	v_mov_b32_e32 v139, v42
	v_mov_b32_e32 v151, v54
	v_dual_mov_b32 v146, v182 :: v_dual_mov_b32 v123, v147
	v_dual_mov_b32 v111, v135 :: v_dual_mov_b32 v112, v136
	;; [unrolled: 1-line block ×3, first 2 shown]
	s_delay_alu instid0(VALU_DEP_4)
	v_dual_mov_b32 v124, v148 :: v_dual_mov_b32 v127, v151
	v_dual_mov_b32 v128, v152 :: v_dual_mov_b32 v131, v155
	;; [unrolled: 1-line block ×9, first 2 shown]
	v_mov_b32_e32 v120, v144
	v_dual_mov_b32 v116, v44 :: v_dual_mov_b32 v87, v123
	v_mov_b32_e32 v114, v138
	v_dual_mov_b32 v98, v134 :: v_dual_mov_b32 v75, v111
	v_dual_mov_b32 v88, v124 :: v_dual_mov_b32 v89, v125
	;; [unrolled: 1-line block ×3, first 2 shown]
	v_mov_b32_e32 v86, v122
	v_dual_mov_b32 v90, v126 :: v_dual_mov_b32 v91, v127
	v_dual_mov_b32 v92, v128 :: v_dual_mov_b32 v93, v129
	;; [unrolled: 1-line block ×8, first 2 shown]
	v_mov_b32_e32 v79, v115
	v_mov_b32_e32 v81, v45
	v_dual_mov_b32 v63, v87 :: v_dual_mov_b32 v66, v90
	v_dual_mov_b32 v64, v88 :: v_dual_mov_b32 v73, v97
	;; [unrolled: 1-line block ×9, first 2 shown]
	v_mov_b32_e32 v108, v84
	v_dual_mov_b32 v106, v46 :: v_dual_mov_b32 v3, v63
	v_dual_mov_b32 v105, v81 :: v_dual_mov_b32 v104, v80
	;; [unrolled: 1-line block ×19, first 2 shown]
	v_mov_b32_e32 v26, v50
	v_mov_b32_e32 v43, v42
	;; [unrolled: 1-line block ×3, first 2 shown]
	s_clause 0x2
	scratch_store_b128 off, v[171:174], off offset:48
	scratch_store_b128 off, v[175:178], off offset:64
	;; [unrolled: 1-line block ×3, first 2 shown]
.LBB75_53:
	s_or_b32 exec_lo, exec_lo, s2
	v_mov_b32_e32 v2, v32
	s_mov_b32 s2, exec_lo
	v_cmpx_lt_f32_e32 v1, v32
	s_cbranch_execz .LBB75_55
; %bb.54:
	s_clause 0x2
	scratch_load_b128 v[2:5], off, off offset:48
	scratch_load_b128 v[6:9], off, off offset:64
	scratch_load_b128 v[10:13], off, off offset:80
	v_dual_mov_b32 v163, v56 :: v_dual_mov_b32 v56, v55
	s_waitcnt vmcnt(0)
	v_dual_mov_b32 v31, v32 :: v_dual_mov_b32 v146, v13
	v_dual_mov_b32 v138, v5 :: v_dual_mov_b32 v137, v4
	;; [unrolled: 1-line block ×6, first 2 shown]
	v_mov_b32_e32 v139, v44
	v_dual_mov_b32 v123, v159 :: v_dual_mov_b32 v124, v160
	v_dual_mov_b32 v125, v161 :: v_dual_mov_b32 v128, v164
	;; [unrolled: 1-line block ×12, first 2 shown]
	v_mov_b32_e32 v120, v144
	v_mov_b32_e32 v116, v43
	v_dual_mov_b32 v87, v123 :: v_dual_mov_b32 v88, v124
	v_dual_mov_b32 v89, v125 :: v_dual_mov_b32 v98, v134
	;; [unrolled: 1-line block ×12, first 2 shown]
	v_mov_b32_e32 v79, v115
	v_mov_b32_e32 v81, v45
	v_dual_mov_b32 v63, v87 :: v_dual_mov_b32 v66, v90
	v_dual_mov_b32 v64, v88 :: v_dual_mov_b32 v73, v97
	;; [unrolled: 1-line block ×8, first 2 shown]
	v_mov_b32_e32 v70, v58
	v_dual_mov_b32 v106, v46 :: v_dual_mov_b32 v65, v89
	v_dual_mov_b32 v68, v92 :: v_dual_mov_b32 v105, v81
	;; [unrolled: 1-line block ×4, first 2 shown]
	v_mov_b32_e32 v100, v76
	v_dual_mov_b32 v32, v1 :: v_dual_mov_b32 v3, v63
	v_dual_mov_b32 v14, v74 :: v_dual_mov_b32 v15, v99
	v_mov_b32_e32 v26, v110
	v_dual_mov_b32 v10, v70 :: v_dual_mov_b32 v11, v71
	v_dual_mov_b32 v12, v72 :: v_dual_mov_b32 v13, v73
	;; [unrolled: 1-line block ×20, first 2 shown]
	v_mov_b32_e32 v2, v1
	v_mov_b32_e32 v44, v43
.LBB75_55:
	s_or_b32 exec_lo, exec_lo, s2
	v_mov_b32_e32 v1, v33
	s_mov_b32 s2, exec_lo
	v_cmpx_lt_f32_e32 v2, v33
	s_cbranch_execz .LBB75_57
; %bb.56:
	v_mov_b32_e32 v140, v45
	v_dual_mov_b32 v152, v57 :: v_dual_mov_b32 v75, v135
	v_dual_mov_b32 v87, v147 :: v_dual_mov_b32 v90, v150
	;; [unrolled: 1-line block ×3, first 2 shown]
	s_delay_alu instid0(VALU_DEP_3)
	v_dual_mov_b32 v92, v152 :: v_dual_mov_b32 v93, v153
	v_dual_mov_b32 v76, v136 :: v_dual_mov_b32 v79, v139
	;; [unrolled: 1-line block ×6, first 2 shown]
	v_mov_b32_e32 v93, v56
	v_dual_mov_b32 v84, v144 :: v_dual_mov_b32 v63, v87
	v_dual_mov_b32 v78, v138 :: v_dual_mov_b32 v81, v141
	v_dual_mov_b32 v82, v142 :: v_dual_mov_b32 v85, v145
	v_dual_mov_b32 v80, v140 :: v_dual_mov_b32 v83, v143
	v_dual_mov_b32 v81, v44 :: v_dual_mov_b32 v66, v90
	s_delay_alu instid0(VALU_DEP_3) | instskip(SKIP_1) | instid1(VALU_DEP_4)
	v_dual_mov_b32 v110, v86 :: v_dual_mov_b32 v109, v85
	v_dual_mov_b32 v100, v76 :: v_dual_mov_b32 v99, v75
	;; [unrolled: 1-line block ×11, first 2 shown]
	v_mov_b32_e32 v106, v46
	v_dual_mov_b32 v70, v58 :: v_dual_mov_b32 v15, v99
	v_dual_mov_b32 v3, v63 :: v_dual_mov_b32 v24, v108
	v_dual_mov_b32 v24, v48 :: v_dual_mov_b32 v111, v135
	s_delay_alu instid0(VALU_DEP_3)
	v_dual_mov_b32 v10, v70 :: v_dual_mov_b32 v11, v71
	v_dual_mov_b32 v12, v72 :: v_dual_mov_b32 v13, v73
	;; [unrolled: 1-line block ×26, first 2 shown]
	v_mov_b32_e32 v1, v2
	v_dual_mov_b32 v134, v158 :: v_dual_mov_b32 v45, v44
	v_mov_b32_e32 v57, v56
.LBB75_57:
	s_or_b32 exec_lo, exec_lo, s2
	v_mov_b32_e32 v2, v34
	s_mov_b32 s2, exec_lo
	v_cmpx_lt_f32_e32 v1, v34
	s_cbranch_execz .LBB75_59
; %bb.58:
	v_mov_b32_e32 v129, v58
	v_dual_mov_b32 v63, v123 :: v_dual_mov_b32 v70, v130
	v_dual_mov_b32 v70, v57 :: v_dual_mov_b32 v71, v131
	;; [unrolled: 1-line block ×22, first 2 shown]
	v_mov_b32_e32 v34, v1
	v_dual_mov_b32 v5, v65 :: v_dual_mov_b32 v6, v66
	v_dual_mov_b32 v7, v67 :: v_dual_mov_b32 v8, v68
	;; [unrolled: 1-line block ×20, first 2 shown]
	v_mov_b32_e32 v2, v1
	v_mov_b32_e32 v46, v45
	;; [unrolled: 1-line block ×3, first 2 shown]
.LBB75_59:
	s_or_b32 exec_lo, exec_lo, s2
	v_mov_b32_e32 v1, v35
	s_mov_b32 s2, exec_lo
	v_cmpx_lt_f32_e32 v2, v35
	s_cbranch_execz .LBB75_61
; %bb.60:
	v_mov_b32_e32 v94, v59
	v_dual_mov_b32 v34, v35 :: v_dual_mov_b32 v35, v2
	v_mov_b32_e32 v82, v47
	v_dual_mov_b32 v3, v87 :: v_dual_mov_b32 v4, v88
	v_dual_mov_b32 v12, v96 :: v_dual_mov_b32 v9, v93
	;; [unrolled: 1-line block ×13, first 2 shown]
	v_mov_b32_e32 v7, v91
	v_mov_b32_e32 v11, v58
	v_dual_mov_b32 v14, v62 :: v_dual_mov_b32 v17, v77
	v_dual_mov_b32 v16, v76 :: v_dual_mov_b32 v19, v79
	;; [unrolled: 1-line block ×14, first 2 shown]
	v_mov_b32_e32 v47, v46
	v_mov_b32_e32 v59, v58
	;; [unrolled: 1-line block ×3, first 2 shown]
.LBB75_61:
	s_or_b32 exec_lo, exec_lo, s2
	v_mov_b32_e32 v39, v36
	s_mov_b32 s2, exec_lo
	v_cmpx_lt_f32_e32 v1, v36
	s_cbranch_execz .LBB75_63
; %bb.62:
	v_dual_mov_b32 v71, v60 :: v_dual_mov_b32 v72, v59
	v_dual_mov_b32 v73, v61 :: v_dual_mov_b32 v108, v47
	;; [unrolled: 1-line block ×17, first 2 shown]
	v_mov_b32_e32 v39, v1
.LBB75_63:
	s_or_b32 exec_lo, exec_lo, s2
	s_delay_alu instid0(VALU_DEP_1)
	v_cmp_lt_f32_e32 vcc_lo, v39, v37
	v_dual_mov_b32 v40, v28 :: v_dual_mov_b32 v43, v31
	v_dual_mov_b32 v42, v30 :: v_dual_mov_b32 v45, v33
	v_dual_cndmask_b32 v1, v25, v24 :: v_dual_cndmask_b32 v24, v24, v25
	v_cndmask_b32_e32 v2, v13, v12, vcc_lo
	v_dual_cndmask_b32 v12, v12, v13 :: v_dual_cndmask_b32 v49, v37, v39
	v_dual_cndmask_b32 v48, v36, v37 :: v_dual_mov_b32 v41, v29
	v_dual_mov_b32 v39, v27 :: v_dual_mov_b32 v44, v32
	v_dual_mov_b32 v47, v35 :: v_dual_mov_b32 v46, v34
	v_mov_b32_e32 v50, v38
	s_mov_b32 s2, exec_lo
	v_cmpx_lt_f32_e32 v27, v28
	s_cbranch_execz .LBB75_65
; %bb.64:
	v_dual_mov_b32 v28, v40 :: v_dual_mov_b32 v29, v39
	v_dual_mov_b32 v38, v49 :: v_dual_mov_b32 v39, v50
	;; [unrolled: 1-line block ×6, first 2 shown]
	v_mov_b32_e32 v50, v39
	v_mov_b32_e32 v13, v15
	v_dual_mov_b32 v25, v3 :: v_dual_mov_b32 v44, v33
	v_swap_b32 v15, v16
	v_swap_b32 v3, v4
	v_dual_mov_b32 v49, v38 :: v_dual_mov_b32 v46, v35
	v_dual_mov_b32 v48, v37 :: v_dual_mov_b32 v47, v36
	;; [unrolled: 1-line block ×4, first 2 shown]
	v_mov_b32_e32 v41, v30
	v_dual_mov_b32 v39, v28 :: v_dual_mov_b32 v28, v27
.LBB75_65:
	s_or_b32 exec_lo, exec_lo, s2
	v_mov_b32_e32 v13, v2
	v_dual_mov_b32 v25, v1 :: v_dual_mov_b32 v62, v14
	v_dual_mov_b32 v74, v26 :: v_dual_mov_b32 v63, v15
	v_mov_b32_e32 v86, v26
	v_dual_mov_b32 v72, v24 :: v_dual_mov_b32 v75, v15
	v_dual_mov_b32 v110, v26 :: v_dual_mov_b32 v53, v5
	;; [unrolled: 1-line block ×61, first 2 shown]
	v_mov_b32_e32 v149, v5
	v_mov_b32_e32 v147, v3
	;; [unrolled: 1-line block ×3, first 2 shown]
	s_mov_b32 s2, exec_lo
	v_dual_mov_b32 v85, v25 :: v_dual_mov_b32 v84, v24
	v_dual_mov_b32 v83, v23 :: v_dual_mov_b32 v82, v22
	s_clause 0x2
	scratch_store_b128 off, v[3:6], off
	scratch_store_b128 off, v[7:10], off offset:16
	scratch_store_b128 off, v[11:14], off offset:32
	v_cmpx_lt_f32_e32 v28, v41
	s_cbranch_execz .LBB75_67
; %bb.66:
	v_dual_mov_b32 v158, v14 :: v_dual_mov_b32 v157, v13
	v_dual_mov_b32 v150, v6 :: v_dual_mov_b32 v149, v5
	;; [unrolled: 1-line block ×7, first 2 shown]
	s_clause 0x2
	scratch_store_b128 off, v[147:150], off
	scratch_store_b128 off, v[151:154], off offset:16
	scratch_store_b128 off, v[155:158], off offset:32
	v_dual_mov_b32 v182, v26 :: v_dual_mov_b32 v181, v25
	v_dual_mov_b32 v172, v16 :: v_dual_mov_b32 v171, v15
	;; [unrolled: 1-line block ×8, first 2 shown]
	s_delay_alu instid0(VALU_DEP_4) | instskip(SKIP_1) | instid1(VALU_DEP_4)
	v_dual_mov_b32 v160, v172 :: v_dual_mov_b32 v161, v173
	v_dual_mov_b32 v162, v174 :: v_dual_mov_b32 v163, v175
	;; [unrolled: 1-line block ×4, first 2 shown]
	v_mov_b32_e32 v170, v182
	v_dual_mov_b32 v166, v178 :: v_dual_mov_b32 v167, v179
	v_mov_b32_e32 v162, v18
	v_dual_mov_b32 v40, v41 :: v_dual_mov_b32 v41, v28
	v_mov_b32_e32 v5, v4
	v_mov_b32_e32 v17, v16
	;; [unrolled: 1-line block ×3, first 2 shown]
	v_dual_mov_b32 v137, v149 :: v_dual_mov_b32 v144, v156
	v_dual_mov_b32 v123, v159 :: v_dual_mov_b32 v136, v148
	;; [unrolled: 1-line block ×12, first 2 shown]
	v_mov_b32_e32 v133, v169
	v_dual_mov_b32 v111, v135 :: v_dual_mov_b32 v112, v136
	v_dual_mov_b32 v99, v123 :: v_dual_mov_b32 v100, v124
	;; [unrolled: 1-line block ×12, first 2 shown]
	v_mov_b32_e32 v104, v20
	v_dual_mov_b32 v116, v8 :: v_dual_mov_b32 v75, v99
	v_mov_b32_e32 v87, v111
	v_dual_mov_b32 v93, v117 :: v_dual_mov_b32 v78, v102
	s_delay_alu instid0(VALU_DEP_3)
	v_dual_mov_b32 v81, v105 :: v_dual_mov_b32 v92, v116
	v_dual_mov_b32 v90, v114 :: v_dual_mov_b32 v91, v115
	;; [unrolled: 1-line block ×11, first 2 shown]
	v_mov_b32_e32 v51, v87
	v_dual_mov_b32 v63, v75 :: v_dual_mov_b32 v66, v78
	v_dual_mov_b32 v55, v91 :: v_dual_mov_b32 v58, v94
	;; [unrolled: 1-line block ×14, first 2 shown]
	v_mov_b32_e32 v72, v24
	v_dual_mov_b32 v62, v14 :: v_dual_mov_b32 v71, v23
	v_dual_mov_b32 v70, v22 :: v_dual_mov_b32 v73, v1
	v_mov_b32_e32 v74, v26
.LBB75_67:
	s_or_b32 exec_lo, exec_lo, s2
	v_mov_b32_e32 v3, v42
	v_cmp_lt_f32_e32 vcc_lo, v13, v42
	s_mov_b32 s2, exec_lo
	s_clause 0x2
	scratch_load_b128 v[27:30], off, off
	scratch_load_b128 v[31:34], off, off offset:16
	scratch_load_b128 v[35:38], off, off offset:32
	s_and_b32 s3, s2, vcc_lo
	s_delay_alu instid0(SALU_CYCLE_1)
	s_mov_b32 exec_lo, s3
	s_cbranch_execz .LBB75_69
; %bb.68:
	v_mov_b32_e32 v173, v18
	s_waitcnt vmcnt(2)
	v_mov_b32_e32 v29, v6
	v_dual_mov_b32 v159, v171 :: v_dual_mov_b32 v160, v172
	s_waitcnt vmcnt(0)
	v_dual_mov_b32 v158, v38 :: v_dual_mov_b32 v157, v37
	v_dual_mov_b32 v156, v36 :: v_dual_mov_b32 v147, v27
	;; [unrolled: 1-line block ×6, first 2 shown]
	v_mov_b32_e32 v168, v180
	v_dual_mov_b32 v164, v176 :: v_dual_mov_b32 v165, v177
	v_dual_mov_b32 v170, v182 :: v_dual_mov_b32 v155, v35
	;; [unrolled: 1-line block ×4, first 2 shown]
	v_mov_b32_e32 v150, v5
	v_mov_b32_e32 v169, v181
	v_dual_mov_b32 v162, v17 :: v_dual_mov_b32 v135, v147
	v_dual_mov_b32 v136, v148 :: v_dual_mov_b32 v123, v159
	;; [unrolled: 1-line block ×13, first 2 shown]
	v_mov_b32_e32 v139, v7
	v_dual_mov_b32 v99, v123 :: v_dual_mov_b32 v100, v124
	v_dual_mov_b32 v111, v135 :: v_dual_mov_b32 v114, v138
	;; [unrolled: 1-line block ×4, first 2 shown]
	v_mov_b32_e32 v120, v144
	v_dual_mov_b32 v104, v128 :: v_dual_mov_b32 v105, v129
	v_dual_mov_b32 v110, v134 :: v_dual_mov_b32 v115, v139
	;; [unrolled: 1-line block ×21, first 2 shown]
	v_mov_b32_e32 v93, v9
	v_dual_mov_b32 v63, v75 :: v_dual_mov_b32 v64, v76
	v_dual_mov_b32 v51, v87 :: v_dual_mov_b32 v54, v90
	;; [unrolled: 1-line block ×3, first 2 shown]
	s_delay_alu instid0(VALU_DEP_4)
	v_dual_mov_b32 v58, v94 :: v_dual_mov_b32 v57, v93
	v_dual_mov_b32 v60, v96 :: v_dual_mov_b32 v59, v95
	;; [unrolled: 1-line block ×9, first 2 shown]
	v_mov_b32_e32 v42, v13
	v_dual_mov_b32 v53, v89 :: v_dual_mov_b32 v56, v92
	v_dual_mov_b32 v68, v80 :: v_dual_mov_b32 v59, v11
	v_mov_b32_e32 v62, v14
	v_dual_mov_b32 v61, v2 :: v_dual_mov_b32 v72, v24
	v_dual_mov_b32 v70, v22 :: v_dual_mov_b32 v71, v23
	;; [unrolled: 1-line block ×3, first 2 shown]
	v_mov_b32_e32 v3, v13
	v_mov_b32_e32 v18, v17
	;; [unrolled: 1-line block ×3, first 2 shown]
.LBB75_69:
	s_or_b32 exec_lo, exec_lo, s2
	v_mov_b32_e32 v4, v43
	s_mov_b32 s2, exec_lo
	v_cmpx_lt_f32_e32 v3, v43
	s_cbranch_execz .LBB75_71
; %bb.70:
	v_mov_b32_e32 v174, v19
	s_waitcnt vmcnt(2)
	v_mov_b32_e32 v30, v7
	v_mov_b32_e32 v123, v171
	s_waitcnt vmcnt(0)
	v_dual_mov_b32 v125, v173 :: v_dual_mov_b32 v146, v38
	s_delay_alu instid0(VALU_DEP_3)
	v_dual_mov_b32 v143, v35 :: v_dual_mov_b32 v138, v30
	v_mov_b32_e32 v135, v27
	v_dual_mov_b32 v145, v37 :: v_dual_mov_b32 v142, v34
	v_dual_mov_b32 v139, v31 :: v_dual_mov_b32 v136, v28
	;; [unrolled: 1-line block ×6, first 2 shown]
	v_mov_b32_e32 v139, v6
	v_dual_mov_b32 v127, v18 :: v_dual_mov_b32 v124, v172
	v_dual_mov_b32 v126, v174 :: v_dual_mov_b32 v129, v177
	;; [unrolled: 1-line block ×15, first 2 shown]
	v_mov_b32_e32 v110, v134
	v_mov_b32_e32 v104, v20
	v_dual_mov_b32 v116, v8 :: v_dual_mov_b32 v75, v99
	v_mov_b32_e32 v87, v111
	v_dual_mov_b32 v93, v117 :: v_dual_mov_b32 v78, v102
	s_delay_alu instid0(VALU_DEP_3)
	v_dual_mov_b32 v81, v105 :: v_dual_mov_b32 v92, v116
	v_dual_mov_b32 v80, v104 :: v_dual_mov_b32 v83, v107
	;; [unrolled: 1-line block ×11, first 2 shown]
	v_mov_b32_e32 v63, v75
	s_delay_alu instid0(VALU_DEP_3)
	v_dual_mov_b32 v51, v87 :: v_dual_mov_b32 v54, v90
	v_dual_mov_b32 v71, v83 :: v_dual_mov_b32 v72, v84
	;; [unrolled: 1-line block ×14, first 2 shown]
	v_mov_b32_e32 v68, v80
	v_dual_mov_b32 v58, v10 :: v_dual_mov_b32 v59, v11
	v_dual_mov_b32 v60, v12 :: v_dual_mov_b32 v61, v2
	;; [unrolled: 1-line block ×14, first 2 shown]
	v_mov_b32_e32 v150, v30
	v_dual_mov_b32 v148, v28 :: v_dual_mov_b32 v19, v18
	v_dual_mov_b32 v4, v3 :: v_dual_mov_b32 v7, v6
.LBB75_71:
	s_or_b32 exec_lo, exec_lo, s2
	v_mov_b32_e32 v3, v44
	s_mov_b32 s2, exec_lo
	s_delay_alu instid0(VALU_DEP_2)
	v_cmpx_lt_f32_e32 v4, v44
	s_cbranch_execz .LBB75_73
; %bb.72:
	v_mov_b32_e32 v163, v20
	v_mov_b32_e32 v151, v8
	v_dual_mov_b32 v99, v159 :: v_dual_mov_b32 v102, v162
	v_dual_mov_b32 v111, v147 :: v_dual_mov_b32 v112, v148
	v_dual_mov_b32 v113, v149 :: v_dual_mov_b32 v116, v152
	v_dual_mov_b32 v114, v150 :: v_dual_mov_b32 v117, v153
	v_dual_mov_b32 v120, v156 :: v_dual_mov_b32 v105, v165
	v_dual_mov_b32 v110, v170 :: v_dual_mov_b32 v115, v151
	v_dual_mov_b32 v118, v154 :: v_dual_mov_b32 v119, v155
	v_dual_mov_b32 v122, v158 :: v_dual_mov_b32 v121, v157
	v_dual_mov_b32 v100, v160 :: v_dual_mov_b32 v101, v161
	v_dual_mov_b32 v106, v166 :: v_dual_mov_b32 v103, v163
	v_mov_b32_e32 v108, v168
	v_dual_mov_b32 v104, v164 :: v_dual_mov_b32 v109, v169
	v_mov_b32_e32 v116, v7
	v_mov_b32_e32 v107, v167
	;; [unrolled: 1-line block ×3, first 2 shown]
	v_dual_mov_b32 v87, v111 :: v_dual_mov_b32 v90, v114
	v_dual_mov_b32 v88, v112 :: v_dual_mov_b32 v89, v113
	;; [unrolled: 1-line block ×12, first 2 shown]
	v_mov_b32_e32 v93, v9
	v_mov_b32_e32 v43, v44
	v_dual_mov_b32 v44, v4 :: v_dual_mov_b32 v81, v21
	v_dual_mov_b32 v51, v87 :: v_dual_mov_b32 v56, v92
	;; [unrolled: 1-line block ×15, first 2 shown]
	v_mov_b32_e32 v136, v148
	v_dual_mov_b32 v54, v90 :: v_dual_mov_b32 v59, v11
	v_mov_b32_e32 v62, v14
	v_dual_mov_b32 v61, v2 :: v_dual_mov_b32 v72, v24
	v_dual_mov_b32 v70, v22 :: v_dual_mov_b32 v71, v23
	;; [unrolled: 1-line block ×14, first 2 shown]
	v_mov_b32_e32 v8, v7
.LBB75_73:
	s_or_b32 exec_lo, exec_lo, s2
	v_mov_b32_e32 v4, v45
	s_mov_b32 s2, exec_lo
	v_cmpx_lt_f32_e32 v3, v45
	s_cbranch_execz .LBB75_75
; %bb.74:
	v_mov_b32_e32 v140, v9
	v_dual_mov_b32 v128, v21 :: v_dual_mov_b32 v87, v135
	v_mov_b32_e32 v93, v141
	v_dual_mov_b32 v93, v8 :: v_dual_mov_b32 v94, v142
	v_dual_mov_b32 v96, v144 :: v_dual_mov_b32 v97, v145
	v_mov_b32_e32 v98, v146
	v_dual_mov_b32 v44, v45 :: v_dual_mov_b32 v75, v123
	v_dual_mov_b32 v84, v132 :: v_dual_mov_b32 v85, v133
	;; [unrolled: 1-line block ×8, first 2 shown]
	v_mov_b32_e32 v81, v20
	v_dual_mov_b32 v51, v87 :: v_dual_mov_b32 v52, v88
	v_dual_mov_b32 v76, v124 :: v_dual_mov_b32 v77, v125
	;; [unrolled: 1-line block ×30, first 2 shown]
	v_mov_b32_e32 v120, v144
	v_dual_mov_b32 v122, v146 :: v_dual_mov_b32 v21, v20
	v_dual_mov_b32 v4, v3 :: v_dual_mov_b32 v9, v8
.LBB75_75:
	s_or_b32 exec_lo, exec_lo, s2
	v_mov_b32_e32 v3, v46
	s_mov_b32 s2, exec_lo
	s_delay_alu instid0(VALU_DEP_2)
	v_cmpx_lt_f32_e32 v4, v46
	s_cbranch_execz .LBB75_77
; %bb.76:
	v_mov_b32_e32 v117, v10
	v_dual_mov_b32 v45, v46 :: v_dual_mov_b32 v46, v4
	v_mov_b32_e32 v105, v22
	v_dual_mov_b32 v51, v111 :: v_dual_mov_b32 v54, v114
	v_dual_mov_b32 v56, v116 :: v_dual_mov_b32 v63, v99
	;; [unrolled: 1-line block ×6, first 2 shown]
	v_mov_b32_e32 v58, v9
	v_dual_mov_b32 v61, v121 :: v_dual_mov_b32 v60, v12
	v_dual_mov_b32 v67, v103 :: v_dual_mov_b32 v70, v106
	;; [unrolled: 1-line block ×8, first 2 shown]
	v_mov_b32_e32 v62, v14
	v_dual_mov_b32 v61, v2 :: v_dual_mov_b32 v64, v100
	v_dual_mov_b32 v65, v101 :: v_dual_mov_b32 v68, v104
	;; [unrolled: 1-line block ×15, first 2 shown]
	v_mov_b32_e32 v98, v122
.LBB75_77:
	s_or_b32 exec_lo, exec_lo, s2
	v_mov_b32_e32 v4, v47
	s_mov_b32 s2, exec_lo
	v_cmpx_lt_f32_e32 v3, v47
	s_cbranch_execz .LBB75_79
; %bb.78:
	v_dual_mov_b32 v84, v24 :: v_dual_mov_b32 v85, v1
	v_dual_mov_b32 v94, v11 :: v_dual_mov_b32 v95, v10
	;; [unrolled: 1-line block ×4, first 2 shown]
	v_mov_b32_e32 v86, v26
	v_mov_b32_e32 v46, v47
	v_dual_mov_b32 v47, v3 :: v_dual_mov_b32 v98, v14
	v_dual_mov_b32 v63, v75 :: v_dual_mov_b32 v72, v84
	;; [unrolled: 1-line block ×3, first 2 shown]
	v_mov_b32_e32 v67, v79
	v_dual_mov_b32 v65, v77 :: v_dual_mov_b32 v66, v78
	v_dual_mov_b32 v69, v81 :: v_dual_mov_b32 v68, v80
	v_dual_mov_b32 v71, v83 :: v_dual_mov_b32 v70, v82
	v_dual_mov_b32 v73, v85 :: v_dual_mov_b32 v74, v86
	v_dual_mov_b32 v53, v89 :: v_dual_mov_b32 v52, v88
	v_dual_mov_b32 v55, v91 :: v_dual_mov_b32 v54, v90
	v_dual_mov_b32 v57, v93 :: v_dual_mov_b32 v56, v92
	v_dual_mov_b32 v59, v95 :: v_dual_mov_b32 v58, v94
	v_dual_mov_b32 v61, v97 :: v_dual_mov_b32 v60, v96
	v_mov_b32_e32 v62, v98
	v_mov_b32_e32 v4, v3
.LBB75_79:
	s_or_b32 exec_lo, exec_lo, s2
	s_delay_alu instid0(VALU_DEP_1)
	v_cmp_lt_f32_e32 vcc_lo, v4, v48
	v_dual_mov_b32 v3, v41 :: v_dual_mov_b32 v8, v46
	v_dual_mov_b32 v5, v43 :: v_dual_mov_b32 v12, v50
	s_waitcnt vmcnt(0)
	v_cndmask_b32_e32 v37, v72, v71, vcc_lo
	v_dual_cndmask_b32 v71, v71, v72 :: v_dual_cndmask_b32 v38, v60, v59
	v_dual_cndmask_b32 v59, v59, v60 :: v_dual_mov_b32 v2, v40
	v_dual_cndmask_b32 v10, v48, v4 :: v_dual_mov_b32 v1, v39
	;; [unrolled: 1-line block ×3, first 2 shown]
	v_dual_mov_b32 v4, v42 :: v_dual_mov_b32 v7, v45
	v_mov_b32_e32 v11, v49
	s_mov_b32 s2, exec_lo
	v_cmpx_lt_f32_e32 v39, v40
	s_cbranch_execz .LBB75_81
; %bb.80:
	v_dual_mov_b32 v13, v2 :: v_dual_mov_b32 v14, v1
	v_dual_mov_b32 v15, v3 :: v_dual_mov_b32 v16, v4
	v_dual_mov_b32 v17, v5 :: v_dual_mov_b32 v18, v6
	v_dual_mov_b32 v19, v7 :: v_dual_mov_b32 v20, v8
	v_dual_mov_b32 v21, v9 :: v_dual_mov_b32 v22, v10
	v_dual_mov_b32 v23, v11 :: v_dual_mov_b32 v24, v12
	v_mov_b32_e32 v25, v63
	v_dual_mov_b32 v26, v51 :: v_dual_mov_b32 v1, v13
	v_swap_b32 v63, v64
	v_swap_b32 v51, v52
	v_dual_mov_b32 v2, v14 :: v_dual_mov_b32 v3, v15
	v_dual_mov_b32 v4, v16 :: v_dual_mov_b32 v5, v17
	;; [unrolled: 1-line block ×5, first 2 shown]
	v_mov_b32_e32 v12, v24
	v_mov_b32_e32 v40, v39
.LBB75_81:
	s_or_b32 exec_lo, exec_lo, s2
	v_mov_b32_e32 v60, v38
	v_dual_mov_b32 v72, v37 :: v_dual_mov_b32 v13, v51
	v_dual_mov_b32 v25, v63 :: v_dual_mov_b32 v98, v74
	;; [unrolled: 1-line block ×60, first 2 shown]
	s_mov_b32 s2, exec_lo
	v_dual_mov_b32 v96, v72 :: v_dual_mov_b32 v93, v69
	v_cmpx_lt_f32_e32 v40, v3
	s_cbranch_execz .LBB75_83
; %bb.82:
	v_dual_mov_b32 v134, v62 :: v_dual_mov_b32 v133, v61
	v_dual_mov_b32 v124, v52 :: v_dual_mov_b32 v123, v51
	v_mov_b32_e32 v124, v53
	v_dual_mov_b32 v128, v56 :: v_dual_mov_b32 v127, v55
	v_dual_mov_b32 v132, v60 :: v_dual_mov_b32 v131, v59
	;; [unrolled: 1-line block ×11, first 2 shown]
	v_mov_b32_e32 v141, v69
	v_dual_mov_b32 v136, v65 :: v_dual_mov_b32 v137, v64
	v_dual_mov_b32 v160, v124 :: v_dual_mov_b32 v159, v123
	;; [unrolled: 1-line block ×40, first 2 shown]
	v_mov_b32_e32 v22, v84
	v_dual_mov_b32 v22, v38 :: v_dual_mov_b32 v25, v87
	v_dual_mov_b32 v16, v78 :: v_dual_mov_b32 v19, v81
	v_dual_mov_b32 v18, v80 :: v_dual_mov_b32 v21, v83
	v_dual_mov_b32 v20, v82 :: v_dual_mov_b32 v23, v85
	v_dual_mov_b32 v24, v86 :: v_dual_mov_b32 v21, v59
	v_dual_mov_b32 v28, v90 :: v_dual_mov_b32 v31, v93
	v_dual_mov_b32 v30, v92 :: v_dual_mov_b32 v33, v95
	v_dual_mov_b32 v32, v94 :: v_dual_mov_b32 v35, v97
	v_dual_mov_b32 v34, v96 :: v_dual_mov_b32 v31, v69
	v_dual_mov_b32 v36, v98 :: v_dual_mov_b32 v33, v71
	v_dual_mov_b32 v2, v3 :: v_dual_mov_b32 v3, v40
	v_dual_mov_b32 v14, v76 :: v_dual_mov_b32 v17, v79
	v_dual_mov_b32 v19, v57 :: v_dual_mov_b32 v20, v58
	v_dual_mov_b32 v23, v61 :: v_dual_mov_b32 v24, v62
	v_dual_mov_b32 v27, v89 :: v_dual_mov_b32 v26, v88
	v_dual_mov_b32 v29, v91 :: v_dual_mov_b32 v32, v70
	v_mov_b32_e32 v35, v73
	v_dual_mov_b32 v34, v37 :: v_dual_mov_b32 v39, v40
	v_dual_mov_b32 v36, v74 :: v_dual_mov_b32 v65, v64
	v_mov_b32_e32 v53, v52
.LBB75_83:
	s_or_b32 exec_lo, exec_lo, s2
	v_mov_b32_e32 v40, v4
	s_mov_b32 s2, exec_lo
	v_cmpx_lt_f32_e32 v39, v4
	s_cbranch_execz .LBB75_85
; %bb.84:
	v_mov_b32_e32 v137, v66
	v_mov_b32_e32 v125, v54
	;; [unrolled: 1-line block ×4, first 2 shown]
	v_dual_mov_b32 v170, v134 :: v_dual_mov_b32 v169, v133
	v_dual_mov_b32 v168, v132 :: v_dual_mov_b32 v159, v123
	;; [unrolled: 1-line block ×9, first 2 shown]
	v_mov_b32_e32 v157, v145
	v_dual_mov_b32 v155, v143 :: v_dual_mov_b32 v152, v140
	v_mov_b32_e32 v162, v53
	v_mov_b32_e32 v149, v137
	v_dual_mov_b32 v150, v65 :: v_dual_mov_b32 v111, v159
	v_dual_mov_b32 v112, v160 :: v_dual_mov_b32 v99, v147
	;; [unrolled: 1-line block ×13, first 2 shown]
	v_mov_b32_e32 v115, v55
	v_dual_mov_b32 v87, v99 :: v_dual_mov_b32 v88, v100
	v_dual_mov_b32 v75, v111 :: v_dual_mov_b32 v78, v114
	;; [unrolled: 1-line block ×3, first 2 shown]
	s_delay_alu instid0(VALU_DEP_4)
	v_dual_mov_b32 v80, v116 :: v_dual_mov_b32 v79, v115
	v_dual_mov_b32 v82, v118 :: v_dual_mov_b32 v81, v117
	;; [unrolled: 1-line block ×6, first 2 shown]
	v_mov_b32_e32 v96, v108
	v_dual_mov_b32 v92, v104 :: v_dual_mov_b32 v93, v105
	v_dual_mov_b32 v98, v110 :: v_dual_mov_b32 v95, v107
	;; [unrolled: 1-line block ×21, first 2 shown]
	v_mov_b32_e32 v34, v37
	v_dual_mov_b32 v35, v73 :: v_dual_mov_b32 v36, v74
	v_mov_b32_e32 v40, v39
	v_mov_b32_e32 v66, v65
	;; [unrolled: 1-line block ×3, first 2 shown]
.LBB75_85:
	s_or_b32 exec_lo, exec_lo, s2
	v_mov_b32_e32 v39, v5
	s_mov_b32 s2, exec_lo
	v_cmpx_lt_f32_e32 v40, v5
	s_cbranch_execz .LBB75_87
; %bb.86:
	v_mov_b32_e32 v126, v55
	v_mov_b32_e32 v111, v123
	;; [unrolled: 1-line block ×3, first 2 shown]
	v_dual_mov_b32 v115, v54 :: v_dual_mov_b32 v116, v128
	v_dual_mov_b32 v138, v67 :: v_dual_mov_b32 v113, v125
	v_mov_b32_e32 v112, v124
	v_dual_mov_b32 v118, v130 :: v_dual_mov_b32 v119, v131
	v_dual_mov_b32 v120, v132 :: v_dual_mov_b32 v121, v133
	;; [unrolled: 1-line block ×24, first 2 shown]
	v_mov_b32_e32 v22, v84
	v_dual_mov_b32 v22, v38 :: v_dual_mov_b32 v25, v87
	v_dual_mov_b32 v16, v78 :: v_dual_mov_b32 v19, v81
	v_dual_mov_b32 v18, v80 :: v_dual_mov_b32 v21, v83
	v_dual_mov_b32 v20, v82 :: v_dual_mov_b32 v23, v85
	v_dual_mov_b32 v24, v86 :: v_dual_mov_b32 v21, v59
	v_dual_mov_b32 v28, v90 :: v_dual_mov_b32 v31, v93
	v_dual_mov_b32 v30, v92 :: v_dual_mov_b32 v33, v95
	v_dual_mov_b32 v32, v94 :: v_dual_mov_b32 v35, v97
	v_dual_mov_b32 v34, v96 :: v_dual_mov_b32 v31, v69
	v_dual_mov_b32 v36, v98 :: v_dual_mov_b32 v33, v71
	v_dual_mov_b32 v158, v146 :: v_dual_mov_b32 v153, v141
	v_dual_mov_b32 v170, v134 :: v_dual_mov_b32 v165, v129
	v_dual_mov_b32 v4, v5 :: v_dual_mov_b32 v5, v40
	v_dual_mov_b32 v14, v76 :: v_dual_mov_b32 v17, v79
	v_dual_mov_b32 v19, v57 :: v_dual_mov_b32 v20, v58
	v_dual_mov_b32 v23, v61 :: v_dual_mov_b32 v24, v62
	v_dual_mov_b32 v27, v89 :: v_dual_mov_b32 v26, v88
	v_dual_mov_b32 v29, v91 :: v_dual_mov_b32 v32, v70
	v_mov_b32_e32 v35, v73
	v_dual_mov_b32 v34, v37 :: v_dual_mov_b32 v155, v143
	v_dual_mov_b32 v36, v74 :: v_dual_mov_b32 v157, v145
	v_dual_mov_b32 v156, v144 :: v_dual_mov_b32 v151, v139
	v_dual_mov_b32 v154, v142 :: v_dual_mov_b32 v149, v137
	v_dual_mov_b32 v152, v140 :: v_dual_mov_b32 v147, v135
	v_dual_mov_b32 v150, v138 :: v_dual_mov_b32 v169, v133
	v_dual_mov_b32 v148, v136 :: v_dual_mov_b32 v167, v131
	v_dual_mov_b32 v168, v132 :: v_dual_mov_b32 v163, v127
	v_dual_mov_b32 v166, v130 :: v_dual_mov_b32 v161, v125
	v_dual_mov_b32 v164, v128 :: v_dual_mov_b32 v159, v123
	v_dual_mov_b32 v162, v126 :: v_dual_mov_b32 v39, v40
	v_dual_mov_b32 v160, v124 :: v_dual_mov_b32 v67, v66
	v_mov_b32_e32 v55, v54
.LBB75_87:
	s_or_b32 exec_lo, exec_lo, s2
	v_mov_b32_e32 v40, v6
	s_mov_b32 s2, exec_lo
	v_cmpx_lt_f32_e32 v39, v6
	s_cbranch_execz .LBB75_89
; %bb.88:
	v_mov_b32_e32 v163, v56
	v_dual_mov_b32 v75, v159 :: v_dual_mov_b32 v80, v164
	v_dual_mov_b32 v80, v55 :: v_dual_mov_b32 v81, v165
	;; [unrolled: 1-line block ×7, first 2 shown]
	v_mov_b32_e32 v85, v169
	v_dual_mov_b32 v89, v149 :: v_dual_mov_b32 v92, v152
	v_dual_mov_b32 v91, v151 :: v_dual_mov_b32 v94, v154
	;; [unrolled: 1-line block ×6, first 2 shown]
	v_mov_b32_e32 v88, v148
	v_mov_b32_e32 v6, v39
	s_delay_alu instid0(VALU_DEP_3) | instskip(NEXT) | instid1(VALU_DEP_3)
	v_dual_mov_b32 v13, v75 :: v_dual_mov_b32 v14, v76
	v_dual_mov_b32 v25, v87 :: v_dual_mov_b32 v26, v88
	;; [unrolled: 1-line block ×30, first 2 shown]
	v_mov_b32_e32 v40, v39
	v_mov_b32_e32 v68, v67
	;; [unrolled: 1-line block ×3, first 2 shown]
.LBB75_89:
	s_or_b32 exec_lo, exec_lo, s2
	v_mov_b32_e32 v39, v7
	s_mov_b32 s2, exec_lo
	v_cmpx_lt_f32_e32 v40, v7
	s_cbranch_execz .LBB75_91
; %bb.90:
	v_mov_b32_e32 v116, v57
	v_dual_mov_b32 v6, v7 :: v_dual_mov_b32 v7, v40
	v_dual_mov_b32 v104, v69 :: v_dual_mov_b32 v13, v111
	v_mov_b32_e32 v22, v120
	v_dual_mov_b32 v22, v38 :: v_dual_mov_b32 v25, v99
	v_mov_b32_e32 v34, v108
	v_dual_mov_b32 v34, v37 :: v_dual_mov_b32 v87, v99
	v_dual_mov_b32 v16, v114 :: v_dual_mov_b32 v19, v117
	;; [unrolled: 1-line block ×12, first 2 shown]
	v_mov_b32_e32 v23, v61
	v_dual_mov_b32 v21, v59 :: v_dual_mov_b32 v24, v62
	v_dual_mov_b32 v27, v101 :: v_dual_mov_b32 v26, v100
	;; [unrolled: 1-line block ×3, first 2 shown]
	v_mov_b32_e32 v35, v73
	v_dual_mov_b32 v33, v71 :: v_dual_mov_b32 v36, v74
	v_dual_mov_b32 v89, v101 :: v_dual_mov_b32 v88, v100
	;; [unrolled: 1-line block ×9, first 2 shown]
	v_mov_b32_e32 v39, v40
	v_mov_b32_e32 v69, v68
	v_dual_mov_b32 v57, v56 :: v_dual_mov_b32 v94, v106
	v_dual_mov_b32 v97, v109 :: v_dual_mov_b32 v82, v118
	;; [unrolled: 1-line block ×3, first 2 shown]
.LBB75_91:
	s_or_b32 exec_lo, exec_lo, s2
	v_mov_b32_e32 v40, v8
	s_mov_b32 s2, exec_lo
	v_cmpx_lt_f32_e32 v39, v8
	s_cbranch_execz .LBB75_93
; %bb.92:
	v_dual_mov_b32 v81, v58 :: v_dual_mov_b32 v82, v57
	v_dual_mov_b32 v83, v59 :: v_dual_mov_b32 v84, v38
	;; [unrolled: 1-line block ×19, first 2 shown]
	v_mov_b32_e32 v40, v39
.LBB75_93:
	s_or_b32 exec_lo, exec_lo, s2
	s_delay_alu instid0(VALU_DEP_1)
	v_cmp_lt_f32_e32 vcc_lo, v40, v9
	v_dual_mov_b32 v38, v2 :: v_dual_mov_b32 v41, v5
	v_dual_mov_b32 v42, v6 :: v_dual_mov_b32 v47, v11
	v_dual_cndmask_b32 v145, v33, v32 :: v_dual_cndmask_b32 v32, v32, v33
	v_dual_cndmask_b32 v146, v21, v20 :: v_dual_mov_b32 v39, v3
	v_dual_cndmask_b32 v20, v20, v21 :: v_dual_cndmask_b32 v45, v9, v40
	v_dual_cndmask_b32 v44, v8, v9 :: v_dual_mov_b32 v37, v1
	v_dual_mov_b32 v40, v4 :: v_dual_mov_b32 v43, v7
	v_mov_b32_e32 v46, v10
	v_mov_b32_e32 v48, v12
	s_mov_b32 s2, exec_lo
	v_cmpx_lt_f32_e32 v1, v2
	s_cbranch_execz .LBB75_95
; %bb.94:
	v_dual_mov_b32 v49, v38 :: v_dual_mov_b32 v50, v37
	v_dual_mov_b32 v51, v39 :: v_dual_mov_b32 v52, v40
	;; [unrolled: 1-line block ×6, first 2 shown]
	v_mov_b32_e32 v3, v25
	v_mov_b32_e32 v4, v13
	v_dual_mov_b32 v37, v49 :: v_dual_mov_b32 v40, v52
	v_swap_b32 v25, v26
	v_swap_b32 v13, v14
	v_dual_mov_b32 v38, v50 :: v_dual_mov_b32 v39, v51
	v_dual_mov_b32 v41, v53 :: v_dual_mov_b32 v42, v54
	;; [unrolled: 1-line block ×5, first 2 shown]
	v_mov_b32_e32 v2, v1
.LBB75_95:
	s_or_b32 exec_lo, exec_lo, s2
	v_mov_b32_e32 v21, v146
	v_dual_mov_b32 v33, v145 :: v_dual_mov_b32 v60, v24
	v_dual_mov_b32 v72, v36 :: v_dual_mov_b32 v61, v25
	;; [unrolled: 1-line block ×43, first 2 shown]
	v_mov_b32_e32 v97, v13
	v_mov_b32_e32 v1, v39
	s_mov_b32 s2, exec_lo
	v_dual_mov_b32 v95, v35 :: v_dual_mov_b32 v94, v34
	v_dual_mov_b32 v93, v33 :: v_dual_mov_b32 v92, v32
	;; [unrolled: 1-line block ×5, first 2 shown]
	v_cmpx_lt_f32_e32 v2, v39
	s_cbranch_execz .LBB75_97
; %bb.96:
	v_dual_mov_b32 v108, v24 :: v_dual_mov_b32 v107, v23
	v_dual_mov_b32 v98, v14 :: v_dual_mov_b32 v97, v13
	v_mov_b32_e32 v98, v15
	v_dual_mov_b32 v104, v20 :: v_dual_mov_b32 v103, v19
	v_dual_mov_b32 v100, v16 :: v_dual_mov_b32 v99, v15
	;; [unrolled: 1-line block ×26, first 2 shown]
	v_mov_b32_e32 v84, v144
	v_dual_mov_b32 v74, v134 :: v_dual_mov_b32 v77, v137
	v_mov_b32_e32 v75, v135
	v_dual_mov_b32 v38, v39 :: v_dual_mov_b32 v85, v121
	v_dual_mov_b32 v76, v136 :: v_dual_mov_b32 v79, v139
	;; [unrolled: 1-line block ×10, first 2 shown]
	v_mov_b32_e32 v39, v2
	v_dual_mov_b32 v49, v73 :: v_dual_mov_b32 v50, v74
	v_dual_mov_b32 v59, v83 :: v_dual_mov_b32 v60, v84
	v_dual_mov_b32 v60, v24 :: v_dual_mov_b32 v61, v85
	v_dual_mov_b32 v53, v77 :: v_dual_mov_b32 v54, v78
	v_dual_mov_b32 v55, v79 :: v_dual_mov_b32 v56, v80
	v_dual_mov_b32 v57, v81 :: v_dual_mov_b32 v58, v82
	v_dual_mov_b32 v66, v90 :: v_dual_mov_b32 v67, v91
	v_dual_mov_b32 v68, v92 :: v_dual_mov_b32 v69, v93
	v_dual_mov_b32 v70, v94 :: v_dual_mov_b32 v71, v95
	v_dual_mov_b32 v72, v96 :: v_dual_mov_b32 v67, v31
	v_dual_mov_b32 v51, v75 :: v_dual_mov_b32 v52, v76
	v_dual_mov_b32 v54, v18 :: v_dual_mov_b32 v55, v19
	v_dual_mov_b32 v56, v20 :: v_dual_mov_b32 v57, v146
	v_dual_mov_b32 v58, v22 :: v_dual_mov_b32 v59, v23
	v_dual_mov_b32 v62, v86 :: v_dual_mov_b32 v63, v87
	v_dual_mov_b32 v64, v88 :: v_dual_mov_b32 v65, v89
	v_dual_mov_b32 v66, v30 :: v_dual_mov_b32 v69, v145
	v_dual_mov_b32 v68, v32 :: v_dual_mov_b32 v71, v35
	v_mov_b32_e32 v70, v34
	v_dual_mov_b32 v72, v36 :: v_dual_mov_b32 v1, v2
	v_mov_b32_e32 v27, v26
	v_mov_b32_e32 v15, v14
.LBB75_97:
	s_or_b32 exec_lo, exec_lo, s2
	v_mov_b32_e32 v2, v40
	s_mov_b32 s2, exec_lo
	v_cmpx_lt_f32_e32 v1, v40
	s_cbranch_execz .LBB75_99
; %bb.98:
	v_mov_b32_e32 v99, v16
	v_mov_b32_e32 v144, v108
	;; [unrolled: 1-line block ×3, first 2 shown]
	v_dual_mov_b32 v136, v15 :: v_dual_mov_b32 v111, v28
	v_dual_mov_b32 v142, v106 :: v_dual_mov_b32 v133, v97
	;; [unrolled: 1-line block ×4, first 2 shown]
	v_mov_b32_e32 v135, v99
	v_dual_mov_b32 v125, v113 :: v_dual_mov_b32 v124, v112
	v_mov_b32_e32 v143, v107
	v_dual_mov_b32 v141, v105 :: v_dual_mov_b32 v140, v104
	v_dual_mov_b32 v139, v103 :: v_dual_mov_b32 v138, v102
	;; [unrolled: 1-line block ×18, first 2 shown]
	v_mov_b32_e32 v95, v131
	v_dual_mov_b32 v89, v29 :: v_dual_mov_b32 v88, v124
	v_dual_mov_b32 v49, v73 :: v_dual_mov_b32 v54, v78
	v_mov_b32_e32 v50, v74
	v_dual_mov_b32 v52, v76 :: v_dual_mov_b32 v61, v85
	s_delay_alu instid0(VALU_DEP_4)
	v_dual_mov_b32 v64, v88 :: v_dual_mov_b32 v51, v75
	v_dual_mov_b32 v56, v80 :: v_dual_mov_b32 v53, v77
	;; [unrolled: 1-line block ×12, first 2 shown]
	v_mov_b32_e32 v58, v22
	v_dual_mov_b32 v57, v146 :: v_dual_mov_b32 v60, v24
	v_dual_mov_b32 v59, v23 :: v_dual_mov_b32 v62, v86
	;; [unrolled: 1-line block ×5, first 2 shown]
	v_mov_b32_e32 v2, v1
	v_mov_b32_e32 v28, v27
	v_mov_b32_e32 v16, v15
.LBB75_99:
	s_or_b32 exec_lo, exec_lo, s2
	v_mov_b32_e32 v1, v41
	s_mov_b32 s2, exec_lo
	v_cmpx_lt_f32_e32 v2, v41
	s_cbranch_execz .LBB75_101
; %bb.100:
	v_mov_b32_e32 v100, v17
	v_mov_b32_e32 v73, v97
	;; [unrolled: 1-line block ×3, first 2 shown]
	v_dual_mov_b32 v77, v16 :: v_dual_mov_b32 v78, v102
	v_dual_mov_b32 v112, v29 :: v_dual_mov_b32 v75, v99
	;; [unrolled: 1-line block ×3, first 2 shown]
	v_mov_b32_e32 v84, v108
	v_dual_mov_b32 v74, v98 :: v_dual_mov_b32 v85, v109
	v_mov_b32_e32 v86, v110
	v_dual_mov_b32 v76, v100 :: v_dual_mov_b32 v79, v103
	v_dual_mov_b32 v80, v104 :: v_dual_mov_b32 v81, v105
	;; [unrolled: 1-line block ×8, first 2 shown]
	v_mov_b32_e32 v49, v73
	v_dual_mov_b32 v89, v28 :: v_dual_mov_b32 v50, v74
	v_dual_mov_b32 v59, v83 :: v_dual_mov_b32 v60, v84
	;; [unrolled: 1-line block ×32, first 2 shown]
	v_mov_b32_e32 v17, v16
.LBB75_101:
	s_or_b32 exec_lo, exec_lo, s2
	v_mov_b32_e32 v2, v42
	s_mov_b32 s2, exec_lo
	v_cmpx_lt_f32_e32 v1, v42
	s_cbranch_execz .LBB75_103
; %bb.102:
	v_mov_b32_e32 v137, v18
	v_mov_b32_e32 v125, v30
	v_dual_mov_b32 v41, v42 :: v_dual_mov_b32 v42, v1
	v_dual_mov_b32 v49, v133 :: v_dual_mov_b32 v50, v134
	;; [unrolled: 1-line block ×13, first 2 shown]
	v_mov_b32_e32 v66, v29
	v_dual_mov_b32 v85, v121 :: v_dual_mov_b32 v86, v122
	v_dual_mov_b32 v73, v133 :: v_dual_mov_b32 v74, v134
	;; [unrolled: 1-line block ×4, first 2 shown]
	v_mov_b32_e32 v64, v124
	v_dual_mov_b32 v58, v22 :: v_dual_mov_b32 v59, v23
	v_dual_mov_b32 v67, v31 :: v_dual_mov_b32 v68, v32
	;; [unrolled: 1-line block ×8, first 2 shown]
	v_mov_b32_e32 v2, v1
	v_mov_b32_e32 v30, v29
	v_dual_mov_b32 v18, v17 :: v_dual_mov_b32 v91, v127
	v_dual_mov_b32 v92, v128 :: v_dual_mov_b32 v93, v129
	;; [unrolled: 1-line block ×6, first 2 shown]
	v_mov_b32_e32 v84, v144
.LBB75_103:
	s_or_b32 exec_lo, exec_lo, s2
	v_mov_b32_e32 v1, v43
	s_mov_b32 s2, exec_lo
	v_cmpx_lt_f32_e32 v2, v43
	s_cbranch_execz .LBB75_105
; %bb.104:
	v_dual_mov_b32 v94, v34 :: v_dual_mov_b32 v95, v35
	v_dual_mov_b32 v78, v19 :: v_dual_mov_b32 v79, v18
	;; [unrolled: 1-line block ×6, first 2 shown]
	v_mov_b32_e32 v96, v36
	v_dual_mov_b32 v42, v43 :: v_dual_mov_b32 v43, v2
	v_dual_mov_b32 v84, v24 :: v_dual_mov_b32 v61, v85
	v_dual_mov_b32 v70, v94 :: v_dual_mov_b32 v49, v73
	v_dual_mov_b32 v62, v86 :: v_dual_mov_b32 v63, v87
	v_dual_mov_b32 v64, v88 :: v_dual_mov_b32 v67, v91
	v_dual_mov_b32 v65, v89 :: v_dual_mov_b32 v66, v90
	v_dual_mov_b32 v69, v93 :: v_dual_mov_b32 v68, v92
	v_dual_mov_b32 v71, v95 :: v_dual_mov_b32 v72, v96
	v_dual_mov_b32 v51, v75 :: v_dual_mov_b32 v50, v74
	v_dual_mov_b32 v53, v77 :: v_dual_mov_b32 v52, v76
	v_dual_mov_b32 v55, v79 :: v_dual_mov_b32 v54, v78
	v_dual_mov_b32 v57, v81 :: v_dual_mov_b32 v56, v80
	v_dual_mov_b32 v59, v83 :: v_dual_mov_b32 v58, v82
	v_dual_mov_b32 v60, v84 :: v_dual_mov_b32 v1, v2
.LBB75_105:
	s_or_b32 exec_lo, exec_lo, s2
	s_delay_alu instid0(VALU_DEP_1)
	v_cmp_lt_f32_e32 vcc_lo, v1, v44
	v_dual_mov_b32 v3, v39 :: v_dual_mov_b32 v10, v46
	v_dual_mov_b32 v5, v41 :: v_dual_mov_b32 v12, v48
	v_dual_cndmask_b32 v121, v68, v67 :: v_dual_mov_b32 v2, v38
	v_dual_cndmask_b32 v67, v67, v68 :: v_dual_cndmask_b32 v122, v56, v55
	v_dual_cndmask_b32 v55, v55, v56 :: v_dual_cndmask_b32 v8, v44, v1
	v_dual_cndmask_b32 v7, v43, v44 :: v_dual_mov_b32 v4, v40
	v_dual_mov_b32 v1, v37 :: v_dual_mov_b32 v6, v42
	v_mov_b32_e32 v9, v45
	v_mov_b32_e32 v11, v47
	s_mov_b32 s2, exec_lo
	v_cmpx_lt_f32_e32 v37, v38
	s_cbranch_execz .LBB75_107
; %bb.106:
	v_dual_mov_b32 v13, v2 :: v_dual_mov_b32 v14, v1
	v_dual_mov_b32 v15, v3 :: v_dual_mov_b32 v16, v4
	;; [unrolled: 1-line block ×6, first 2 shown]
	v_mov_b32_e32 v25, v61
	v_mov_b32_e32 v26, v49
	v_dual_mov_b32 v1, v13 :: v_dual_mov_b32 v4, v16
	v_swap_b32 v61, v62
	v_swap_b32 v49, v50
	v_dual_mov_b32 v2, v14 :: v_dual_mov_b32 v3, v15
	v_dual_mov_b32 v5, v17 :: v_dual_mov_b32 v6, v18
	;; [unrolled: 1-line block ×5, first 2 shown]
	v_mov_b32_e32 v38, v37
.LBB75_107:
	s_or_b32 exec_lo, exec_lo, s2
	v_mov_b32_e32 v56, v122
	v_mov_b32_e32 v68, v121
	;; [unrolled: 1-line block ×3, first 2 shown]
	v_dual_mov_b32 v27, v51 :: v_dual_mov_b32 v84, v72
	v_mov_b32_e32 v81, v69
	v_dual_mov_b32 v83, v71 :: v_dual_mov_b32 v96, v60
	v_dual_mov_b32 v91, v55 :: v_dual_mov_b32 v120, v72
	;; [unrolled: 1-line block ×31, first 2 shown]
	v_mov_b32_e32 v24, v60
	s_mov_b32 s2, exec_lo
	v_dual_mov_b32 v118, v70 :: v_dual_mov_b32 v115, v67
	v_dual_mov_b32 v116, v68 :: v_dual_mov_b32 v113, v65
	;; [unrolled: 1-line block ×3, first 2 shown]
	v_cmpx_lt_f32_e32 v38, v3
	s_cbranch_execz .LBB75_109
; %bb.108:
	v_dual_mov_b32 v13, v49 :: v_dual_mov_b32 v14, v50
	v_dual_mov_b32 v23, v59 :: v_dual_mov_b32 v24, v60
	;; [unrolled: 1-line block ×30, first 2 shown]
	v_mov_b32_e32 v112, v64
	v_dual_mov_b32 v34, v94 :: v_dual_mov_b32 v35, v95
	v_dual_mov_b32 v35, v59 :: v_dual_mov_b32 v34, v58
	;; [unrolled: 1-line block ×15, first 2 shown]
	v_mov_b32_e32 v81, v69
	v_dual_mov_b32 v80, v121 :: v_dual_mov_b32 v83, v71
	v_mov_b32_e32 v82, v70
	v_dual_mov_b32 v84, v72 :: v_dual_mov_b32 v37, v38
	v_mov_b32_e32 v63, v62
	v_mov_b32_e32 v51, v50
.LBB75_109:
	s_or_b32 exec_lo, exec_lo, s2
	v_mov_b32_e32 v38, v4
	s_mov_b32 s2, exec_lo
	v_cmpx_lt_f32_e32 v37, v4
	s_cbranch_execz .LBB75_111
; %bb.110:
	v_mov_b32_e32 v15, v52
	v_mov_b32_e32 v96, v24
	;; [unrolled: 1-line block ×3, first 2 shown]
	v_dual_mov_b32 v88, v51 :: v_dual_mov_b32 v99, v64
	v_dual_mov_b32 v94, v22 :: v_dual_mov_b32 v85, v13
	;; [unrolled: 1-line block ×3, first 2 shown]
	v_mov_b32_e32 v95, v23
	v_dual_mov_b32 v93, v21 :: v_dual_mov_b32 v92, v20
	v_dual_mov_b32 v91, v19 :: v_dual_mov_b32 v90, v18
	;; [unrolled: 1-line block ×7, first 2 shown]
	v_mov_b32_e32 v87, v15
	v_dual_mov_b32 v111, v99 :: v_dual_mov_b32 v110, v98
	v_dual_mov_b32 v112, v63 :: v_dual_mov_b32 v25, v85
	;; [unrolled: 1-line block ×3, first 2 shown]
	s_delay_alu instid0(VALU_DEP_3)
	v_dual_mov_b32 v74, v110 :: v_dual_mov_b32 v29, v89
	v_dual_mov_b32 v30, v90 :: v_dual_mov_b32 v31, v91
	;; [unrolled: 1-line block ×8, first 2 shown]
	v_mov_b32_e32 v84, v120
	v_dual_mov_b32 v3, v4 :: v_dual_mov_b32 v4, v37
	v_dual_mov_b32 v27, v87 :: v_dual_mov_b32 v28, v88
	;; [unrolled: 1-line block ×11, first 2 shown]
	v_mov_b32_e32 v38, v37
	v_mov_b32_e32 v64, v63
	;; [unrolled: 1-line block ×3, first 2 shown]
.LBB75_111:
	s_or_b32 exec_lo, exec_lo, s2
	v_mov_b32_e32 v16, v5
	s_mov_b32 s2, exec_lo
	v_cmpx_lt_f32_e32 v38, v5
	s_cbranch_execz .LBB75_113
; %bb.112:
	v_mov_b32_e32 v100, v65
	v_mov_b32_e32 v16, v53
	v_dual_mov_b32 v4, v5 :: v_dual_mov_b32 v5, v38
	v_dual_mov_b32 v36, v24 :: v_dual_mov_b32 v33, v21
	;; [unrolled: 1-line block ×3, first 2 shown]
	v_mov_b32_e32 v31, v19
	v_dual_mov_b32 v35, v59 :: v_dual_mov_b32 v34, v58
	v_dual_mov_b32 v73, v97 :: v_dual_mov_b32 v32, v20
	;; [unrolled: 1-line block ×8, first 2 shown]
	v_mov_b32_e32 v77, v64
	v_dual_mov_b32 v84, v108 :: v_dual_mov_b32 v79, v67
	v_dual_mov_b32 v120, v108 :: v_dual_mov_b32 v115, v103
	;; [unrolled: 1-line block ×19, first 2 shown]
	v_mov_b32_e32 v88, v16
	v_dual_mov_b32 v86, v14 :: v_dual_mov_b32 v65, v64
	v_dual_mov_b32 v16, v38 :: v_dual_mov_b32 v53, v52
	;; [unrolled: 1-line block ×3, first 2 shown]
.LBB75_113:
	s_or_b32 exec_lo, exec_lo, s2
	v_mov_b32_e32 v13, v6
	s_mov_b32 s2, exec_lo
	v_cmpx_lt_f32_e32 v16, v6
	s_cbranch_execz .LBB75_115
; %bb.114:
	v_dual_mov_b32 v89, v54 :: v_dual_mov_b32 v90, v53
	v_dual_mov_b32 v91, v55 :: v_dual_mov_b32 v92, v122
	v_dual_mov_b32 v93, v57 :: v_dual_mov_b32 v94, v58
	v_dual_mov_b32 v95, v59 :: v_dual_mov_b32 v114, v65
	v_dual_mov_b32 v113, v66 :: v_dual_mov_b32 v116, v121
	v_dual_mov_b32 v115, v67 :: v_dual_mov_b32 v118, v70
	v_dual_mov_b32 v117, v69 :: v_dual_mov_b32 v120, v72
	v_dual_mov_b32 v119, v71 :: v_dual_mov_b32 v96, v60
	v_dual_mov_b32 v73, v109 :: v_dual_mov_b32 v74, v110
	v_dual_mov_b32 v25, v85 :: v_dual_mov_b32 v26, v86
	v_dual_mov_b32 v5, v6 :: v_dual_mov_b32 v6, v16
	v_dual_mov_b32 v75, v111 :: v_dual_mov_b32 v76, v112
	v_dual_mov_b32 v77, v113 :: v_dual_mov_b32 v78, v114
	v_dual_mov_b32 v79, v115 :: v_dual_mov_b32 v80, v116
	v_dual_mov_b32 v81, v117 :: v_dual_mov_b32 v82, v118
	v_dual_mov_b32 v83, v119 :: v_dual_mov_b32 v84, v120
	v_dual_mov_b32 v27, v87 :: v_dual_mov_b32 v28, v88
	v_dual_mov_b32 v29, v89 :: v_dual_mov_b32 v30, v90
	v_dual_mov_b32 v31, v91 :: v_dual_mov_b32 v32, v92
	v_dual_mov_b32 v33, v93 :: v_dual_mov_b32 v34, v94
	v_dual_mov_b32 v35, v95 :: v_dual_mov_b32 v36, v96
	v_mov_b32_e32 v13, v16
.LBB75_115:
	s_or_b32 exec_lo, exec_lo, s2
	s_delay_alu instid0(VALU_DEP_1)
	v_cmp_lt_f32_e32 vcc_lo, v13, v7
	v_dual_mov_b32 v14, v2 :: v_dual_mov_b32 v17, v5
	v_dual_mov_b32 v16, v4 :: v_dual_mov_b32 v21, v9
	v_dual_cndmask_b32 v37, v79, v78 :: v_dual_cndmask_b32 v78, v78, v79
	v_cndmask_b32_e32 v38, v31, v30, vcc_lo
	v_dual_cndmask_b32 v30, v30, v31 :: v_dual_cndmask_b32 v19, v7, v13
	v_dual_cndmask_b32 v18, v6, v7 :: v_dual_mov_b32 v15, v3
	v_dual_mov_b32 v13, v1 :: v_dual_mov_b32 v20, v8
	v_dual_mov_b32 v23, v11 :: v_dual_mov_b32 v22, v10
	v_mov_b32_e32 v24, v12
	s_mov_b32 s2, exec_lo
	v_cmpx_lt_f32_e32 v1, v2
	s_cbranch_execz .LBB75_117
; %bb.116:
	v_dual_mov_b32 v2, v14 :: v_dual_mov_b32 v3, v13
	v_dual_mov_b32 v12, v23 :: v_dual_mov_b32 v13, v24
	;; [unrolled: 1-line block ×6, first 2 shown]
	v_mov_b32_e32 v24, v13
	v_mov_b32_e32 v31, v73
	v_dual_mov_b32 v39, v25 :: v_dual_mov_b32 v18, v7
	v_swap_b32 v73, v74
	v_swap_b32 v25, v26
	v_dual_mov_b32 v23, v12 :: v_dual_mov_b32 v20, v9
	v_dual_mov_b32 v22, v11 :: v_dual_mov_b32 v21, v10
	;; [unrolled: 1-line block ×4, first 2 shown]
	v_mov_b32_e32 v15, v4
	v_dual_mov_b32 v13, v2 :: v_dual_mov_b32 v2, v1
.LBB75_117:
	s_or_b32 exec_lo, exec_lo, s2
	v_mov_b32_e32 v31, v38
	v_dual_mov_b32 v79, v37 :: v_dual_mov_b32 v50, v36
	v_dual_mov_b32 v51, v73 :: v_dual_mov_b32 v52, v74
	;; [unrolled: 1-line block ×24, first 2 shown]
	v_mov_b32_e32 v85, v25
	v_mov_b32_e32 v1, v15
	s_mov_b32 s2, exec_lo
	v_cmpx_lt_f32_e32 v2, v15
	s_cbranch_execz .LBB75_119
; %bb.118:
	v_dual_mov_b32 v96, v36 :: v_dual_mov_b32 v95, v35
	v_dual_mov_b32 v86, v26 :: v_dual_mov_b32 v85, v25
	;; [unrolled: 1-line block ×8, first 2 shown]
	v_mov_b32_e32 v105, v81
	v_dual_mov_b32 v43, v89 :: v_dual_mov_b32 v44, v90
	v_dual_mov_b32 v100, v76 :: v_dual_mov_b32 v97, v73
	v_dual_mov_b32 v44, v30 :: v_dual_mov_b32 v107, v83
	v_dual_mov_b32 v106, v82 :: v_dual_mov_b32 v103, v79
	v_dual_mov_b32 v104, v80 :: v_dual_mov_b32 v101, v77
	v_dual_mov_b32 v102, v78 :: v_dual_mov_b32 v99, v75
	v_mov_b32_e32 v98, v74
	v_dual_mov_b32 v98, v75 :: v_dual_mov_b32 v99, v74
	v_dual_mov_b32 v49, v95 :: v_dual_mov_b32 v50, v96
	;; [unrolled: 1-line block ×12, first 2 shown]
	v_mov_b32_e32 v40, v86
	v_dual_mov_b32 v42, v28 :: v_dual_mov_b32 v43, v29
	v_dual_mov_b32 v45, v38 :: v_dual_mov_b32 v46, v32
	;; [unrolled: 1-line block ×9, first 2 shown]
	v_mov_b32_e32 v75, v74
	v_mov_b32_e32 v27, v26
.LBB75_119:
	s_or_b32 exec_lo, exec_lo, s2
	v_mov_b32_e32 v2, v16
	s_mov_b32 s2, exec_lo
	v_cmpx_lt_f32_e32 v1, v16
	s_cbranch_execz .LBB75_121
; %bb.120:
	v_mov_b32_e32 v87, v28
	v_mov_b32_e32 v99, v76
	v_dual_mov_b32 v15, v16 :: v_dual_mov_b32 v16, v1
	v_dual_mov_b32 v39, v85 :: v_dual_mov_b32 v42, v88
	;; [unrolled: 1-line block ×13, first 2 shown]
	v_mov_b32_e32 v56, v78
	v_mov_b32_e32 v40, v86
	v_dual_mov_b32 v42, v27 :: v_dual_mov_b32 v43, v29
	v_dual_mov_b32 v45, v38 :: v_dual_mov_b32 v46, v32
	;; [unrolled: 1-line block ×8, first 2 shown]
	v_mov_b32_e32 v2, v1
	v_mov_b32_e32 v76, v75
	;; [unrolled: 1-line block ×3, first 2 shown]
.LBB75_121:
	s_or_b32 exec_lo, exec_lo, s2
	v_mov_b32_e32 v1, v17
	s_mov_b32 s2, exec_lo
	v_cmpx_lt_f32_e32 v2, v17
	s_cbranch_execz .LBB75_123
; %bb.122:
	v_dual_mov_b32 v106, v82 :: v_dual_mov_b32 v107, v83
	v_dual_mov_b32 v88, v29 :: v_dual_mov_b32 v89, v28
	;; [unrolled: 1-line block ×8, first 2 shown]
	v_mov_b32_e32 v108, v84
	v_dual_mov_b32 v16, v17 :: v_dual_mov_b32 v17, v2
	v_dual_mov_b32 v96, v36 :: v_dual_mov_b32 v51, v97
	;; [unrolled: 1-line block ×14, first 2 shown]
.LBB75_123:
	s_or_b32 exec_lo, exec_lo, s2
	s_delay_alu instid0(VALU_DEP_1)
	v_cmp_lt_f32_e32 vcc_lo, v1, v18
	v_dual_mov_b32 v27, v13 :: v_dual_mov_b32 v34, v20
	v_dual_mov_b32 v29, v15 :: v_dual_mov_b32 v36, v22
	v_dual_cndmask_b32 v63, v56, v55 :: v_dual_cndmask_b32 v32, v18, v1
	v_dual_cndmask_b32 v55, v55, v56 :: v_dual_cndmask_b32 v64, v44, v43
	v_dual_cndmask_b32 v43, v43, v44 :: v_dual_mov_b32 v28, v14
	v_dual_cndmask_b32 v31, v17, v18 :: v_dual_mov_b32 v30, v16
	v_dual_mov_b32 v33, v19 :: v_dual_mov_b32 v38, v24
	v_mov_b32_e32 v35, v21
	v_mov_b32_e32 v37, v23
	s_mov_b32 s2, exec_lo
	v_cmpx_lt_f32_e32 v13, v14
	s_cbranch_execz .LBB75_125
; %bb.124:
	s_delay_alu instid0(VALU_DEP_2)
	v_dual_mov_b32 v11, v37 :: v_dual_mov_b32 v12, v38
	v_dual_mov_b32 v1, v28 :: v_dual_mov_b32 v2, v27
	;; [unrolled: 1-line block ×7, first 2 shown]
	s_delay_alu instid0(VALU_DEP_2)
	v_dual_mov_b32 v16, v39 :: v_dual_mov_b32 v35, v9
	v_swap_b32 v51, v52
	v_swap_b32 v39, v40
	v_dual_mov_b32 v37, v11 :: v_dual_mov_b32 v36, v10
	v_dual_mov_b32 v34, v8 :: v_dual_mov_b32 v33, v7
	;; [unrolled: 1-line block ×5, first 2 shown]
	v_mov_b32_e32 v14, v13
.LBB75_125:
	s_or_b32 exec_lo, exec_lo, s2
	v_mov_b32_e32 v44, v64
	v_mov_b32_e32 v56, v63
	;; [unrolled: 1-line block ×4, first 2 shown]
	v_dual_mov_b32 v15, v51 :: v_dual_mov_b32 v2, v40
	v_dual_mov_b32 v16, v52 :: v_dual_mov_b32 v17, v53
	;; [unrolled: 1-line block ×11, first 2 shown]
	v_mov_b32_e32 v12, v50
	s_mov_b32 s2, exec_lo
	v_cmpx_lt_f32_e32 v14, v29
	s_cbranch_execz .LBB75_127
; %bb.126:
	v_dual_mov_b32 v1, v39 :: v_dual_mov_b32 v2, v40
	v_dual_mov_b32 v11, v49 :: v_dual_mov_b32 v12, v50
	;; [unrolled: 1-line block ×25, first 2 shown]
	v_mov_b32_e32 v41, v40
.LBB75_127:
	s_or_b32 exec_lo, exec_lo, s2
	v_mov_b32_e32 v39, v30
	s_mov_b32 s2, exec_lo
	v_cmpx_lt_f32_e32 v13, v30
	s_cbranch_execz .LBB75_129
; %bb.128:
	v_dual_mov_b32 v29, v30 :: v_dual_mov_b32 v30, v13
	v_dual_mov_b32 v3, v42 :: v_dual_mov_b32 v4, v41
	;; [unrolled: 1-line block ×11, first 2 shown]
	v_mov_b32_e32 v39, v13
.LBB75_129:
	s_or_b32 exec_lo, exec_lo, s2
	s_delay_alu instid0(VALU_DEP_1)
	v_cmp_lt_f32_e32 vcc_lo, v39, v31
	v_dual_mov_b32 v40, v28 :: v_dual_mov_b32 v45, v33
	v_dual_mov_b32 v44, v32 :: v_dual_mov_b32 v47, v35
	v_dual_cndmask_b32 v13, v19, v18 :: v_dual_cndmask_b32 v18, v18, v19
	v_dual_cndmask_b32 v14, v5, v4 :: v_dual_cndmask_b32 v43, v31, v39
	v_dual_cndmask_b32 v4, v4, v5 :: v_dual_mov_b32 v39, v27
	v_dual_cndmask_b32 v42, v30, v31 :: v_dual_mov_b32 v41, v29
	v_dual_mov_b32 v46, v34 :: v_dual_mov_b32 v49, v37
	v_mov_b32_e32 v48, v36
	v_mov_b32_e32 v50, v38
	s_mov_b32 s2, exec_lo
	v_cmpx_lt_f32_e32 v27, v28
	s_cbranch_execz .LBB75_131
; %bb.130:
	v_dual_mov_b32 v28, v40 :: v_dual_mov_b32 v29, v39
	v_dual_mov_b32 v38, v49 :: v_dual_mov_b32 v39, v50
	;; [unrolled: 1-line block ×7, first 2 shown]
	v_mov_b32_e32 v5, v15
	v_swap_b32 v15, v16
	s_delay_alu instid0(VALU_DEP_4)
	v_mov_b32_e32 v48, v37
	v_swap_b32 v1, v2
	v_dual_mov_b32 v49, v38 :: v_dual_mov_b32 v46, v35
	v_dual_mov_b32 v47, v36 :: v_dual_mov_b32 v44, v33
	;; [unrolled: 1-line block ×4, first 2 shown]
	v_mov_b32_e32 v41, v30
	v_dual_mov_b32 v39, v28 :: v_dual_mov_b32 v28, v27
.LBB75_131:
	s_or_b32 exec_lo, exec_lo, s2
	v_mov_b32_e32 v5, v14
	v_mov_b32_e32 v19, v13
	;; [unrolled: 1-line block ×3, first 2 shown]
	s_mov_b32 s2, exec_lo
	v_cmpx_lt_f32_e32 v28, v41
	s_cbranch_execz .LBB75_133
; %bb.132:
	v_dual_mov_b32 v74, v26 :: v_dual_mov_b32 v73, v25
	v_dual_mov_b32 v62, v12 :: v_dual_mov_b32 v61, v11
	v_dual_mov_b32 v72, v24 :: v_dual_mov_b32 v71, v23
	v_dual_mov_b32 v64, v16 :: v_dual_mov_b32 v63, v15
	v_dual_mov_b32 v60, v10 :: v_dual_mov_b32 v59, v9
	v_dual_mov_b32 v58, v8 :: v_dual_mov_b32 v57, v7
	v_dual_mov_b32 v56, v6 :: v_dual_mov_b32 v55, v5
	v_dual_mov_b32 v54, v4 :: v_dual_mov_b32 v53, v3
	v_dual_mov_b32 v52, v2 :: v_dual_mov_b32 v51, v1
	v_dual_mov_b32 v70, v22 :: v_dual_mov_b32 v69, v21
	v_dual_mov_b32 v68, v20 :: v_dual_mov_b32 v67, v19
	v_dual_mov_b32 v66, v18 :: v_dual_mov_b32 v65, v17
	v_dual_mov_b32 v72, v24 :: v_dual_mov_b32 v73, v25
	v_dual_mov_b32 v52, v3 :: v_dual_mov_b32 v53, v2
	v_dual_mov_b32 v54, v4 :: v_dual_mov_b32 v55, v14
	v_dual_mov_b32 v56, v6 :: v_dual_mov_b32 v57, v7
	v_dual_mov_b32 v58, v8 :: v_dual_mov_b32 v59, v9
	v_dual_mov_b32 v60, v10 :: v_dual_mov_b32 v61, v11
	v_dual_mov_b32 v64, v17 :: v_dual_mov_b32 v65, v16
	v_dual_mov_b32 v66, v18 :: v_dual_mov_b32 v67, v13
	v_dual_mov_b32 v68, v20 :: v_dual_mov_b32 v69, v21
	v_dual_mov_b32 v70, v22 :: v_dual_mov_b32 v71, v23
	v_mov_b32_e32 v74, v26
	v_dual_mov_b32 v40, v41 :: v_dual_mov_b32 v41, v28
	v_dual_mov_b32 v62, v12 :: v_dual_mov_b32 v15, v63
	;; [unrolled: 1-line block ×14, first 2 shown]
.LBB75_133:
	s_or_b32 exec_lo, exec_lo, s2
	s_delay_alu instid0(VALU_DEP_1)
	v_cmp_lt_f32_e32 vcc_lo, v27, v42
	v_dual_mov_b32 v29, v24 :: v_dual_mov_b32 v32, v5
	v_dual_mov_b32 v31, v26 :: v_dual_mov_b32 v34, v7
	v_dual_cndmask_b32 v13, v18, v17 :: v_dual_cndmask_b32 v14, v4, v3
	v_cndmask_b32_e32 v51, v17, v18, vcc_lo
	v_dual_cndmask_b32 v59, v3, v4 :: v_dual_cndmask_b32 v60, v41, v42
	v_dual_cndmask_b32 v3, v42, v27 :: v_dual_mov_b32 v18, v21
	v_cmp_lt_f32_e32 vcc_lo, v39, v40
	v_dual_mov_b32 v4, v19 :: v_dual_mov_b32 v17, v20
	v_dual_mov_b32 v28, v23 :: v_dual_mov_b32 v27, v22
	;; [unrolled: 1-line block ×7, first 2 shown]
	v_mov_b32_e32 v58, v50
	v_dual_mov_b32 v52, v44 :: v_dual_mov_b32 v53, v45
	v_dual_mov_b32 v55, v47 :: v_dual_mov_b32 v56, v48
	v_mov_b32_e32 v57, v49
	s_and_saveexec_b32 s2, vcc_lo
	s_cbranch_execz .LBB75_135
; %bb.134:
	v_dual_mov_b32 v42, v40 :: v_dual_mov_b32 v27, v22
	v_dual_mov_b32 v4, v15 :: v_dual_mov_b32 v17, v20
	;; [unrolled: 1-line block ×3, first 2 shown]
	v_swap_b32 v15, v16
	v_swap_b32 v1, v2
	v_dual_mov_b32 v40, v39 :: v_dual_mov_b32 v29, v24
	v_dual_mov_b32 v4, v19 :: v_dual_mov_b32 v31, v26
	;; [unrolled: 1-line block ×10, first 2 shown]
	v_mov_b32_e32 v52, v44
	v_mov_b32_e32 v54, v46
	;; [unrolled: 1-line block ×4, first 2 shown]
.LBB75_135:
	s_or_b32 exec_lo, exec_lo, s2
	s_clause 0x1
	s_load_b32 s8, s[0:1], 0x28
	s_load_b128 s[4:7], s[0:1], 0x10
	v_mov_b32_e32 v6, 0
	s_waitcnt lgkmcnt(0)
	s_cmp_lt_i32 s8, 1
	s_cbranch_scc1 .LBB75_141
; %bb.136:
	v_cmp_lt_f32_e32 vcc_lo, v40, v60
	v_mov_b32_e32 v7, 0
	s_mov_b32 s9, 0x76543210
	s_mov_b32 s10, s8
	v_mov_b32_e32 v6, 0
	v_cndmask_b32_e32 v8, v60, v40, vcc_lo
	v_cndmask_b32_e32 v19, v61, v60, vcc_lo
	v_dual_cndmask_b32 v5, v59, v2 :: v_dual_cndmask_b32 v2, v2, v59
	v_dual_cndmask_b32 v9, v51, v16 :: v_dual_cndmask_b32 v20, v16, v51
	s_delay_alu instid0(VALU_DEP_3) | instskip(NEXT) | instid1(VALU_DEP_1)
	v_cmp_lt_f32_e64 s2, v39, v19
	v_cndmask_b32_e64 v10, v2, v1, s2
	v_cndmask_b32_e64 v11, v1, v2, s2
	;; [unrolled: 1-line block ×6, first 2 shown]
	v_dual_mov_b32 v20, v0 :: v_dual_mov_b32 v1, 0
	v_mov_b32_e32 v2, 0
.LBB75_137:                             ; =>This Inner Loop Header: Depth=1
	v_cmp_eq_u32_e32 vcc_lo, 1, v7
	v_cmp_eq_u32_e64 s2, 2, v7
	v_dual_cndmask_b32 v21, v16, v12 :: v_dual_cndmask_b32 v22, v11, v10
	s_delay_alu instid0(VALU_DEP_1) | instskip(NEXT) | instid1(VALU_DEP_2)
	v_cndmask_b32_e64 v21, v21, v8, s2
	v_cndmask_b32_e64 v22, v22, v5, s2
	v_cndmask_b32_e32 v23, v15, v19, vcc_lo
	v_cmp_eq_u32_e32 vcc_lo, 3, v7
	s_delay_alu instid0(VALU_DEP_3) | instskip(NEXT) | instid1(VALU_DEP_3)
	v_cndmask_b32_e32 v22, v22, v14, vcc_lo
	v_cndmask_b32_e64 v23, v23, v9, s2
	v_cmp_eq_u32_e64 s2, 4, v7
	s_delay_alu instid0(VALU_DEP_2) | instskip(NEXT) | instid1(VALU_DEP_2)
	v_cndmask_b32_e32 v23, v23, v13, vcc_lo
	v_cndmask_b32_e64 v22, v22, v32, s2
	v_cndmask_b32_e32 v21, v21, v3, vcc_lo
	v_cmp_eq_u32_e32 vcc_lo, 5, v7
	s_delay_alu instid0(VALU_DEP_4) | instskip(NEXT) | instid1(VALU_DEP_4)
	v_cndmask_b32_e64 v23, v23, v4, s2
	v_cndmask_b32_e32 v22, v22, v33, vcc_lo
	s_delay_alu instid0(VALU_DEP_4) | instskip(SKIP_1) | instid1(VALU_DEP_4)
	v_cndmask_b32_e64 v21, v21, v42, s2
	v_cmp_eq_u32_e64 s2, 6, v7
	v_cndmask_b32_e32 v23, v23, v17, vcc_lo
	s_delay_alu instid0(VALU_DEP_3) | instskip(SKIP_1) | instid1(VALU_DEP_4)
	v_cndmask_b32_e32 v21, v21, v52, vcc_lo
	v_cmp_eq_u32_e32 vcc_lo, 7, v7
	v_cndmask_b32_e64 v22, v22, v34, s2
	s_delay_alu instid0(VALU_DEP_4) | instskip(NEXT) | instid1(VALU_DEP_4)
	v_cndmask_b32_e64 v23, v23, v18, s2
	v_cndmask_b32_e64 v21, v21, v53, s2
	v_cmp_eq_u32_e64 s2, 8, v7
	s_delay_alu instid0(VALU_DEP_4) | instskip(NEXT) | instid1(VALU_DEP_4)
	v_cndmask_b32_e32 v22, v22, v35, vcc_lo
	v_cndmask_b32_e32 v23, v23, v27, vcc_lo
	s_delay_alu instid0(VALU_DEP_4) | instskip(SKIP_1) | instid1(VALU_DEP_4)
	v_cndmask_b32_e32 v21, v21, v54, vcc_lo
	v_cmp_eq_u32_e32 vcc_lo, 9, v7
	v_cndmask_b32_e64 v22, v22, v36, s2
	s_delay_alu instid0(VALU_DEP_4) | instskip(NEXT) | instid1(VALU_DEP_4)
	v_cndmask_b32_e64 v23, v23, v28, s2
	v_cndmask_b32_e64 v21, v21, v55, s2
	v_cmp_eq_u32_e64 s2, 10, v7
	s_delay_alu instid0(VALU_DEP_4) | instskip(NEXT) | instid1(VALU_DEP_4)
	v_cndmask_b32_e32 v22, v22, v37, vcc_lo
	v_cndmask_b32_e32 v23, v23, v29, vcc_lo
	s_delay_alu instid0(VALU_DEP_4) | instskip(SKIP_1) | instid1(VALU_DEP_4)
	v_cndmask_b32_e32 v21, v21, v56, vcc_lo
	v_cmp_eq_u32_e32 vcc_lo, 11, v7
	v_cndmask_b32_e64 v22, v22, v38, s2
	s_delay_alu instid0(VALU_DEP_4) | instskip(NEXT) | instid1(VALU_DEP_4)
	v_cndmask_b32_e64 v23, v23, v30, s2
	v_cndmask_b32_e64 v21, v21, v57, s2
	v_cmp_gt_u32_e64 s2, 12, v7
	s_delay_alu instid0(VALU_DEP_2) | instskip(NEXT) | instid1(VALU_DEP_1)
	v_dual_cndmask_b32 v22, v22, v41 :: v_dual_cndmask_b32 v21, v21, v58
	v_cndmask_b32_e64 v24, 0, v22, s2
	s_delay_alu instid0(VALU_DEP_2)
	v_cndmask_b32_e64 v21, 0xff800000, v21, s2
	;;#ASMSTART
	v_max_f32 v25, v21, v21 quad_perm:[1,0,3,2] row_mask:0xf bank_mask:0xf bound_ctrl:1
	;;#ASMEND
	;;#ASMSTART
	v_max_f32 v26, v25, v25 quad_perm:[2,3,0,1] row_mask:0xf bank_mask:0xf bound_ctrl:1
	;;#ASMEND
	;;#ASMSTART
	v_max_f32 v25, v26, v26 row_half_mirror row_mask:0xf bank_mask:0xf bound_ctrl:1
	;;#ASMEND
	;;#ASMSTART
	v_max_f32 v26, v25, v25 row_mirror row_mask:0xf bank_mask:0xf bound_ctrl:1
	;;#ASMEND
	v_permlanex16_b32 v25, v26, s9, 0xfedcba98 op_sel:[1,1]
	s_delay_alu instid0(VALU_DEP_1) | instskip(NEXT) | instid1(VALU_DEP_1)
	v_dual_max_f32 v26, v26, v26 :: v_dual_max_f32 v25, v25, v25
	v_max_f32_e32 v25, v26, v25
	s_delay_alu instid0(VALU_DEP_1) | instskip(SKIP_1) | instid1(VALU_DEP_2)
	v_cmp_eq_f32_e64 s3, v21, v25
	v_cndmask_b32_e32 v21, v23, v31, vcc_lo
	s_ctz_i32_b32 s11, s3
	s_cmp_lg_u32 s3, 0
	s_cselect_b32 s3, s11, 0
	s_add_i32 s10, s10, -1
	v_readlane_b32 s3, v24, s3
	s_delay_alu instid0(VALU_DEP_1)
	v_cmp_eq_u32_e32 vcc_lo, s3, v22
	s_and_b32 vcc_lo, s2, vcc_lo
	s_and_b32 s2, s3, 31
	v_cndmask_b32_e32 v21, 0, v21, vcc_lo
	v_add_co_ci_u32_e32 v7, vcc_lo, 0, v7, vcc_lo
	s_cmp_eq_u32 s10, 0
	s_delay_alu instid0(VALU_DEP_2) | instskip(SKIP_2) | instid1(VALU_DEP_3)
	v_readlane_b32 s11, v21, s2
	v_cmp_eq_u32_e64 s2, 0, v20
	v_add_nc_u32_e32 v20, -1, v20
	v_add_f32_e32 v6, s11, v6
	s_delay_alu instid0(VALU_DEP_3)
	v_cndmask_b32_e64 v2, v2, s11, s2
	v_cndmask_b32_e64 v1, v1, s3, s2
	s_cbranch_scc0 .LBB75_137
; %bb.138:
	s_mov_b32 s2, exec_lo
	v_cmpx_gt_i32_e64 s8, v0
	s_cbranch_execz .LBB75_140
.LBB75_139:
	s_load_b32 s2, s[0:1], 0x30
	v_max_f32_e32 v0, v6, v6
	s_load_b64 s[0:1], s[0:1], 0x20
	s_ashr_i32 s3, s15, 31
	s_delay_alu instid0(VALU_DEP_1) | instskip(SKIP_1) | instid1(VALU_DEP_1)
	v_max_f32_e32 v0, 0x1e3ce508, v0
	s_waitcnt lgkmcnt(0)
	v_div_scale_f32 v3, null, v0, v0, s2
	v_div_scale_f32 v6, vcc_lo, s2, v0, s2
	s_mul_i32 s1, s15, s1
	s_delay_alu instid0(VALU_DEP_2)
	v_rcp_f32_e32 v4, v3
	s_mul_hi_u32 s8, s15, s0
	s_mul_i32 s3, s3, s0
	s_add_i32 s1, s8, s1
	s_mul_i32 s0, s15, s0
	s_add_i32 s1, s1, s3
	s_delay_alu instid0(SALU_CYCLE_1) | instskip(SKIP_2) | instid1(VALU_DEP_1)
	s_lshl_b64 s[0:1], s[0:1], 2
	s_waitcnt_depctr 0xfff
	v_fma_f32 v5, -v3, v4, 1.0
	v_fmac_f32_e32 v4, v5, v4
	s_delay_alu instid0(VALU_DEP_1) | instskip(NEXT) | instid1(VALU_DEP_1)
	v_mul_f32_e32 v5, v6, v4
	v_fma_f32 v7, -v3, v5, v6
	s_delay_alu instid0(VALU_DEP_1) | instskip(NEXT) | instid1(VALU_DEP_1)
	v_fmac_f32_e32 v5, v7, v4
	v_fma_f32 v3, -v3, v5, v6
	s_delay_alu instid0(VALU_DEP_1) | instskip(NEXT) | instid1(VALU_DEP_1)
	v_div_fmas_f32 v3, v3, v4, v5
	v_div_fixup_f32 v0, v3, v0, s2
	s_add_u32 s2, s4, s0
	s_addc_u32 s3, s5, s1
	s_add_u32 s0, s6, s0
	s_addc_u32 s1, s7, s1
	v_mul_f32_e32 v0, v2, v0
	s_clause 0x1
	global_store_b32 v183, v0, s[2:3]
	global_store_b32 v183, v1, s[0:1]
.LBB75_140:
	s_endpgm
.LBB75_141:
	v_dual_mov_b32 v1, 0 :: v_dual_mov_b32 v2, 0
	s_mov_b32 s2, exec_lo
	v_cmpx_gt_i32_e64 s8, v0
	s_cbranch_execnz .LBB75_139
	s_branch .LBB75_140
	.section	.rodata,"a",@progbits
	.p2align	6, 0x0
	.amdhsa_kernel _ZN5aiter24topk_softplus_kernel_optIf12hip_bfloat16Li384ELb1ELi1EEEvPKT_PKT0_PfPimiif
		.amdhsa_group_segment_fixed_size 0
		.amdhsa_private_segment_fixed_size 196
		.amdhsa_kernarg_size 52
		.amdhsa_user_sgpr_count 15
		.amdhsa_user_sgpr_dispatch_ptr 0
		.amdhsa_user_sgpr_queue_ptr 0
		.amdhsa_user_sgpr_kernarg_segment_ptr 1
		.amdhsa_user_sgpr_dispatch_id 0
		.amdhsa_user_sgpr_private_segment_size 0
		.amdhsa_wavefront_size32 1
		.amdhsa_uses_dynamic_stack 0
		.amdhsa_enable_private_segment 1
		.amdhsa_system_sgpr_workgroup_id_x 1
		.amdhsa_system_sgpr_workgroup_id_y 0
		.amdhsa_system_sgpr_workgroup_id_z 0
		.amdhsa_system_sgpr_workgroup_info 0
		.amdhsa_system_vgpr_workitem_id 0
		.amdhsa_next_free_vgpr 184
		.amdhsa_next_free_sgpr 16
		.amdhsa_reserve_vcc 1
		.amdhsa_float_round_mode_32 0
		.amdhsa_float_round_mode_16_64 0
		.amdhsa_float_denorm_mode_32 3
		.amdhsa_float_denorm_mode_16_64 3
		.amdhsa_dx10_clamp 1
		.amdhsa_ieee_mode 1
		.amdhsa_fp16_overflow 0
		.amdhsa_workgroup_processor_mode 1
		.amdhsa_memory_ordered 1
		.amdhsa_forward_progress 0
		.amdhsa_shared_vgpr_count 0
		.amdhsa_exception_fp_ieee_invalid_op 0
		.amdhsa_exception_fp_denorm_src 0
		.amdhsa_exception_fp_ieee_div_zero 0
		.amdhsa_exception_fp_ieee_overflow 0
		.amdhsa_exception_fp_ieee_underflow 0
		.amdhsa_exception_fp_ieee_inexact 0
		.amdhsa_exception_int_div_zero 0
	.end_amdhsa_kernel
	.section	.text._ZN5aiter24topk_softplus_kernel_optIf12hip_bfloat16Li384ELb1ELi1EEEvPKT_PKT0_PfPimiif,"axG",@progbits,_ZN5aiter24topk_softplus_kernel_optIf12hip_bfloat16Li384ELb1ELi1EEEvPKT_PKT0_PfPimiif,comdat
.Lfunc_end75:
	.size	_ZN5aiter24topk_softplus_kernel_optIf12hip_bfloat16Li384ELb1ELi1EEEvPKT_PKT0_PfPimiif, .Lfunc_end75-_ZN5aiter24topk_softplus_kernel_optIf12hip_bfloat16Li384ELb1ELi1EEEvPKT_PKT0_PfPimiif
                                        ; -- End function
	.section	.AMDGPU.csdata,"",@progbits
; Kernel info:
; codeLenInByte = 28036
; NumSgprs: 18
; NumVgprs: 184
; ScratchSize: 196
; MemoryBound: 0
; FloatMode: 240
; IeeeMode: 1
; LDSByteSize: 0 bytes/workgroup (compile time only)
; SGPRBlocks: 2
; VGPRBlocks: 22
; NumSGPRsForWavesPerEU: 18
; NumVGPRsForWavesPerEU: 184
; Occupancy: 8
; WaveLimiterHint : 0
; COMPUTE_PGM_RSRC2:SCRATCH_EN: 1
; COMPUTE_PGM_RSRC2:USER_SGPR: 15
; COMPUTE_PGM_RSRC2:TRAP_HANDLER: 0
; COMPUTE_PGM_RSRC2:TGID_X_EN: 1
; COMPUTE_PGM_RSRC2:TGID_Y_EN: 0
; COMPUTE_PGM_RSRC2:TGID_Z_EN: 0
; COMPUTE_PGM_RSRC2:TIDIG_COMP_CNT: 0
	.section	.text._ZN5aiter24topk_softplus_kernel_optIf12hip_bfloat16Li384ELb0ELi1EEEvPKT_PKT0_PfPimiif,"axG",@progbits,_ZN5aiter24topk_softplus_kernel_optIf12hip_bfloat16Li384ELb0ELi1EEEvPKT_PKT0_PfPimiif,comdat
	.protected	_ZN5aiter24topk_softplus_kernel_optIf12hip_bfloat16Li384ELb0ELi1EEEvPKT_PKT0_PfPimiif ; -- Begin function _ZN5aiter24topk_softplus_kernel_optIf12hip_bfloat16Li384ELb0ELi1EEEvPKT_PKT0_PfPimiif
	.globl	_ZN5aiter24topk_softplus_kernel_optIf12hip_bfloat16Li384ELb0ELi1EEEvPKT_PKT0_PfPimiif
	.p2align	8
	.type	_ZN5aiter24topk_softplus_kernel_optIf12hip_bfloat16Li384ELb0ELi1EEEvPKT_PKT0_PfPimiif,@function
_ZN5aiter24topk_softplus_kernel_optIf12hip_bfloat16Li384ELb0ELi1EEEvPKT_PKT0_PfPimiif: ; @_ZN5aiter24topk_softplus_kernel_optIf12hip_bfloat16Li384ELb0ELi1EEEvPKT_PKT0_PfPimiif
; %bb.0:
	s_load_b128 s[4:7], s[0:1], 0x0
	s_mul_i32 s2, s15, 0x180
	v_lshlrev_b32_e32 v183, 2, v0
	s_ashr_i32 s3, s2, 31
	v_lshlrev_b32_e32 v3, 1, v0
	s_lshl_b64 s[2:3], s[2:3], 2
	s_waitcnt lgkmcnt(0)
	s_add_u32 s4, s4, s2
	s_addc_u32 s5, s5, s3
	s_cmp_lg_u64 s[6:7], 0
	global_load_b32 v1, v183, s[4:5]
	s_cselect_b32 s2, -1, 0
	s_waitcnt vmcnt(0)
	v_mul_f32_e32 v2, 0xbfb8aa3b, v1
	s_delay_alu instid0(VALU_DEP_1) | instskip(SKIP_1) | instid1(VALU_DEP_1)
	v_cmp_gt_f32_e32 vcc_lo, 0xc2fc0000, v2
	v_cndmask_b32_e64 v2, 0, 0x42800000, vcc_lo
	v_fmac_f32_e32 v2, 0xbfb8aa3b, v1
	s_delay_alu instid0(VALU_DEP_1) | instskip(SKIP_4) | instid1(VALU_DEP_1)
	v_exp_f32_e32 v1, v2
	v_cndmask_b32_e64 v2, 1.0, 0x1f800000, vcc_lo
	s_and_b32 vcc_lo, exec_lo, s2
	s_waitcnt_depctr 0xfff
	v_fma_f32 v1, v1, v2, 1.0
	v_rcp_f32_e32 v37, v1
	v_add_co_u32 v1, s3, s4, v183
	s_delay_alu instid0(VALU_DEP_1)
	v_add_co_ci_u32_e64 v2, null, s5, 0, s3
	s_waitcnt_depctr 0xfff
	v_mov_b32_e32 v48, v37
	s_cbranch_vccz .LBB76_2
; %bb.1:
	global_load_u16 v4, v3, s[6:7]
	s_waitcnt vmcnt(0)
	v_lshlrev_b32_e32 v4, 16, v4
	s_delay_alu instid0(VALU_DEP_1)
	v_add_f32_e32 v48, v37, v4
.LBB76_2:
	global_load_b32 v4, v[1:2], off offset:128
	s_waitcnt vmcnt(0)
	v_mul_f32_e32 v5, 0xbfb8aa3b, v4
	s_delay_alu instid0(VALU_DEP_1) | instskip(SKIP_3) | instid1(VALU_DEP_2)
	v_cmp_gt_f32_e32 vcc_lo, 0xc2fc0000, v5
	v_cndmask_b32_e64 v6, 0, 0x42800000, vcc_lo
	v_cndmask_b32_e64 v5, 1.0, 0x1f800000, vcc_lo
	s_and_not1_b32 vcc_lo, exec_lo, s2
	v_fmac_f32_e32 v6, 0xbfb8aa3b, v4
	s_delay_alu instid0(VALU_DEP_1) | instskip(SKIP_2) | instid1(VALU_DEP_1)
	v_exp_f32_e32 v4, v6
	s_waitcnt_depctr 0xfff
	v_fma_f32 v4, v4, v5, 1.0
	v_rcp_f32_e32 v14, v4
	v_cndmask_b32_e64 v4, 0, 1, s2
	s_waitcnt_depctr 0xfff
	v_mov_b32_e32 v49, v14
	s_cbranch_vccnz .LBB76_4
; %bb.3:
	global_load_u16 v5, v3, s[6:7] offset:64
	s_waitcnt vmcnt(0)
	v_lshlrev_b32_e32 v5, 16, v5
	s_delay_alu instid0(VALU_DEP_1)
	v_add_f32_e32 v49, v14, v5
.LBB76_4:
	global_load_b32 v5, v[1:2], off offset:256
	s_waitcnt vmcnt(0)
	v_mul_f32_e32 v6, 0xbfb8aa3b, v5
	s_delay_alu instid0(VALU_DEP_1) | instskip(SKIP_3) | instid1(VALU_DEP_3)
	v_cmp_gt_f32_e32 vcc_lo, 0xc2fc0000, v6
	v_cndmask_b32_e64 v7, 0, 0x42800000, vcc_lo
	v_cndmask_b32_e64 v6, 1.0, 0x1f800000, vcc_lo
	v_cmp_ne_u32_e32 vcc_lo, 1, v4
	v_fmac_f32_e32 v7, 0xbfb8aa3b, v5
	s_and_b32 vcc_lo, exec_lo, vcc_lo
	s_delay_alu instid0(VALU_DEP_1) | instskip(SKIP_2) | instid1(VALU_DEP_1)
	v_exp_f32_e32 v5, v7
	s_waitcnt_depctr 0xfff
	v_fma_f32 v5, v5, v6, 1.0
	v_rcp_f32_e32 v15, v5
	s_waitcnt_depctr 0xfff
	v_mov_b32_e32 v50, v15
	s_cbranch_vccnz .LBB76_6
; %bb.5:
	global_load_u16 v5, v3, s[6:7] offset:128
	s_waitcnt vmcnt(0)
	v_lshlrev_b32_e32 v5, 16, v5
	s_delay_alu instid0(VALU_DEP_1)
	v_add_f32_e32 v50, v15, v5
.LBB76_6:
	global_load_b32 v5, v[1:2], off offset:384
	s_waitcnt vmcnt(0)
	v_mul_f32_e32 v6, 0xbfb8aa3b, v5
	s_delay_alu instid0(VALU_DEP_1) | instskip(SKIP_3) | instid1(VALU_DEP_3)
	v_cmp_gt_f32_e32 vcc_lo, 0xc2fc0000, v6
	v_cndmask_b32_e64 v7, 0, 0x42800000, vcc_lo
	v_cndmask_b32_e64 v6, 1.0, 0x1f800000, vcc_lo
	v_cmp_ne_u32_e32 vcc_lo, 1, v4
	v_fmac_f32_e32 v7, 0xbfb8aa3b, v5
	s_and_b32 vcc_lo, exec_lo, vcc_lo
	s_delay_alu instid0(VALU_DEP_1) | instskip(SKIP_2) | instid1(VALU_DEP_1)
	v_exp_f32_e32 v5, v7
	s_waitcnt_depctr 0xfff
	v_fma_f32 v5, v5, v6, 1.0
	v_rcp_f32_e32 v16, v5
	;; [unrolled: 25-line block ×9, first 2 shown]
	s_waitcnt_depctr 0xfff
	v_mov_b32_e32 v58, v23
	s_cbranch_vccnz .LBB76_22
; %bb.21:
	global_load_u16 v5, v3, s[6:7] offset:640
	s_waitcnt vmcnt(0)
	v_lshlrev_b32_e32 v5, 16, v5
	s_delay_alu instid0(VALU_DEP_1)
	v_add_f32_e32 v58, v23, v5
.LBB76_22:
	global_load_b32 v1, v[1:2], off offset:1408
	s_waitcnt vmcnt(0)
	v_mul_f32_e32 v2, 0xbfb8aa3b, v1
	s_delay_alu instid0(VALU_DEP_1) | instskip(SKIP_3) | instid1(VALU_DEP_3)
	v_cmp_gt_f32_e32 vcc_lo, 0xc2fc0000, v2
	v_cndmask_b32_e64 v5, 0, 0x42800000, vcc_lo
	v_cndmask_b32_e64 v2, 1.0, 0x1f800000, vcc_lo
	v_cmp_ne_u32_e32 vcc_lo, 1, v4
	v_fmac_f32_e32 v5, 0xbfb8aa3b, v1
	s_delay_alu instid0(VALU_DEP_1) | instskip(SKIP_2) | instid1(VALU_DEP_1)
	v_exp_f32_e32 v1, v5
	s_waitcnt_depctr 0xfff
	v_fma_f32 v1, v1, v2, 1.0
	v_rcp_f32_e32 v24, v1
	s_cbranch_vccnz .LBB76_24
; %bb.23:
	global_load_u16 v1, v3, s[6:7] offset:704
	s_waitcnt vmcnt(0)
	v_lshlrev_b32_e32 v1, 16, v1
	s_delay_alu instid0(VALU_DEP_1)
	v_add_f32_e32 v59, v24, v1
	s_branch .LBB76_25
.LBB76_24:
	s_waitcnt_depctr 0xfff
	v_mov_b32_e32 v59, v24
.LBB76_25:
	v_dual_mov_b32 v1, v48 :: v_dual_add_nc_u32 v26, 32, v0
	v_dual_mov_b32 v2, v49 :: v_dual_add_nc_u32 v27, 64, v0
	;; [unrolled: 1-line block ×11, first 2 shown]
	v_dual_mov_b32 v12, v59 :: v_dual_mov_b32 v13, v37
	v_mov_b32_e32 v25, v0
	s_mov_b32 s2, exec_lo
	v_cmpx_lt_f32_e32 v48, v49
	s_xor_b32 s2, exec_lo, s2
; %bb.26:
	v_dual_mov_b32 v1, v49 :: v_dual_mov_b32 v2, v48
	v_dual_mov_b32 v3, v50 :: v_dual_mov_b32 v4, v51
	;; [unrolled: 1-line block ×6, first 2 shown]
	v_mov_b32_e32 v49, v48
	v_dual_mov_b32 v13, v14 :: v_dual_mov_b32 v14, v37
	v_dual_mov_b32 v25, v26 :: v_dual_mov_b32 v26, v0
; %bb.27:
	s_or_b32 exec_lo, exec_lo, s2
	v_dual_mov_b32 v122, v24 :: v_dual_mov_b32 v119, v21
	v_dual_mov_b32 v86, v24 :: v_dual_mov_b32 v85, v23
	;; [unrolled: 1-line block ×37, first 2 shown]
	s_clause 0x8
	scratch_store_b128 off, v[13:16], off
	scratch_store_b128 off, v[17:20], off offset:16
	scratch_store_b128 off, v[21:24], off offset:32
	;; [unrolled: 1-line block ×8, first 2 shown]
	v_dual_mov_b32 v72, v34 :: v_dual_mov_b32 v69, v31
	v_dual_mov_b32 v70, v32 :: v_dual_mov_b32 v67, v29
	;; [unrolled: 1-line block ×29, first 2 shown]
	v_mov_b32_e32 v160, v26
	s_clause 0x2
	scratch_store_b128 off, v[25:28], off offset:144
	scratch_store_b128 off, v[29:32], off offset:160
	;; [unrolled: 1-line block ×3, first 2 shown]
	s_mov_b32 s2, exec_lo
	v_dual_mov_b32 v182, v36 :: v_dual_mov_b32 v179, v33
	v_dual_mov_b32 v181, v35 :: v_dual_mov_b32 v180, v34
	;; [unrolled: 1-line block ×6, first 2 shown]
	v_cmpx_lt_f32_e32 v49, v3
	s_cbranch_execz .LBB76_29
; %bb.28:
	v_dual_mov_b32 v182, v36 :: v_dual_mov_b32 v179, v33
	v_dual_mov_b32 v174, v28 :: v_dual_mov_b32 v171, v25
	;; [unrolled: 1-line block ×3, first 2 shown]
	v_mov_b32_e32 v172, v26
	v_dual_mov_b32 v62, v49 :: v_dual_mov_b32 v181, v35
	v_dual_mov_b32 v180, v34 :: v_dual_mov_b32 v177, v31
	;; [unrolled: 1-line block ×11, first 2 shown]
	v_mov_b32_e32 v125, v14
	v_dual_mov_b32 v162, v174 :: v_dual_mov_b32 v163, v175
	v_dual_mov_b32 v164, v176 :: v_dual_mov_b32 v165, v177
	;; [unrolled: 1-line block ×5, first 2 shown]
	v_mov_b32_e32 v162, v28
	v_dual_mov_b32 v170, v182 :: v_dual_mov_b32 v37, v159
	s_clause 0x2
	scratch_store_b128 off, v[123:126], off offset:96
	scratch_store_b128 off, v[127:130], off offset:112
	;; [unrolled: 1-line block ×3, first 2 shown]
	v_dual_mov_b32 v42, v164 :: v_dual_mov_b32 v47, v169
	v_dual_mov_b32 v126, v16 :: v_dual_mov_b32 v45, v167
	;; [unrolled: 1-line block ×5, first 2 shown]
	v_mov_b32_e32 v38, v160
	v_mov_b32_e32 v40, v162
	s_clause 0x2
	scratch_store_b128 off, v[37:40], off offset:144
	scratch_store_b128 off, v[41:44], off offset:160
	;; [unrolled: 1-line block ×3, first 2 shown]
	v_dual_mov_b32 v2, v3 :: v_dual_mov_b32 v3, v49
	v_mov_b32_e32 v147, v159
	v_mov_b32_e32 v127, v17
	;; [unrolled: 1-line block ×3, first 2 shown]
	v_dual_mov_b32 v151, v163 :: v_dual_mov_b32 v148, v160
	v_dual_mov_b32 v153, v165 :: v_dual_mov_b32 v152, v164
	;; [unrolled: 1-line block ×3, first 2 shown]
	v_mov_b32_e32 v158, v170
	v_dual_mov_b32 v150, v162 :: v_dual_mov_b32 v155, v167
	v_mov_b32_e32 v156, v168
	v_mov_b32_e32 v152, v30
	;; [unrolled: 1-line block ×3, first 2 shown]
	v_dual_mov_b32 v27, v26 :: v_dual_mov_b32 v42, v128
	v_mov_b32_e32 v37, v123
	v_dual_mov_b32 v43, v129 :: v_dual_mov_b32 v44, v130
	v_mov_b32_e32 v39, v125
	v_dual_mov_b32 v45, v131 :: v_dual_mov_b32 v46, v132
	v_dual_mov_b32 v47, v133 :: v_dual_mov_b32 v48, v134
	v_mov_b32_e32 v38, v124
	v_mov_b32_e32 v40, v126
	s_clause 0x2
	scratch_store_b128 off, v[37:40], off offset:48
	scratch_store_b128 off, v[41:44], off offset:64
	;; [unrolled: 1-line block ×3, first 2 shown]
	v_mov_b32_e32 v37, v123
	v_mov_b32_e32 v39, v125
	v_dual_mov_b32 v41, v127 :: v_dual_mov_b32 v38, v124
	v_mov_b32_e32 v99, v147
	v_mov_b32_e32 v105, v153
	v_dual_mov_b32 v105, v31 :: v_dual_mov_b32 v106, v154
	v_dual_mov_b32 v40, v126 :: v_dual_mov_b32 v101, v149
	;; [unrolled: 1-line block ×3, first 2 shown]
	v_mov_b32_e32 v110, v158
	v_mov_b32_e32 v50, v123
	v_dual_mov_b32 v100, v148 :: v_dual_mov_b32 v107, v155
	v_dual_mov_b32 v102, v150 :: v_dual_mov_b32 v109, v157
	;; [unrolled: 1-line block ×7, first 2 shown]
	v_mov_b32_e32 v58, v131
	v_mov_b32_e32 v56, v19
	s_clause 0x2
	scratch_store_b128 off, v[37:40], off
	scratch_store_b128 off, v[41:44], off offset:16
	scratch_store_b128 off, v[45:48], off offset:32
	v_dual_mov_b32 v60, v133 :: v_dual_mov_b32 v55, v128
	v_mov_b32_e32 v37, v99
	v_mov_b32_e32 v41, v103
	v_mov_b32_e32 v39, v101
	v_dual_mov_b32 v43, v105 :: v_dual_mov_b32 v48, v110
	v_dual_mov_b32 v38, v100 :: v_dual_mov_b32 v45, v107
	v_mov_b32_e32 v44, v106
	v_dual_mov_b32 v122, v61 :: v_dual_mov_b32 v113, v52
	v_dual_mov_b32 v40, v102 :: v_dual_mov_b32 v47, v109
	;; [unrolled: 1-line block ×7, first 2 shown]
	v_mov_b32_e32 v114, v53
	v_mov_b32_e32 v116, v55
	v_mov_b32_e32 v112, v51
	v_mov_b32_e32 v118, v20
	v_dual_mov_b32 v98, v48 :: v_dual_mov_b32 v95, v45
	v_mov_b32_e32 v95, v33
	v_mov_b32_e32 v93, v43
	;; [unrolled: 1-line block ×4, first 2 shown]
	v_dual_mov_b32 v87, v37 :: v_dual_mov_b32 v146, v122
	v_dual_mov_b32 v137, v113 :: v_dual_mov_b32 v96, v46
	;; [unrolled: 1-line block ×3, first 2 shown]
	v_mov_b32_e32 v135, v111
	v_dual_mov_b32 v97, v47 :: v_dual_mov_b32 v94, v44
	v_dual_mov_b32 v92, v42 :: v_dual_mov_b32 v143, v119
	;; [unrolled: 1-line block ×4, first 2 shown]
	v_mov_b32_e32 v138, v114
	v_dual_mov_b32 v142, v118 :: v_dual_mov_b32 v143, v21
	v_dual_mov_b32 v140, v116 :: v_dual_mov_b32 v63, v87
	;; [unrolled: 1-line block ×8, first 2 shown]
	v_mov_b32_e32 v86, v146
	v_dual_mov_b32 v64, v88 :: v_dual_mov_b32 v69, v93
	v_dual_mov_b32 v66, v90 :: v_dual_mov_b32 v71, v95
	;; [unrolled: 1-line block ×7, first 2 shown]
	v_mov_b32_e32 v82, v142
	v_mov_b32_e32 v84, v22
	;; [unrolled: 1-line block ×3, first 2 shown]
.LBB76_29:
	s_or_b32 exec_lo, exec_lo, s2
	v_mov_b32_e32 v13, v4
	s_mov_b32 s2, exec_lo
	v_cmpx_lt_f32_e32 v62, v4
	s_cbranch_execz .LBB76_31
; %bb.30:
	s_clause 0x2
	scratch_load_b128 v[37:40], off, off offset:96
	scratch_load_b128 v[41:44], off, off offset:112
	;; [unrolled: 1-line block ×3, first 2 shown]
	v_dual_mov_b32 v173, v28 :: v_dual_mov_b32 v28, v27
	v_mov_b32_e32 v3, v4
	s_waitcnt vmcnt(0)
	v_dual_mov_b32 v13, v62 :: v_dual_mov_b32 v134, v48
	v_dual_mov_b32 v133, v47 :: v_dual_mov_b32 v124, v38
	;; [unrolled: 1-line block ×3, first 2 shown]
	v_mov_b32_e32 v125, v16
	v_dual_mov_b32 v159, v171 :: v_dual_mov_b32 v160, v172
	s_delay_alu instid0(VALU_DEP_3) | instskip(NEXT) | instid1(VALU_DEP_3)
	v_dual_mov_b32 v162, v174 :: v_dual_mov_b32 v37, v123
	v_dual_mov_b32 v38, v124 :: v_dual_mov_b32 v39, v125
	;; [unrolled: 1-line block ×5, first 2 shown]
	v_mov_b32_e32 v126, v15
	s_clause 0x2
	scratch_store_b128 off, v[37:40], off offset:96
	scratch_store_b128 off, v[41:44], off offset:112
	;; [unrolled: 1-line block ×3, first 2 shown]
	v_dual_mov_b32 v161, v173 :: v_dual_mov_b32 v164, v176
	v_dual_mov_b32 v167, v179 :: v_dual_mov_b32 v170, v182
	;; [unrolled: 1-line block ×5, first 2 shown]
	s_delay_alu instid0(VALU_DEP_2) | instskip(SKIP_2) | instid1(VALU_DEP_4)
	v_dual_mov_b32 v42, v164 :: v_dual_mov_b32 v43, v165
	v_dual_mov_b32 v48, v170 :: v_dual_mov_b32 v37, v159
	;; [unrolled: 1-line block ×6, first 2 shown]
	s_clause 0x2
	scratch_store_b128 off, v[37:40], off offset:144
	scratch_store_b128 off, v[41:44], off offset:160
	;; [unrolled: 1-line block ×3, first 2 shown]
	v_dual_mov_b32 v42, v128 :: v_dual_mov_b32 v43, v129
	v_dual_mov_b32 v48, v134 :: v_dual_mov_b32 v37, v123
	;; [unrolled: 1-line block ×6, first 2 shown]
	s_clause 0x2
	scratch_store_b128 off, v[37:40], off offset:48
	scratch_store_b128 off, v[41:44], off offset:64
	;; [unrolled: 1-line block ×3, first 2 shown]
	v_dual_mov_b32 v147, v159 :: v_dual_mov_b32 v148, v160
	v_dual_mov_b32 v151, v163 :: v_dual_mov_b32 v152, v164
	;; [unrolled: 1-line block ×10, first 2 shown]
	s_delay_alu instid0(VALU_DEP_4)
	v_dual_mov_b32 v106, v154 :: v_dual_mov_b32 v107, v155
	v_mov_b32_e32 v110, v158
	v_dual_mov_b32 v100, v148 :: v_dual_mov_b32 v101, v149
	v_dual_mov_b32 v104, v152 :: v_dual_mov_b32 v105, v153
	;; [unrolled: 1-line block ×5, first 2 shown]
	v_mov_b32_e32 v61, v134
	s_clause 0x2
	scratch_store_b128 off, v[37:40], off
	scratch_store_b128 off, v[41:44], off offset:16
	scratch_store_b128 off, v[45:48], off offset:32
	v_dual_mov_b32 v54, v127 :: v_dual_mov_b32 v55, v128
	v_dual_mov_b32 v56, v129 :: v_dual_mov_b32 v57, v130
	;; [unrolled: 1-line block ×8, first 2 shown]
	v_mov_b32_e32 v48, v110
	v_mov_b32_e32 v44, v32
	v_dual_mov_b32 v42, v104 :: v_dual_mov_b32 v43, v105
	v_dual_mov_b32 v46, v108 :: v_dual_mov_b32 v47, v109
	;; [unrolled: 1-line block ×9, first 2 shown]
	v_mov_b32_e32 v114, v53
	v_mov_b32_e32 v112, v51
	v_dual_mov_b32 v98, v48 :: v_dual_mov_b32 v91, v41
	v_dual_mov_b32 v94, v44 :: v_dual_mov_b32 v87, v37
	;; [unrolled: 1-line block ×3, first 2 shown]
	v_mov_b32_e32 v89, v39
	v_mov_b32_e32 v95, v45
	v_dual_mov_b32 v93, v43 :: v_dual_mov_b32 v146, v122
	v_dual_mov_b32 v143, v119 :: v_dual_mov_b32 v140, v116
	;; [unrolled: 1-line block ×15, first 2 shown]
	v_mov_b32_e32 v86, v146
	v_dual_mov_b32 v64, v88 :: v_dual_mov_b32 v65, v89
	v_dual_mov_b32 v66, v90 :: v_dual_mov_b32 v67, v91
	;; [unrolled: 1-line block ×8, first 2 shown]
	v_mov_b32_e32 v84, v22
	v_mov_b32_e32 v86, v24
.LBB76_31:
	s_or_b32 exec_lo, exec_lo, s2
	v_mov_b32_e32 v14, v5
	s_mov_b32 s2, exec_lo
	v_cmpx_lt_f32_e32 v13, v5
	s_cbranch_execz .LBB76_33
; %bb.32:
	s_clause 0x2
	scratch_load_b128 v[37:40], off, off offset:96
	scratch_load_b128 v[41:44], off, off offset:112
	;; [unrolled: 1-line block ×3, first 2 shown]
	v_mov_b32_e32 v174, v29
	v_mov_b32_e32 v14, v13
	;; [unrolled: 1-line block ×3, first 2 shown]
	v_dual_mov_b32 v17, v16 :: v_dual_mov_b32 v4, v5
	v_mov_b32_e32 v29, v28
	s_waitcnt vmcnt(0)
	v_dual_mov_b32 v73, v48 :: v_dual_mov_b32 v64, v39
	v_dual_mov_b32 v70, v45 :: v_dual_mov_b32 v69, v44
	;; [unrolled: 1-line block ×18, first 2 shown]
	v_mov_b32_e32 v127, v16
	v_dual_mov_b32 v147, v159 :: v_dual_mov_b32 v148, v160
	v_dual_mov_b32 v149, v161 :: v_dual_mov_b32 v152, v164
	;; [unrolled: 1-line block ×19, first 2 shown]
	v_mov_b32_e32 v61, v134
	s_clause 0x2
	scratch_store_b128 off, v[37:40], off
	scratch_store_b128 off, v[41:44], off offset:16
	scratch_store_b128 off, v[45:48], off offset:32
	v_dual_mov_b32 v53, v126 :: v_dual_mov_b32 v54, v127
	v_dual_mov_b32 v101, v149 :: v_dual_mov_b32 v102, v150
	v_dual_mov_b32 v55, v128 :: v_dual_mov_b32 v56, v129
	v_dual_mov_b32 v57, v130 :: v_dual_mov_b32 v58, v131
	v_dual_mov_b32 v59, v132 :: v_dual_mov_b32 v60, v133
	v_dual_mov_b32 v37, v99 :: v_dual_mov_b32 v38, v100
	v_dual_mov_b32 v51, v124 :: v_dual_mov_b32 v52, v125
	v_dual_mov_b32 v56, v19 :: v_dual_mov_b32 v47, v109
	v_dual_mov_b32 v48, v110 :: v_dual_mov_b32 v41, v103
	v_dual_mov_b32 v42, v104 :: v_dual_mov_b32 v45, v107
	v_mov_b32_e32 v46, v108
	v_dual_mov_b32 v122, v61 :: v_dual_mov_b32 v121, v60
	v_dual_mov_b32 v43, v105 :: v_dual_mov_b32 v44, v106
	;; [unrolled: 1-line block ×8, first 2 shown]
	v_mov_b32_e32 v112, v51
	v_mov_b32_e32 v118, v20
	v_dual_mov_b32 v98, v48 :: v_dual_mov_b32 v93, v43
	v_dual_mov_b32 v92, v42 :: v_dual_mov_b32 v87, v37
	v_mov_b32_e32 v97, v47
	v_dual_mov_b32 v95, v45 :: v_dual_mov_b32 v146, v122
	v_dual_mov_b32 v143, v119 :: v_dual_mov_b32 v138, v114
	;; [unrolled: 1-line block ×7, first 2 shown]
	v_mov_b32_e32 v89, v39
	s_clause 0x5
	scratch_store_b128 off, v[62:65], off offset:48
	scratch_store_b128 off, v[66:69], off offset:64
	scratch_store_b128 off, v[70:73], off offset:80
	scratch_store_b128 off, v[171:174], off offset:144
	scratch_store_b128 off, v[175:178], off offset:160
	scratch_store_b128 off, v[179:182], off offset:176
	v_dual_mov_b32 v142, v118 :: v_dual_mov_b32 v139, v115
	v_dual_mov_b32 v140, v116 :: v_dual_mov_b32 v137, v113
	;; [unrolled: 1-line block ×17, first 2 shown]
	v_mov_b32_e32 v84, v22
	v_mov_b32_e32 v86, v24
.LBB76_33:
	s_or_b32 exec_lo, exec_lo, s2
	v_mov_b32_e32 v13, v6
	s_mov_b32 s2, exec_lo
	v_cmpx_lt_f32_e32 v14, v6
	s_cbranch_execz .LBB76_35
; %bb.34:
	s_clause 0x2
	scratch_load_b128 v[37:40], off, off offset:144
	scratch_load_b128 v[41:44], off, off offset:160
	;; [unrolled: 1-line block ×3, first 2 shown]
	v_mov_b32_e32 v5, v6
	s_waitcnt vmcnt(0)
	v_dual_mov_b32 v13, v14 :: v_dual_mov_b32 v170, v48
	v_dual_mov_b32 v169, v47 :: v_dual_mov_b32 v162, v40
	v_dual_mov_b32 v159, v37 :: v_dual_mov_b32 v168, v46
	v_dual_mov_b32 v167, v45 :: v_dual_mov_b32 v166, v44
	v_dual_mov_b32 v165, v43 :: v_dual_mov_b32 v164, v42
	v_dual_mov_b32 v161, v39 :: v_dual_mov_b32 v160, v38
	s_clause 0x2
	scratch_load_b128 v[37:40], off, off offset:48
	scratch_load_b128 v[41:44], off, off offset:64
	;; [unrolled: 1-line block ×3, first 2 shown]
	v_dual_mov_b32 v163, v30 :: v_dual_mov_b32 v30, v29
	s_waitcnt vmcnt(0)
	v_dual_mov_b32 v73, v48 :: v_dual_mov_b32 v72, v47
	v_dual_mov_b32 v65, v40 :: v_dual_mov_b32 v62, v37
	v_mov_b32_e32 v63, v38
	v_dual_mov_b32 v67, v42 :: v_dual_mov_b32 v64, v39
	v_dual_mov_b32 v71, v46 :: v_dual_mov_b32 v70, v45
	;; [unrolled: 1-line block ×4, first 2 shown]
	v_mov_b32_e32 v148, v160
	v_dual_mov_b32 v134, v73 :: v_dual_mov_b32 v133, v72
	v_dual_mov_b32 v124, v63 :: v_dual_mov_b32 v123, v62
	;; [unrolled: 1-line block ×11, first 2 shown]
	v_mov_b32_e32 v128, v17
	v_mov_b32_e32 v152, v29
	v_dual_mov_b32 v50, v123 :: v_dual_mov_b32 v51, v124
	v_mov_b32_e32 v99, v147
	s_delay_alu instid0(VALU_DEP_3)
	v_dual_mov_b32 v53, v126 :: v_dual_mov_b32 v104, v152
	v_dual_mov_b32 v105, v153 :: v_dual_mov_b32 v100, v148
	;; [unrolled: 1-line block ×7, first 2 shown]
	v_mov_b32_e32 v57, v130
	v_dual_mov_b32 v102, v150 :: v_dual_mov_b32 v103, v151
	v_dual_mov_b32 v108, v156 :: v_dual_mov_b32 v109, v157
	;; [unrolled: 1-line block ×3, first 2 shown]
	v_mov_b32_e32 v58, v131
	v_mov_b32_e32 v56, v19
	v_dual_mov_b32 v37, v99 :: v_dual_mov_b32 v38, v100
	v_mov_b32_e32 v39, v101
	v_dual_mov_b32 v43, v105 :: v_dual_mov_b32 v48, v110
	s_delay_alu instid0(VALU_DEP_4)
	v_dual_mov_b32 v122, v61 :: v_dual_mov_b32 v117, v56
	v_dual_mov_b32 v42, v104 :: v_dual_mov_b32 v45, v107
	;; [unrolled: 1-line block ×9, first 2 shown]
	v_mov_b32_e32 v118, v20
	v_mov_b32_e32 v44, v32
	;; [unrolled: 1-line block ×3, first 2 shown]
	v_dual_mov_b32 v98, v48 :: v_dual_mov_b32 v95, v45
	v_dual_mov_b32 v146, v122 :: v_dual_mov_b32 v145, v121
	s_delay_alu instid0(VALU_DEP_4)
	v_dual_mov_b32 v94, v44 :: v_dual_mov_b32 v87, v37
	v_dual_mov_b32 v97, v47 :: v_dual_mov_b32 v144, v120
	;; [unrolled: 1-line block ×5, first 2 shown]
	v_mov_b32_e32 v93, v43
	v_dual_mov_b32 v91, v41 :: v_dual_mov_b32 v90, v40
	v_dual_mov_b32 v141, v117 :: v_dual_mov_b32 v88, v38
	;; [unrolled: 1-line block ×6, first 2 shown]
	s_clause 0x2
	scratch_store_b128 off, v[62:65], off
	scratch_store_b128 off, v[66:69], off offset:16
	scratch_store_b128 off, v[70:73], off offset:32
	v_dual_mov_b32 v63, v87 :: v_dual_mov_b32 v74, v98
	v_dual_mov_b32 v75, v135 :: v_dual_mov_b32 v72, v96
	;; [unrolled: 1-line block ×14, first 2 shown]
	v_mov_b32_e32 v84, v22
	v_mov_b32_e32 v86, v24
	;; [unrolled: 1-line block ×3, first 2 shown]
.LBB76_35:
	s_or_b32 exec_lo, exec_lo, s2
	v_mov_b32_e32 v14, v7
	s_mov_b32 s2, exec_lo
	v_cmpx_lt_f32_e32 v13, v7
	s_cbranch_execz .LBB76_37
; %bb.36:
	s_clause 0x2
	scratch_load_b128 v[37:40], off, off
	scratch_load_b128 v[41:44], off, off offset:16
	scratch_load_b128 v[45:48], off, off offset:32
	v_mov_b32_e32 v164, v31
	v_dual_mov_b32 v14, v13 :: v_dual_mov_b32 v31, v30
	s_waitcnt vmcnt(0)
	v_dual_mov_b32 v134, v48 :: v_dual_mov_b32 v133, v47
	v_dual_mov_b32 v130, v44 :: v_dual_mov_b32 v127, v41
	;; [unrolled: 1-line block ×5, first 2 shown]
	v_mov_b32_e32 v125, v39
	v_dual_mov_b32 v99, v159 :: v_dual_mov_b32 v100, v160
	v_dual_mov_b32 v128, v19 :: v_dual_mov_b32 v101, v161
	v_mov_b32_e32 v110, v170
	v_dual_mov_b32 v50, v123 :: v_dual_mov_b32 v53, v126
	v_dual_mov_b32 v106, v166 :: v_dual_mov_b32 v107, v167
	;; [unrolled: 1-line block ×19, first 2 shown]
	v_mov_b32_e32 v47, v109
	v_dual_mov_b32 v114, v53 :: v_dual_mov_b32 v111, v50
	v_mov_b32_e32 v118, v20
	v_dual_mov_b32 v120, v59 :: v_dual_mov_b32 v117, v56
	v_dual_mov_b32 v116, v55 :: v_dual_mov_b32 v113, v52
	v_mov_b32_e32 v44, v32
	v_mov_b32_e32 v112, v51
	v_dual_mov_b32 v98, v48 :: v_dual_mov_b32 v95, v45
	v_dual_mov_b32 v146, v122 :: v_dual_mov_b32 v145, v121
	;; [unrolled: 1-line block ×8, first 2 shown]
	v_mov_b32_e32 v89, v39
	v_dual_mov_b32 v93, v43 :: v_dual_mov_b32 v88, v38
	v_dual_mov_b32 v141, v117 :: v_dual_mov_b32 v140, v116
	v_mov_b32_e32 v95, v33
	v_dual_mov_b32 v139, v115 :: v_dual_mov_b32 v138, v114
	v_dual_mov_b32 v143, v21 :: v_dual_mov_b32 v136, v112
	;; [unrolled: 1-line block ×24, first 2 shown]
	v_mov_b32_e32 v158, v170
.LBB76_37:
	s_or_b32 exec_lo, exec_lo, s2
	v_mov_b32_e32 v13, v8
	s_mov_b32 s2, exec_lo
	v_cmpx_lt_f32_e32 v14, v8
	s_cbranch_execz .LBB76_39
; %bb.38:
	v_mov_b32_e32 v129, v20
	v_mov_b32_e32 v153, v32
	v_dual_mov_b32 v111, v123 :: v_dual_mov_b32 v114, v126
	v_dual_mov_b32 v37, v147 :: v_dual_mov_b32 v38, v148
	;; [unrolled: 1-line block ×10, first 2 shown]
	v_mov_b32_e32 v120, v132
	v_dual_mov_b32 v116, v128 :: v_dual_mov_b32 v121, v133
	v_mov_b32_e32 v44, v31
	v_dual_mov_b32 v119, v131 :: v_dual_mov_b32 v98, v48
	v_dual_mov_b32 v118, v19 :: v_dual_mov_b32 v95, v45
	;; [unrolled: 1-line block ×13, first 2 shown]
	v_mov_b32_e32 v95, v33
	v_dual_mov_b32 v7, v8 :: v_dual_mov_b32 v8, v14
	v_mov_b32_e32 v143, v21
	v_dual_mov_b32 v63, v87 :: v_dual_mov_b32 v68, v92
	v_dual_mov_b32 v64, v88 :: v_dual_mov_b32 v75, v135
	v_dual_mov_b32 v80, v140 :: v_dual_mov_b32 v67, v91
	v_dual_mov_b32 v72, v96 :: v_dual_mov_b32 v69, v93
	v_dual_mov_b32 v74, v98 :: v_dual_mov_b32 v73, v97
	v_dual_mov_b32 v78, v138 :: v_dual_mov_b32 v79, v139
	v_dual_mov_b32 v84, v144 :: v_dual_mov_b32 v81, v141
	v_dual_mov_b32 v86, v146 :: v_dual_mov_b32 v85, v145
	v_mov_b32_e32 v74, v36
	v_dual_mov_b32 v50, v123 :: v_dual_mov_b32 v51, v124
	v_dual_mov_b32 v99, v147 :: v_dual_mov_b32 v100, v148
	v_dual_mov_b32 v65, v89 :: v_dual_mov_b32 v70, v94
	v_dual_mov_b32 v66, v90 :: v_dual_mov_b32 v71, v95
	v_dual_mov_b32 v76, v136 :: v_dual_mov_b32 v77, v137
	v_dual_mov_b32 v82, v142 :: v_dual_mov_b32 v83, v143
	v_dual_mov_b32 v72, v34 :: v_dual_mov_b32 v73, v35
	;; [unrolled: 9-line block ×3, first 2 shown]
	v_dual_mov_b32 v105, v153 :: v_dual_mov_b32 v106, v154
	v_dual_mov_b32 v107, v155 :: v_dual_mov_b32 v108, v156
	;; [unrolled: 1-line block ×4, first 2 shown]
	v_mov_b32_e32 v32, v31
.LBB76_39:
	s_or_b32 exec_lo, exec_lo, s2
	v_mov_b32_e32 v14, v9
	s_mov_b32 s2, exec_lo
	v_cmpx_lt_f32_e32 v13, v9
	s_cbranch_execz .LBB76_41
; %bb.40:
	v_mov_b32_e32 v57, v21
	v_mov_b32_e32 v106, v33
	v_dual_mov_b32 v146, v61 :: v_dual_mov_b32 v145, v60
	v_dual_mov_b32 v87, v99 :: v_dual_mov_b32 v90, v102
	v_mov_b32_e32 v88, v100
	v_dual_mov_b32 v136, v51 :: v_dual_mov_b32 v135, v50
	v_dual_mov_b32 v91, v103 :: v_dual_mov_b32 v94, v106
	;; [unrolled: 1-line block ×7, first 2 shown]
	v_mov_b32_e32 v139, v54
	v_dual_mov_b32 v89, v101 :: v_dual_mov_b32 v92, v104
	v_dual_mov_b32 v138, v53 :: v_dual_mov_b32 v137, v52
	;; [unrolled: 1-line block ×3, first 2 shown]
	v_mov_b32_e32 v143, v20
	s_delay_alu instid0(VALU_DEP_4)
	v_dual_mov_b32 v63, v87 :: v_dual_mov_b32 v68, v92
	v_dual_mov_b32 v66, v90 :: v_dual_mov_b32 v75, v135
	;; [unrolled: 1-line block ×8, first 2 shown]
	v_mov_b32_e32 v74, v36
	v_dual_mov_b32 v122, v61 :: v_dual_mov_b32 v121, v60
	v_dual_mov_b32 v37, v99 :: v_dual_mov_b32 v38, v100
	;; [unrolled: 1-line block ×20, first 2 shown]
	v_mov_b32_e32 v33, v32
.LBB76_41:
	s_or_b32 exec_lo, exec_lo, s2
	v_mov_b32_e32 v15, v10
	s_mov_b32 s2, exec_lo
	v_cmpx_lt_f32_e32 v14, v10
	s_cbranch_execz .LBB76_43
; %bb.42:
	v_mov_b32_e32 v45, v34
	v_dual_mov_b32 v9, v10 :: v_dual_mov_b32 v74, v48
	v_mov_b32_e32 v72, v46
	v_mov_b32_e32 v72, v33
	s_delay_alu instid0(VALU_DEP_4) | instskip(SKIP_4) | instid1(VALU_DEP_4)
	v_mov_b32_e32 v71, v45
	v_dual_mov_b32 v119, v22 :: v_dual_mov_b32 v70, v44
	v_dual_mov_b32 v75, v111 :: v_dual_mov_b32 v78, v114
	;; [unrolled: 1-line block ×27, first 2 shown]
	v_mov_b32_e32 v34, v33
.LBB76_43:
	s_or_b32 exec_lo, exec_lo, s2
	v_mov_b32_e32 v13, v11
	s_mov_b32 s2, exec_lo
	v_cmpx_lt_f32_e32 v15, v11
	s_cbranch_execz .LBB76_45
; %bb.44:
	v_dual_mov_b32 v144, v23 :: v_dual_mov_b32 v145, v22
	v_dual_mov_b32 v96, v35 :: v_dual_mov_b32 v97, v34
	v_mov_b32_e32 v146, v24
	v_mov_b32_e32 v10, v11
	v_dual_mov_b32 v11, v15 :: v_dual_mov_b32 v98, v36
	v_dual_mov_b32 v75, v135 :: v_dual_mov_b32 v84, v144
	;; [unrolled: 1-line block ×3, first 2 shown]
	v_mov_b32_e32 v79, v139
	v_dual_mov_b32 v77, v137 :: v_dual_mov_b32 v78, v138
	v_dual_mov_b32 v81, v141 :: v_dual_mov_b32 v80, v140
	;; [unrolled: 1-line block ×10, first 2 shown]
.LBB76_45:
	s_or_b32 exec_lo, exec_lo, s2
	s_delay_alu instid0(VALU_DEP_1)
	v_cmp_lt_f32_e32 vcc_lo, v13, v12
	v_cmp_lt_f32_e64 s2, v1, v2
	v_dual_mov_b32 v40, v76 :: v_dual_mov_b32 v41, v77
	v_dual_mov_b32 v43, v79 :: v_dual_mov_b32 v44, v80
	v_dual_cndmask_b32 v23, v12, v13 :: v_dual_mov_b32 v42, v78
	v_dual_cndmask_b32 v11, v11, v12 :: v_dual_cndmask_b32 v62, v74, v73
	s_delay_alu instid0(VALU_DEP_2) | instskip(SKIP_3) | instid1(VALU_DEP_4)
	v_dual_cndmask_b32 v49, v85, v86 :: v_dual_mov_b32 v12, v23
	v_dual_cndmask_b32 v61, v73, v74 :: v_dual_cndmask_b32 v50, v86, v85
	v_mov_b32_e32 v39, v75
	v_dual_mov_b32 v45, v81 :: v_dual_mov_b32 v48, v84
	v_dual_mov_b32 v38, v12 :: v_dual_mov_b32 v37, v11
	;; [unrolled: 1-line block ×13, first 2 shown]
	s_and_saveexec_b32 s3, s2
	s_delay_alu instid0(SALU_CYCLE_1)
	s_xor_b32 s2, exec_lo, s3
	s_cbranch_execz .LBB76_47
; %bb.46:
	v_dual_mov_b32 v12, v2 :: v_dual_mov_b32 v13, v1
	v_dual_mov_b32 v14, v3 :: v_dual_mov_b32 v15, v4
	;; [unrolled: 1-line block ×6, first 2 shown]
	s_delay_alu instid0(VALU_DEP_2) | instskip(NEXT) | instid1(VALU_DEP_2)
	v_dual_mov_b32 v38, v23 :: v_dual_mov_b32 v35, v20
	v_dual_mov_b32 v36, v21 :: v_dual_mov_b32 v37, v22
	;; [unrolled: 1-line block ×15, first 2 shown]
	v_mov_b32_e32 v58, v70
	v_mov_b32_e32 v60, v72
.LBB76_47:
	s_or_b32 exec_lo, exec_lo, s2
	v_dual_mov_b32 v1, v29 :: v_dual_mov_b32 v122, v50
	v_dual_mov_b32 v15, v39 :: v_dual_mov_b32 v16, v40
	;; [unrolled: 1-line block ×30, first 2 shown]
	v_mov_b32_e32 v135, v39
	s_clause 0x2
	scratch_store_b128 off, v[39:42], off offset:48
	scratch_store_b128 off, v[43:46], off offset:64
	;; [unrolled: 1-line block ×3, first 2 shown]
	v_dual_mov_b32 v3, v51 :: v_dual_mov_b32 v6, v54
	v_dual_mov_b32 v13, v61 :: v_dual_mov_b32 v74, v62
	;; [unrolled: 1-line block ×34, first 2 shown]
	v_mov_b32_e32 v159, v51
	s_mov_b32 s2, exec_lo
	v_dual_mov_b32 v73, v61 :: v_dual_mov_b32 v72, v60
	v_mov_b32_e32 v4, v52
	s_clause 0x2
	scratch_store_b128 off, v[51:54], off
	scratch_store_b128 off, v[55:58], off offset:16
	scratch_store_b128 off, v[59:62], off offset:32
	v_dual_mov_b32 v182, v50 :: v_dual_mov_b32 v181, v49
	v_dual_mov_b32 v180, v48 :: v_dual_mov_b32 v179, v47
	;; [unrolled: 1-line block ×6, first 2 shown]
	v_cmpx_lt_f32_e32 v2, v29
	s_cbranch_execz .LBB76_49
; %bb.48:
	v_dual_mov_b32 v170, v62 :: v_dual_mov_b32 v169, v61
	v_dual_mov_b32 v162, v54 :: v_dual_mov_b32 v161, v53
	;; [unrolled: 1-line block ×7, first 2 shown]
	s_clause 0x2
	scratch_store_b128 off, v[159:162], off
	scratch_store_b128 off, v[163:166], off offset:16
	scratch_store_b128 off, v[167:170], off offset:32
	v_dual_mov_b32 v182, v50 :: v_dual_mov_b32 v181, v49
	v_dual_mov_b32 v172, v40 :: v_dual_mov_b32 v171, v39
	;; [unrolled: 1-line block ×8, first 2 shown]
	s_delay_alu instid0(VALU_DEP_3)
	v_dual_mov_b32 v140, v176 :: v_dual_mov_b32 v141, v177
	v_dual_mov_b32 v138, v174 :: v_dual_mov_b32 v139, v175
	;; [unrolled: 1-line block ×3, first 2 shown]
	v_mov_b32_e32 v146, v182
	v_dual_mov_b32 v136, v172 :: v_dual_mov_b32 v137, v173
	v_mov_b32_e32 v138, v42
	v_dual_mov_b32 v142, v178 :: v_dual_mov_b32 v143, v179
	v_mov_b32_e32 v53, v52
	v_mov_b32_e32 v139, v43
	;; [unrolled: 1-line block ×3, first 2 shown]
	v_dual_mov_b32 v147, v159 :: v_dual_mov_b32 v148, v160
	v_mov_b32_e32 v151, v163
	v_dual_mov_b32 v149, v161 :: v_dual_mov_b32 v150, v162
	v_dual_mov_b32 v153, v165 :: v_dual_mov_b32 v152, v164
	;; [unrolled: 1-line block ×16, first 2 shown]
	v_mov_b32_e32 v122, v146
	v_dual_mov_b32 v114, v138 :: v_dual_mov_b32 v117, v141
	v_dual_mov_b32 v116, v140 :: v_dual_mov_b32 v119, v143
	;; [unrolled: 1-line block ×14, first 2 shown]
	v_mov_b32_e32 v82, v118
	v_dual_mov_b32 v76, v112 :: v_dual_mov_b32 v81, v117
	v_dual_mov_b32 v80, v116 :: v_dual_mov_b32 v85, v121
	;; [unrolled: 1-line block ×6, first 2 shown]
	v_mov_b32_e32 v81, v45
	v_dual_mov_b32 v65, v89 :: v_dual_mov_b32 v72, v96
	v_mov_b32_e32 v29, v2
	s_delay_alu instid0(VALU_DEP_3)
	v_dual_mov_b32 v110, v86 :: v_dual_mov_b32 v105, v81
	v_dual_mov_b32 v70, v94 :: v_dual_mov_b32 v73, v97
	;; [unrolled: 1-line block ×11, first 2 shown]
	v_mov_b32_e32 v106, v46
	s_clause 0x2
	scratch_store_b128 off, v[3:6], off offset:48
	scratch_store_b128 off, v[7:10], off offset:64
	;; [unrolled: 1-line block ×3, first 2 shown]
	v_dual_mov_b32 v100, v76 :: v_dual_mov_b32 v3, v63
	v_dual_mov_b32 v12, v72 :: v_dual_mov_b32 v5, v65
	;; [unrolled: 1-line block ×16, first 2 shown]
	v_mov_b32_e32 v26, v50
.LBB76_49:
	s_or_b32 exec_lo, exec_lo, s2
	v_mov_b32_e32 v2, v30
	s_mov_b32 s2, exec_lo
	v_cmpx_lt_f32_e32 v1, v30
	s_cbranch_execz .LBB76_51
; %bb.50:
	s_clause 0x2
	scratch_load_b128 v[2:5], off, off
	scratch_load_b128 v[6:9], off, off offset:16
	scratch_load_b128 v[10:13], off, off offset:32
	v_dual_mov_b32 v29, v30 :: v_dual_mov_b32 v30, v1
	v_dual_mov_b32 v161, v54 :: v_dual_mov_b32 v54, v53
	s_waitcnt vmcnt(0)
	v_dual_mov_b32 v170, v13 :: v_dual_mov_b32 v169, v12
	v_mov_b32_e32 v160, v3
	v_dual_mov_b32 v162, v5 :: v_dual_mov_b32 v159, v2
	v_dual_mov_b32 v173, v42 :: v_dual_mov_b32 v168, v11
	;; [unrolled: 1-line block ×3, first 2 shown]
	s_delay_alu instid0(VALU_DEP_3)
	v_dual_mov_b32 v165, v8 :: v_dual_mov_b32 v2, v159
	v_dual_mov_b32 v3, v160 :: v_dual_mov_b32 v4, v161
	;; [unrolled: 1-line block ×3, first 2 shown]
	s_clause 0x2
	scratch_store_b128 off, v[2:5], off
	scratch_store_b128 off, v[6:9], off offset:16
	scratch_store_b128 off, v[10:13], off offset:32
	v_dual_mov_b32 v162, v53 :: v_dual_mov_b32 v135, v171
	v_dual_mov_b32 v140, v176 :: v_dual_mov_b32 v141, v177
	;; [unrolled: 1-line block ×14, first 2 shown]
	v_mov_b32_e32 v137, v173
	v_dual_mov_b32 v123, v147 :: v_dual_mov_b32 v126, v150
	v_dual_mov_b32 v124, v148 :: v_dual_mov_b32 v111, v135
	s_delay_alu instid0(VALU_DEP_4)
	v_dual_mov_b32 v112, v136 :: v_dual_mov_b32 v125, v149
	v_dual_mov_b32 v128, v152 :: v_dual_mov_b32 v115, v139
	;; [unrolled: 1-line block ×7, first 2 shown]
	v_mov_b32_e32 v128, v56
	v_dual_mov_b32 v116, v44 :: v_dual_mov_b32 v87, v123
	v_dual_mov_b32 v113, v137 :: v_dual_mov_b32 v114, v138
	;; [unrolled: 1-line block ×21, first 2 shown]
	v_mov_b32_e32 v81, v45
	v_dual_mov_b32 v63, v87 :: v_dual_mov_b32 v66, v90
	v_mov_b32_e32 v64, v88
	v_dual_mov_b32 v110, v86 :: v_dual_mov_b32 v109, v85
	v_dual_mov_b32 v65, v89 :: v_dual_mov_b32 v68, v92
	;; [unrolled: 1-line block ×9, first 2 shown]
	v_mov_b32_e32 v102, v78
	v_dual_mov_b32 v42, v41 :: v_dual_mov_b32 v103, v79
	v_mov_b32_e32 v100, v76
	v_mov_b32_e32 v106, v46
	s_clause 0x2
	scratch_store_b128 off, v[2:5], off offset:48
	scratch_store_b128 off, v[6:9], off offset:64
	;; [unrolled: 1-line block ×3, first 2 shown]
	v_dual_mov_b32 v2, v1 :: v_dual_mov_b32 v107, v83
	v_mov_b32_e32 v3, v63
	v_mov_b32_e32 v5, v65
	v_dual_mov_b32 v7, v67 :: v_dual_mov_b32 v14, v74
	v_dual_mov_b32 v15, v99 :: v_dual_mov_b32 v6, v66
	;; [unrolled: 1-line block ×14, first 2 shown]
	v_mov_b32_e32 v24, v48
	v_mov_b32_e32 v26, v50
.LBB76_51:
	s_or_b32 exec_lo, exec_lo, s2
	v_mov_b32_e32 v1, v31
	s_mov_b32 s2, exec_lo
	v_cmpx_lt_f32_e32 v2, v31
	s_cbranch_execz .LBB76_53
; %bb.52:
	s_clause 0x2
	scratch_load_b128 v[3:6], off, off
	scratch_load_b128 v[7:10], off, off offset:16
	scratch_load_b128 v[11:14], off, off offset:32
	v_dual_mov_b32 v30, v31 :: v_dual_mov_b32 v31, v2
	v_mov_b32_e32 v1, v2
	s_waitcnt vmcnt(0)
	v_dual_mov_b32 v170, v14 :: v_dual_mov_b32 v169, v13
	v_dual_mov_b32 v161, v5 :: v_dual_mov_b32 v160, v4
	;; [unrolled: 1-line block ×5, first 2 shown]
	v_mov_b32_e32 v174, v43
	v_mov_b32_e32 v159, v3
	;; [unrolled: 1-line block ×3, first 2 shown]
	v_dual_mov_b32 v135, v171 :: v_dual_mov_b32 v136, v172
	v_mov_b32_e32 v137, v173
	s_delay_alu instid0(VALU_DEP_4) | instskip(NEXT) | instid1(VALU_DEP_4)
	v_dual_mov_b32 v147, v159 :: v_dual_mov_b32 v148, v160
	v_dual_mov_b32 v149, v161 :: v_dual_mov_b32 v150, v162
	;; [unrolled: 1-line block ×10, first 2 shown]
	v_mov_b32_e32 v139, v42
	v_mov_b32_e32 v151, v54
	v_dual_mov_b32 v146, v182 :: v_dual_mov_b32 v123, v147
	v_dual_mov_b32 v111, v135 :: v_dual_mov_b32 v112, v136
	;; [unrolled: 1-line block ×3, first 2 shown]
	s_delay_alu instid0(VALU_DEP_4)
	v_dual_mov_b32 v124, v148 :: v_dual_mov_b32 v127, v151
	v_dual_mov_b32 v128, v152 :: v_dual_mov_b32 v131, v155
	;; [unrolled: 1-line block ×9, first 2 shown]
	v_mov_b32_e32 v120, v144
	v_dual_mov_b32 v116, v44 :: v_dual_mov_b32 v87, v123
	v_mov_b32_e32 v114, v138
	v_dual_mov_b32 v98, v134 :: v_dual_mov_b32 v75, v111
	v_dual_mov_b32 v88, v124 :: v_dual_mov_b32 v89, v125
	;; [unrolled: 1-line block ×3, first 2 shown]
	v_mov_b32_e32 v86, v122
	v_dual_mov_b32 v90, v126 :: v_dual_mov_b32 v91, v127
	v_dual_mov_b32 v92, v128 :: v_dual_mov_b32 v93, v129
	;; [unrolled: 1-line block ×8, first 2 shown]
	v_mov_b32_e32 v79, v115
	v_mov_b32_e32 v81, v45
	v_dual_mov_b32 v63, v87 :: v_dual_mov_b32 v66, v90
	v_dual_mov_b32 v64, v88 :: v_dual_mov_b32 v73, v97
	;; [unrolled: 1-line block ×9, first 2 shown]
	v_mov_b32_e32 v108, v84
	v_dual_mov_b32 v106, v46 :: v_dual_mov_b32 v3, v63
	v_dual_mov_b32 v105, v81 :: v_dual_mov_b32 v104, v80
	;; [unrolled: 1-line block ×19, first 2 shown]
	v_mov_b32_e32 v26, v50
	v_mov_b32_e32 v43, v42
	;; [unrolled: 1-line block ×3, first 2 shown]
	s_clause 0x2
	scratch_store_b128 off, v[171:174], off offset:48
	scratch_store_b128 off, v[175:178], off offset:64
	;; [unrolled: 1-line block ×3, first 2 shown]
.LBB76_53:
	s_or_b32 exec_lo, exec_lo, s2
	v_mov_b32_e32 v2, v32
	s_mov_b32 s2, exec_lo
	v_cmpx_lt_f32_e32 v1, v32
	s_cbranch_execz .LBB76_55
; %bb.54:
	s_clause 0x2
	scratch_load_b128 v[2:5], off, off offset:48
	scratch_load_b128 v[6:9], off, off offset:64
	;; [unrolled: 1-line block ×3, first 2 shown]
	v_dual_mov_b32 v163, v56 :: v_dual_mov_b32 v56, v55
	s_waitcnt vmcnt(0)
	v_dual_mov_b32 v31, v32 :: v_dual_mov_b32 v146, v13
	v_dual_mov_b32 v138, v5 :: v_dual_mov_b32 v137, v4
	;; [unrolled: 1-line block ×6, first 2 shown]
	v_mov_b32_e32 v139, v44
	v_dual_mov_b32 v123, v159 :: v_dual_mov_b32 v124, v160
	v_dual_mov_b32 v125, v161 :: v_dual_mov_b32 v128, v164
	;; [unrolled: 1-line block ×12, first 2 shown]
	v_mov_b32_e32 v120, v144
	v_mov_b32_e32 v116, v43
	v_dual_mov_b32 v87, v123 :: v_dual_mov_b32 v88, v124
	v_dual_mov_b32 v89, v125 :: v_dual_mov_b32 v98, v134
	;; [unrolled: 1-line block ×12, first 2 shown]
	v_mov_b32_e32 v79, v115
	v_mov_b32_e32 v81, v45
	v_dual_mov_b32 v63, v87 :: v_dual_mov_b32 v66, v90
	v_dual_mov_b32 v64, v88 :: v_dual_mov_b32 v73, v97
	;; [unrolled: 1-line block ×8, first 2 shown]
	v_mov_b32_e32 v70, v58
	v_dual_mov_b32 v106, v46 :: v_dual_mov_b32 v65, v89
	v_dual_mov_b32 v68, v92 :: v_dual_mov_b32 v105, v81
	;; [unrolled: 1-line block ×4, first 2 shown]
	v_mov_b32_e32 v100, v76
	v_dual_mov_b32 v32, v1 :: v_dual_mov_b32 v3, v63
	v_dual_mov_b32 v14, v74 :: v_dual_mov_b32 v15, v99
	v_mov_b32_e32 v26, v110
	v_dual_mov_b32 v10, v70 :: v_dual_mov_b32 v11, v71
	v_dual_mov_b32 v12, v72 :: v_dual_mov_b32 v13, v73
	;; [unrolled: 1-line block ×20, first 2 shown]
	v_mov_b32_e32 v2, v1
	v_mov_b32_e32 v44, v43
.LBB76_55:
	s_or_b32 exec_lo, exec_lo, s2
	v_mov_b32_e32 v1, v33
	s_mov_b32 s2, exec_lo
	v_cmpx_lt_f32_e32 v2, v33
	s_cbranch_execz .LBB76_57
; %bb.56:
	v_mov_b32_e32 v140, v45
	v_dual_mov_b32 v152, v57 :: v_dual_mov_b32 v75, v135
	v_dual_mov_b32 v87, v147 :: v_dual_mov_b32 v90, v150
	;; [unrolled: 1-line block ×3, first 2 shown]
	s_delay_alu instid0(VALU_DEP_3)
	v_dual_mov_b32 v92, v152 :: v_dual_mov_b32 v93, v153
	v_dual_mov_b32 v76, v136 :: v_dual_mov_b32 v79, v139
	;; [unrolled: 1-line block ×6, first 2 shown]
	v_mov_b32_e32 v93, v56
	v_dual_mov_b32 v84, v144 :: v_dual_mov_b32 v63, v87
	v_dual_mov_b32 v78, v138 :: v_dual_mov_b32 v81, v141
	;; [unrolled: 1-line block ×5, first 2 shown]
	s_delay_alu instid0(VALU_DEP_3) | instskip(SKIP_1) | instid1(VALU_DEP_4)
	v_dual_mov_b32 v110, v86 :: v_dual_mov_b32 v109, v85
	v_dual_mov_b32 v100, v76 :: v_dual_mov_b32 v99, v75
	;; [unrolled: 1-line block ×11, first 2 shown]
	v_mov_b32_e32 v106, v46
	v_dual_mov_b32 v70, v58 :: v_dual_mov_b32 v15, v99
	v_dual_mov_b32 v3, v63 :: v_dual_mov_b32 v24, v108
	;; [unrolled: 1-line block ×3, first 2 shown]
	s_delay_alu instid0(VALU_DEP_3)
	v_dual_mov_b32 v10, v70 :: v_dual_mov_b32 v11, v71
	v_dual_mov_b32 v12, v72 :: v_dual_mov_b32 v13, v73
	;; [unrolled: 1-line block ×26, first 2 shown]
	v_mov_b32_e32 v1, v2
	v_dual_mov_b32 v134, v158 :: v_dual_mov_b32 v45, v44
	v_mov_b32_e32 v57, v56
.LBB76_57:
	s_or_b32 exec_lo, exec_lo, s2
	v_mov_b32_e32 v2, v34
	s_mov_b32 s2, exec_lo
	v_cmpx_lt_f32_e32 v1, v34
	s_cbranch_execz .LBB76_59
; %bb.58:
	v_mov_b32_e32 v129, v58
	v_dual_mov_b32 v63, v123 :: v_dual_mov_b32 v70, v130
	v_dual_mov_b32 v70, v57 :: v_dual_mov_b32 v71, v131
	;; [unrolled: 1-line block ×22, first 2 shown]
	v_mov_b32_e32 v34, v1
	v_dual_mov_b32 v5, v65 :: v_dual_mov_b32 v6, v66
	v_dual_mov_b32 v7, v67 :: v_dual_mov_b32 v8, v68
	;; [unrolled: 1-line block ×20, first 2 shown]
	v_mov_b32_e32 v2, v1
	v_mov_b32_e32 v46, v45
	;; [unrolled: 1-line block ×3, first 2 shown]
.LBB76_59:
	s_or_b32 exec_lo, exec_lo, s2
	v_mov_b32_e32 v1, v35
	s_mov_b32 s2, exec_lo
	v_cmpx_lt_f32_e32 v2, v35
	s_cbranch_execz .LBB76_61
; %bb.60:
	v_mov_b32_e32 v94, v59
	v_dual_mov_b32 v34, v35 :: v_dual_mov_b32 v35, v2
	v_mov_b32_e32 v82, v47
	v_dual_mov_b32 v3, v87 :: v_dual_mov_b32 v4, v88
	v_dual_mov_b32 v12, v96 :: v_dual_mov_b32 v9, v93
	;; [unrolled: 1-line block ×13, first 2 shown]
	v_mov_b32_e32 v7, v91
	v_mov_b32_e32 v11, v58
	v_dual_mov_b32 v14, v62 :: v_dual_mov_b32 v17, v77
	v_dual_mov_b32 v16, v76 :: v_dual_mov_b32 v19, v79
	;; [unrolled: 1-line block ×14, first 2 shown]
	v_mov_b32_e32 v47, v46
	v_mov_b32_e32 v59, v58
	;; [unrolled: 1-line block ×3, first 2 shown]
.LBB76_61:
	s_or_b32 exec_lo, exec_lo, s2
	v_mov_b32_e32 v39, v36
	s_mov_b32 s2, exec_lo
	v_cmpx_lt_f32_e32 v1, v36
	s_cbranch_execz .LBB76_63
; %bb.62:
	v_dual_mov_b32 v71, v60 :: v_dual_mov_b32 v72, v59
	v_dual_mov_b32 v73, v61 :: v_dual_mov_b32 v108, v47
	;; [unrolled: 1-line block ×17, first 2 shown]
	v_mov_b32_e32 v39, v1
.LBB76_63:
	s_or_b32 exec_lo, exec_lo, s2
	s_delay_alu instid0(VALU_DEP_1)
	v_cmp_lt_f32_e32 vcc_lo, v39, v37
	v_dual_mov_b32 v40, v28 :: v_dual_mov_b32 v43, v31
	v_dual_mov_b32 v42, v30 :: v_dual_mov_b32 v45, v33
	v_dual_cndmask_b32 v1, v25, v24 :: v_dual_cndmask_b32 v24, v24, v25
	v_cndmask_b32_e32 v2, v13, v12, vcc_lo
	v_dual_cndmask_b32 v12, v12, v13 :: v_dual_cndmask_b32 v49, v37, v39
	v_dual_cndmask_b32 v48, v36, v37 :: v_dual_mov_b32 v41, v29
	v_dual_mov_b32 v39, v27 :: v_dual_mov_b32 v44, v32
	v_dual_mov_b32 v47, v35 :: v_dual_mov_b32 v46, v34
	v_mov_b32_e32 v50, v38
	s_mov_b32 s2, exec_lo
	v_cmpx_lt_f32_e32 v27, v28
	s_cbranch_execz .LBB76_65
; %bb.64:
	v_dual_mov_b32 v28, v40 :: v_dual_mov_b32 v29, v39
	v_dual_mov_b32 v38, v49 :: v_dual_mov_b32 v39, v50
	;; [unrolled: 1-line block ×6, first 2 shown]
	v_mov_b32_e32 v50, v39
	v_mov_b32_e32 v13, v15
	v_dual_mov_b32 v25, v3 :: v_dual_mov_b32 v44, v33
	v_swap_b32 v15, v16
	v_swap_b32 v3, v4
	v_dual_mov_b32 v49, v38 :: v_dual_mov_b32 v46, v35
	v_dual_mov_b32 v48, v37 :: v_dual_mov_b32 v47, v36
	;; [unrolled: 1-line block ×4, first 2 shown]
	v_mov_b32_e32 v41, v30
	v_dual_mov_b32 v39, v28 :: v_dual_mov_b32 v28, v27
.LBB76_65:
	s_or_b32 exec_lo, exec_lo, s2
	v_mov_b32_e32 v13, v2
	v_dual_mov_b32 v25, v1 :: v_dual_mov_b32 v62, v14
	v_dual_mov_b32 v74, v26 :: v_dual_mov_b32 v63, v15
	v_mov_b32_e32 v86, v26
	v_dual_mov_b32 v72, v24 :: v_dual_mov_b32 v75, v15
	v_dual_mov_b32 v110, v26 :: v_dual_mov_b32 v53, v5
	;; [unrolled: 1-line block ×61, first 2 shown]
	v_mov_b32_e32 v149, v5
	v_mov_b32_e32 v147, v3
	;; [unrolled: 1-line block ×3, first 2 shown]
	s_mov_b32 s2, exec_lo
	v_dual_mov_b32 v85, v25 :: v_dual_mov_b32 v84, v24
	v_dual_mov_b32 v83, v23 :: v_dual_mov_b32 v82, v22
	s_clause 0x2
	scratch_store_b128 off, v[3:6], off
	scratch_store_b128 off, v[7:10], off offset:16
	scratch_store_b128 off, v[11:14], off offset:32
	v_cmpx_lt_f32_e32 v28, v41
	s_cbranch_execz .LBB76_67
; %bb.66:
	v_dual_mov_b32 v158, v14 :: v_dual_mov_b32 v157, v13
	v_dual_mov_b32 v150, v6 :: v_dual_mov_b32 v149, v5
	;; [unrolled: 1-line block ×7, first 2 shown]
	s_clause 0x2
	scratch_store_b128 off, v[147:150], off
	scratch_store_b128 off, v[151:154], off offset:16
	scratch_store_b128 off, v[155:158], off offset:32
	v_dual_mov_b32 v182, v26 :: v_dual_mov_b32 v181, v25
	v_dual_mov_b32 v172, v16 :: v_dual_mov_b32 v171, v15
	;; [unrolled: 1-line block ×8, first 2 shown]
	s_delay_alu instid0(VALU_DEP_4) | instskip(SKIP_1) | instid1(VALU_DEP_4)
	v_dual_mov_b32 v160, v172 :: v_dual_mov_b32 v161, v173
	v_dual_mov_b32 v162, v174 :: v_dual_mov_b32 v163, v175
	;; [unrolled: 1-line block ×4, first 2 shown]
	v_mov_b32_e32 v170, v182
	v_dual_mov_b32 v166, v178 :: v_dual_mov_b32 v167, v179
	v_mov_b32_e32 v162, v18
	v_dual_mov_b32 v40, v41 :: v_dual_mov_b32 v41, v28
	v_mov_b32_e32 v5, v4
	v_mov_b32_e32 v17, v16
	;; [unrolled: 1-line block ×3, first 2 shown]
	v_dual_mov_b32 v137, v149 :: v_dual_mov_b32 v144, v156
	v_dual_mov_b32 v123, v159 :: v_dual_mov_b32 v136, v148
	;; [unrolled: 1-line block ×12, first 2 shown]
	v_mov_b32_e32 v133, v169
	v_dual_mov_b32 v111, v135 :: v_dual_mov_b32 v112, v136
	v_dual_mov_b32 v99, v123 :: v_dual_mov_b32 v100, v124
	;; [unrolled: 1-line block ×12, first 2 shown]
	v_mov_b32_e32 v104, v20
	v_dual_mov_b32 v116, v8 :: v_dual_mov_b32 v75, v99
	v_mov_b32_e32 v87, v111
	v_dual_mov_b32 v93, v117 :: v_dual_mov_b32 v78, v102
	s_delay_alu instid0(VALU_DEP_3)
	v_dual_mov_b32 v81, v105 :: v_dual_mov_b32 v92, v116
	v_dual_mov_b32 v90, v114 :: v_dual_mov_b32 v91, v115
	v_dual_mov_b32 v94, v118 :: v_dual_mov_b32 v95, v119
	v_dual_mov_b32 v96, v120 :: v_dual_mov_b32 v97, v121
	v_dual_mov_b32 v98, v122 :: v_dual_mov_b32 v77, v101
	v_dual_mov_b32 v76, v100 :: v_dual_mov_b32 v79, v103
	v_dual_mov_b32 v80, v104 :: v_dual_mov_b32 v83, v107
	v_dual_mov_b32 v82, v106 :: v_dual_mov_b32 v85, v109
	v_dual_mov_b32 v84, v108 :: v_dual_mov_b32 v93, v9
	v_dual_mov_b32 v86, v110 :: v_dual_mov_b32 v81, v21
	v_dual_mov_b32 v88, v112 :: v_dual_mov_b32 v89, v113
	v_mov_b32_e32 v51, v87
	v_dual_mov_b32 v63, v75 :: v_dual_mov_b32 v66, v78
	v_dual_mov_b32 v55, v91 :: v_dual_mov_b32 v58, v94
	;; [unrolled: 1-line block ×14, first 2 shown]
	v_mov_b32_e32 v72, v24
	v_dual_mov_b32 v62, v14 :: v_dual_mov_b32 v71, v23
	v_dual_mov_b32 v70, v22 :: v_dual_mov_b32 v73, v1
	v_mov_b32_e32 v74, v26
.LBB76_67:
	s_or_b32 exec_lo, exec_lo, s2
	v_mov_b32_e32 v3, v42
	v_cmp_lt_f32_e32 vcc_lo, v13, v42
	s_mov_b32 s2, exec_lo
	s_clause 0x2
	scratch_load_b128 v[27:30], off, off
	scratch_load_b128 v[31:34], off, off offset:16
	scratch_load_b128 v[35:38], off, off offset:32
	s_and_b32 s3, s2, vcc_lo
	s_delay_alu instid0(SALU_CYCLE_1)
	s_mov_b32 exec_lo, s3
	s_cbranch_execz .LBB76_69
; %bb.68:
	v_mov_b32_e32 v173, v18
	s_waitcnt vmcnt(2)
	v_mov_b32_e32 v29, v6
	v_dual_mov_b32 v159, v171 :: v_dual_mov_b32 v160, v172
	s_waitcnt vmcnt(0)
	v_dual_mov_b32 v158, v38 :: v_dual_mov_b32 v157, v37
	v_dual_mov_b32 v156, v36 :: v_dual_mov_b32 v147, v27
	v_dual_mov_b32 v162, v174 :: v_dual_mov_b32 v149, v29
	v_dual_mov_b32 v148, v28 :: v_dual_mov_b32 v153, v33
	v_dual_mov_b32 v152, v32 :: v_dual_mov_b32 v151, v31
	v_dual_mov_b32 v150, v30 :: v_dual_mov_b32 v163, v175
	v_mov_b32_e32 v168, v180
	v_dual_mov_b32 v164, v176 :: v_dual_mov_b32 v165, v177
	v_dual_mov_b32 v170, v182 :: v_dual_mov_b32 v155, v35
	v_dual_mov_b32 v154, v34 :: v_dual_mov_b32 v161, v173
	v_dual_mov_b32 v166, v178 :: v_dual_mov_b32 v167, v179
	v_mov_b32_e32 v150, v5
	v_mov_b32_e32 v169, v181
	v_dual_mov_b32 v162, v17 :: v_dual_mov_b32 v135, v147
	v_dual_mov_b32 v136, v148 :: v_dual_mov_b32 v123, v159
	;; [unrolled: 1-line block ×13, first 2 shown]
	v_mov_b32_e32 v139, v7
	v_dual_mov_b32 v99, v123 :: v_dual_mov_b32 v100, v124
	v_dual_mov_b32 v111, v135 :: v_dual_mov_b32 v114, v138
	;; [unrolled: 1-line block ×4, first 2 shown]
	v_mov_b32_e32 v120, v144
	v_dual_mov_b32 v104, v128 :: v_dual_mov_b32 v105, v129
	v_dual_mov_b32 v110, v134 :: v_dual_mov_b32 v115, v139
	;; [unrolled: 1-line block ×21, first 2 shown]
	v_mov_b32_e32 v93, v9
	v_dual_mov_b32 v63, v75 :: v_dual_mov_b32 v64, v76
	v_dual_mov_b32 v51, v87 :: v_dual_mov_b32 v54, v90
	;; [unrolled: 1-line block ×3, first 2 shown]
	s_delay_alu instid0(VALU_DEP_4)
	v_dual_mov_b32 v58, v94 :: v_dual_mov_b32 v57, v93
	v_dual_mov_b32 v60, v96 :: v_dual_mov_b32 v59, v95
	;; [unrolled: 1-line block ×9, first 2 shown]
	v_mov_b32_e32 v42, v13
	v_dual_mov_b32 v53, v89 :: v_dual_mov_b32 v56, v92
	v_dual_mov_b32 v68, v80 :: v_dual_mov_b32 v59, v11
	v_mov_b32_e32 v62, v14
	v_dual_mov_b32 v61, v2 :: v_dual_mov_b32 v72, v24
	v_dual_mov_b32 v70, v22 :: v_dual_mov_b32 v71, v23
	;; [unrolled: 1-line block ×3, first 2 shown]
	v_mov_b32_e32 v3, v13
	v_mov_b32_e32 v18, v17
	;; [unrolled: 1-line block ×3, first 2 shown]
.LBB76_69:
	s_or_b32 exec_lo, exec_lo, s2
	v_mov_b32_e32 v4, v43
	s_mov_b32 s2, exec_lo
	v_cmpx_lt_f32_e32 v3, v43
	s_cbranch_execz .LBB76_71
; %bb.70:
	v_mov_b32_e32 v174, v19
	s_waitcnt vmcnt(2)
	v_mov_b32_e32 v30, v7
	v_mov_b32_e32 v123, v171
	s_waitcnt vmcnt(0)
	v_dual_mov_b32 v125, v173 :: v_dual_mov_b32 v146, v38
	s_delay_alu instid0(VALU_DEP_3)
	v_dual_mov_b32 v143, v35 :: v_dual_mov_b32 v138, v30
	v_mov_b32_e32 v135, v27
	v_dual_mov_b32 v145, v37 :: v_dual_mov_b32 v142, v34
	v_dual_mov_b32 v139, v31 :: v_dual_mov_b32 v136, v28
	;; [unrolled: 1-line block ×6, first 2 shown]
	v_mov_b32_e32 v139, v6
	v_dual_mov_b32 v127, v18 :: v_dual_mov_b32 v124, v172
	v_dual_mov_b32 v126, v174 :: v_dual_mov_b32 v129, v177
	;; [unrolled: 1-line block ×15, first 2 shown]
	v_mov_b32_e32 v110, v134
	v_mov_b32_e32 v104, v20
	v_dual_mov_b32 v116, v8 :: v_dual_mov_b32 v75, v99
	v_mov_b32_e32 v87, v111
	v_dual_mov_b32 v93, v117 :: v_dual_mov_b32 v78, v102
	s_delay_alu instid0(VALU_DEP_3)
	v_dual_mov_b32 v81, v105 :: v_dual_mov_b32 v92, v116
	v_dual_mov_b32 v80, v104 :: v_dual_mov_b32 v83, v107
	;; [unrolled: 1-line block ×11, first 2 shown]
	v_mov_b32_e32 v63, v75
	s_delay_alu instid0(VALU_DEP_3)
	v_dual_mov_b32 v51, v87 :: v_dual_mov_b32 v54, v90
	v_dual_mov_b32 v71, v83 :: v_dual_mov_b32 v72, v84
	;; [unrolled: 1-line block ×14, first 2 shown]
	v_mov_b32_e32 v68, v80
	v_dual_mov_b32 v58, v10 :: v_dual_mov_b32 v59, v11
	v_dual_mov_b32 v60, v12 :: v_dual_mov_b32 v61, v2
	;; [unrolled: 1-line block ×14, first 2 shown]
	v_mov_b32_e32 v150, v30
	v_dual_mov_b32 v148, v28 :: v_dual_mov_b32 v19, v18
	v_dual_mov_b32 v4, v3 :: v_dual_mov_b32 v7, v6
.LBB76_71:
	s_or_b32 exec_lo, exec_lo, s2
	v_mov_b32_e32 v3, v44
	s_mov_b32 s2, exec_lo
	s_delay_alu instid0(VALU_DEP_2)
	v_cmpx_lt_f32_e32 v4, v44
	s_cbranch_execz .LBB76_73
; %bb.72:
	v_mov_b32_e32 v163, v20
	v_mov_b32_e32 v151, v8
	v_dual_mov_b32 v99, v159 :: v_dual_mov_b32 v102, v162
	v_dual_mov_b32 v111, v147 :: v_dual_mov_b32 v112, v148
	v_dual_mov_b32 v113, v149 :: v_dual_mov_b32 v116, v152
	v_dual_mov_b32 v114, v150 :: v_dual_mov_b32 v117, v153
	v_dual_mov_b32 v120, v156 :: v_dual_mov_b32 v105, v165
	v_dual_mov_b32 v110, v170 :: v_dual_mov_b32 v115, v151
	v_dual_mov_b32 v118, v154 :: v_dual_mov_b32 v119, v155
	v_dual_mov_b32 v122, v158 :: v_dual_mov_b32 v121, v157
	v_dual_mov_b32 v100, v160 :: v_dual_mov_b32 v101, v161
	v_dual_mov_b32 v106, v166 :: v_dual_mov_b32 v103, v163
	v_mov_b32_e32 v108, v168
	v_dual_mov_b32 v104, v164 :: v_dual_mov_b32 v109, v169
	v_mov_b32_e32 v116, v7
	v_mov_b32_e32 v107, v167
	;; [unrolled: 1-line block ×3, first 2 shown]
	v_dual_mov_b32 v87, v111 :: v_dual_mov_b32 v90, v114
	v_dual_mov_b32 v88, v112 :: v_dual_mov_b32 v89, v113
	;; [unrolled: 1-line block ×12, first 2 shown]
	v_mov_b32_e32 v93, v9
	v_mov_b32_e32 v43, v44
	v_dual_mov_b32 v44, v4 :: v_dual_mov_b32 v81, v21
	v_dual_mov_b32 v51, v87 :: v_dual_mov_b32 v56, v92
	;; [unrolled: 1-line block ×15, first 2 shown]
	v_mov_b32_e32 v136, v148
	v_dual_mov_b32 v54, v90 :: v_dual_mov_b32 v59, v11
	v_mov_b32_e32 v62, v14
	v_dual_mov_b32 v61, v2 :: v_dual_mov_b32 v72, v24
	v_dual_mov_b32 v70, v22 :: v_dual_mov_b32 v71, v23
	;; [unrolled: 1-line block ×14, first 2 shown]
	v_mov_b32_e32 v8, v7
.LBB76_73:
	s_or_b32 exec_lo, exec_lo, s2
	v_mov_b32_e32 v4, v45
	s_mov_b32 s2, exec_lo
	v_cmpx_lt_f32_e32 v3, v45
	s_cbranch_execz .LBB76_75
; %bb.74:
	v_mov_b32_e32 v140, v9
	v_dual_mov_b32 v128, v21 :: v_dual_mov_b32 v87, v135
	v_mov_b32_e32 v93, v141
	v_dual_mov_b32 v93, v8 :: v_dual_mov_b32 v94, v142
	v_dual_mov_b32 v96, v144 :: v_dual_mov_b32 v97, v145
	v_mov_b32_e32 v98, v146
	v_dual_mov_b32 v44, v45 :: v_dual_mov_b32 v75, v123
	v_dual_mov_b32 v84, v132 :: v_dual_mov_b32 v85, v133
	;; [unrolled: 1-line block ×8, first 2 shown]
	v_mov_b32_e32 v81, v20
	v_dual_mov_b32 v51, v87 :: v_dual_mov_b32 v52, v88
	v_dual_mov_b32 v76, v124 :: v_dual_mov_b32 v77, v125
	;; [unrolled: 1-line block ×30, first 2 shown]
	v_mov_b32_e32 v120, v144
	v_dual_mov_b32 v122, v146 :: v_dual_mov_b32 v21, v20
	v_dual_mov_b32 v4, v3 :: v_dual_mov_b32 v9, v8
.LBB76_75:
	s_or_b32 exec_lo, exec_lo, s2
	v_mov_b32_e32 v3, v46
	s_mov_b32 s2, exec_lo
	s_delay_alu instid0(VALU_DEP_2)
	v_cmpx_lt_f32_e32 v4, v46
	s_cbranch_execz .LBB76_77
; %bb.76:
	v_mov_b32_e32 v117, v10
	v_dual_mov_b32 v45, v46 :: v_dual_mov_b32 v46, v4
	v_mov_b32_e32 v105, v22
	v_dual_mov_b32 v51, v111 :: v_dual_mov_b32 v54, v114
	v_dual_mov_b32 v56, v116 :: v_dual_mov_b32 v63, v99
	;; [unrolled: 1-line block ×6, first 2 shown]
	v_mov_b32_e32 v58, v9
	v_dual_mov_b32 v61, v121 :: v_dual_mov_b32 v60, v12
	v_dual_mov_b32 v67, v103 :: v_dual_mov_b32 v70, v106
	;; [unrolled: 1-line block ×8, first 2 shown]
	v_mov_b32_e32 v62, v14
	v_dual_mov_b32 v61, v2 :: v_dual_mov_b32 v64, v100
	v_dual_mov_b32 v65, v101 :: v_dual_mov_b32 v68, v104
	;; [unrolled: 1-line block ×15, first 2 shown]
	v_mov_b32_e32 v98, v122
.LBB76_77:
	s_or_b32 exec_lo, exec_lo, s2
	v_mov_b32_e32 v4, v47
	s_mov_b32 s2, exec_lo
	v_cmpx_lt_f32_e32 v3, v47
	s_cbranch_execz .LBB76_79
; %bb.78:
	v_dual_mov_b32 v84, v24 :: v_dual_mov_b32 v85, v1
	v_dual_mov_b32 v94, v11 :: v_dual_mov_b32 v95, v10
	v_dual_mov_b32 v96, v12 :: v_dual_mov_b32 v97, v2
	v_dual_mov_b32 v82, v23 :: v_dual_mov_b32 v83, v22
	v_mov_b32_e32 v86, v26
	v_mov_b32_e32 v46, v47
	v_dual_mov_b32 v47, v3 :: v_dual_mov_b32 v98, v14
	v_dual_mov_b32 v63, v75 :: v_dual_mov_b32 v72, v84
	;; [unrolled: 1-line block ×3, first 2 shown]
	v_mov_b32_e32 v67, v79
	v_dual_mov_b32 v65, v77 :: v_dual_mov_b32 v66, v78
	v_dual_mov_b32 v69, v81 :: v_dual_mov_b32 v68, v80
	;; [unrolled: 1-line block ×9, first 2 shown]
	v_mov_b32_e32 v62, v98
	v_mov_b32_e32 v4, v3
.LBB76_79:
	s_or_b32 exec_lo, exec_lo, s2
	s_delay_alu instid0(VALU_DEP_1)
	v_cmp_lt_f32_e32 vcc_lo, v4, v48
	v_dual_mov_b32 v3, v41 :: v_dual_mov_b32 v8, v46
	v_dual_mov_b32 v5, v43 :: v_dual_mov_b32 v12, v50
	s_waitcnt vmcnt(0)
	v_cndmask_b32_e32 v37, v72, v71, vcc_lo
	v_dual_cndmask_b32 v71, v71, v72 :: v_dual_cndmask_b32 v38, v60, v59
	v_dual_cndmask_b32 v59, v59, v60 :: v_dual_mov_b32 v2, v40
	v_dual_cndmask_b32 v10, v48, v4 :: v_dual_mov_b32 v1, v39
	;; [unrolled: 1-line block ×3, first 2 shown]
	v_dual_mov_b32 v4, v42 :: v_dual_mov_b32 v7, v45
	v_mov_b32_e32 v11, v49
	s_mov_b32 s2, exec_lo
	v_cmpx_lt_f32_e32 v39, v40
	s_cbranch_execz .LBB76_81
; %bb.80:
	v_dual_mov_b32 v13, v2 :: v_dual_mov_b32 v14, v1
	v_dual_mov_b32 v15, v3 :: v_dual_mov_b32 v16, v4
	;; [unrolled: 1-line block ×6, first 2 shown]
	v_mov_b32_e32 v25, v63
	v_dual_mov_b32 v26, v51 :: v_dual_mov_b32 v1, v13
	v_swap_b32 v63, v64
	v_swap_b32 v51, v52
	v_dual_mov_b32 v2, v14 :: v_dual_mov_b32 v3, v15
	v_dual_mov_b32 v4, v16 :: v_dual_mov_b32 v5, v17
	;; [unrolled: 1-line block ×5, first 2 shown]
	v_mov_b32_e32 v12, v24
	v_mov_b32_e32 v40, v39
.LBB76_81:
	s_or_b32 exec_lo, exec_lo, s2
	v_mov_b32_e32 v60, v38
	v_dual_mov_b32 v72, v37 :: v_dual_mov_b32 v13, v51
	v_dual_mov_b32 v25, v63 :: v_dual_mov_b32 v98, v74
	v_dual_mov_b32 v95, v71 :: v_dual_mov_b32 v110, v74
	v_dual_mov_b32 v107, v71 :: v_dual_mov_b32 v158, v74
	v_dual_mov_b32 v155, v71 :: v_dual_mov_b32 v146, v74
	v_dual_mov_b32 v143, v71 :: v_dual_mov_b32 v86, v62
	v_dual_mov_b32 v81, v57 :: v_dual_mov_b32 v122, v62
	v_dual_mov_b32 v117, v57 :: v_dual_mov_b32 v170, v62
	v_dual_mov_b32 v165, v57 :: v_dual_mov_b32 v134, v62
	v_dual_mov_b32 v129, v57 :: v_dual_mov_b32 v26, v64
	v_dual_mov_b32 v27, v65 :: v_dual_mov_b32 v28, v66
	v_dual_mov_b32 v29, v67 :: v_dual_mov_b32 v30, v68
	v_dual_mov_b32 v31, v69 :: v_dual_mov_b32 v32, v70
	v_dual_mov_b32 v33, v71 :: v_dual_mov_b32 v34, v72
	v_dual_mov_b32 v35, v73 :: v_dual_mov_b32 v36, v74
	v_dual_mov_b32 v97, v73 :: v_dual_mov_b32 v94, v70
	v_dual_mov_b32 v91, v67 :: v_dual_mov_b32 v92, v68
	v_dual_mov_b32 v89, v65 :: v_dual_mov_b32 v90, v66
	v_dual_mov_b32 v87, v63 :: v_dual_mov_b32 v88, v64
	v_dual_mov_b32 v109, v73 :: v_dual_mov_b32 v108, v72
	v_dual_mov_b32 v105, v69 :: v_dual_mov_b32 v106, v70
	v_dual_mov_b32 v103, v67 :: v_dual_mov_b32 v104, v68
	v_dual_mov_b32 v101, v65 :: v_dual_mov_b32 v102, v66
	v_dual_mov_b32 v99, v63 :: v_dual_mov_b32 v100, v64
	v_dual_mov_b32 v157, v73 :: v_dual_mov_b32 v156, v72
	v_dual_mov_b32 v153, v69 :: v_dual_mov_b32 v154, v70
	v_dual_mov_b32 v151, v67 :: v_dual_mov_b32 v152, v68
	v_dual_mov_b32 v149, v65 :: v_dual_mov_b32 v150, v66
	v_dual_mov_b32 v147, v63 :: v_dual_mov_b32 v148, v64
	v_dual_mov_b32 v145, v73 :: v_dual_mov_b32 v144, v72
	v_dual_mov_b32 v141, v69 :: v_dual_mov_b32 v142, v70
	v_dual_mov_b32 v139, v67 :: v_dual_mov_b32 v140, v68
	v_dual_mov_b32 v137, v65 :: v_dual_mov_b32 v138, v66
	v_dual_mov_b32 v135, v63 :: v_dual_mov_b32 v136, v64
	v_dual_mov_b32 v15, v53 :: v_dual_mov_b32 v14, v52
	v_dual_mov_b32 v17, v55 :: v_dual_mov_b32 v16, v54
	v_dual_mov_b32 v19, v57 :: v_dual_mov_b32 v18, v56
	v_dual_mov_b32 v21, v59 :: v_dual_mov_b32 v20, v58
	v_dual_mov_b32 v23, v61 :: v_dual_mov_b32 v22, v60
	v_dual_mov_b32 v85, v61 :: v_dual_mov_b32 v24, v62
	v_dual_mov_b32 v83, v59 :: v_dual_mov_b32 v84, v60
	v_dual_mov_b32 v79, v55 :: v_dual_mov_b32 v82, v58
	v_dual_mov_b32 v77, v53 :: v_dual_mov_b32 v80, v56
	v_dual_mov_b32 v75, v51 :: v_dual_mov_b32 v78, v54
	v_dual_mov_b32 v121, v61 :: v_dual_mov_b32 v76, v52
	v_dual_mov_b32 v119, v59 :: v_dual_mov_b32 v120, v60
	v_dual_mov_b32 v115, v55 :: v_dual_mov_b32 v118, v58
	v_dual_mov_b32 v113, v53 :: v_dual_mov_b32 v116, v56
	v_dual_mov_b32 v111, v51 :: v_dual_mov_b32 v114, v54
	v_dual_mov_b32 v169, v61 :: v_dual_mov_b32 v112, v52
	v_dual_mov_b32 v167, v59 :: v_dual_mov_b32 v168, v60
	v_dual_mov_b32 v163, v55 :: v_dual_mov_b32 v166, v58
	v_dual_mov_b32 v161, v53 :: v_dual_mov_b32 v164, v56
	v_dual_mov_b32 v159, v51 :: v_dual_mov_b32 v162, v54
	v_dual_mov_b32 v133, v61 :: v_dual_mov_b32 v160, v52
	v_dual_mov_b32 v131, v59 :: v_dual_mov_b32 v132, v60
	v_dual_mov_b32 v127, v55 :: v_dual_mov_b32 v130, v58
	v_dual_mov_b32 v125, v53 :: v_dual_mov_b32 v128, v56
	v_dual_mov_b32 v123, v51 :: v_dual_mov_b32 v126, v54
	v_dual_mov_b32 v39, v3 :: v_dual_mov_b32 v124, v52
	s_mov_b32 s2, exec_lo
	v_dual_mov_b32 v96, v72 :: v_dual_mov_b32 v93, v69
	v_cmpx_lt_f32_e32 v40, v3
	s_cbranch_execz .LBB76_83
; %bb.82:
	v_dual_mov_b32 v134, v62 :: v_dual_mov_b32 v133, v61
	v_dual_mov_b32 v124, v52 :: v_dual_mov_b32 v123, v51
	v_mov_b32_e32 v124, v53
	v_dual_mov_b32 v128, v56 :: v_dual_mov_b32 v127, v55
	v_dual_mov_b32 v132, v60 :: v_dual_mov_b32 v131, v59
	;; [unrolled: 1-line block ×11, first 2 shown]
	v_mov_b32_e32 v141, v69
	v_dual_mov_b32 v136, v65 :: v_dual_mov_b32 v137, v64
	v_dual_mov_b32 v160, v124 :: v_dual_mov_b32 v159, v123
	;; [unrolled: 1-line block ×40, first 2 shown]
	v_mov_b32_e32 v22, v84
	v_dual_mov_b32 v22, v38 :: v_dual_mov_b32 v25, v87
	v_dual_mov_b32 v16, v78 :: v_dual_mov_b32 v19, v81
	;; [unrolled: 1-line block ×16, first 2 shown]
	v_mov_b32_e32 v35, v73
	v_dual_mov_b32 v34, v37 :: v_dual_mov_b32 v39, v40
	v_dual_mov_b32 v36, v74 :: v_dual_mov_b32 v65, v64
	v_mov_b32_e32 v53, v52
.LBB76_83:
	s_or_b32 exec_lo, exec_lo, s2
	v_mov_b32_e32 v40, v4
	s_mov_b32 s2, exec_lo
	v_cmpx_lt_f32_e32 v39, v4
	s_cbranch_execz .LBB76_85
; %bb.84:
	v_mov_b32_e32 v137, v66
	v_mov_b32_e32 v125, v54
	;; [unrolled: 1-line block ×4, first 2 shown]
	v_dual_mov_b32 v170, v134 :: v_dual_mov_b32 v169, v133
	v_dual_mov_b32 v168, v132 :: v_dual_mov_b32 v159, v123
	;; [unrolled: 1-line block ×9, first 2 shown]
	v_mov_b32_e32 v157, v145
	v_dual_mov_b32 v155, v143 :: v_dual_mov_b32 v152, v140
	v_mov_b32_e32 v162, v53
	v_mov_b32_e32 v149, v137
	v_dual_mov_b32 v150, v65 :: v_dual_mov_b32 v111, v159
	v_dual_mov_b32 v112, v160 :: v_dual_mov_b32 v99, v147
	;; [unrolled: 1-line block ×13, first 2 shown]
	v_mov_b32_e32 v115, v55
	v_dual_mov_b32 v87, v99 :: v_dual_mov_b32 v88, v100
	v_dual_mov_b32 v75, v111 :: v_dual_mov_b32 v78, v114
	;; [unrolled: 1-line block ×3, first 2 shown]
	s_delay_alu instid0(VALU_DEP_4)
	v_dual_mov_b32 v80, v116 :: v_dual_mov_b32 v79, v115
	v_dual_mov_b32 v82, v118 :: v_dual_mov_b32 v81, v117
	;; [unrolled: 1-line block ×6, first 2 shown]
	v_mov_b32_e32 v96, v108
	v_dual_mov_b32 v92, v104 :: v_dual_mov_b32 v93, v105
	v_dual_mov_b32 v98, v110 :: v_dual_mov_b32 v95, v107
	;; [unrolled: 1-line block ×21, first 2 shown]
	v_mov_b32_e32 v34, v37
	v_dual_mov_b32 v35, v73 :: v_dual_mov_b32 v36, v74
	v_mov_b32_e32 v40, v39
	v_mov_b32_e32 v66, v65
	;; [unrolled: 1-line block ×3, first 2 shown]
.LBB76_85:
	s_or_b32 exec_lo, exec_lo, s2
	v_mov_b32_e32 v39, v5
	s_mov_b32 s2, exec_lo
	v_cmpx_lt_f32_e32 v40, v5
	s_cbranch_execz .LBB76_87
; %bb.86:
	v_mov_b32_e32 v126, v55
	v_mov_b32_e32 v111, v123
	;; [unrolled: 1-line block ×3, first 2 shown]
	v_dual_mov_b32 v115, v54 :: v_dual_mov_b32 v116, v128
	v_dual_mov_b32 v138, v67 :: v_dual_mov_b32 v113, v125
	v_mov_b32_e32 v112, v124
	v_dual_mov_b32 v118, v130 :: v_dual_mov_b32 v119, v131
	v_dual_mov_b32 v120, v132 :: v_dual_mov_b32 v121, v133
	;; [unrolled: 1-line block ×24, first 2 shown]
	v_mov_b32_e32 v22, v84
	v_dual_mov_b32 v22, v38 :: v_dual_mov_b32 v25, v87
	v_dual_mov_b32 v16, v78 :: v_dual_mov_b32 v19, v81
	;; [unrolled: 1-line block ×18, first 2 shown]
	v_mov_b32_e32 v35, v73
	v_dual_mov_b32 v34, v37 :: v_dual_mov_b32 v155, v143
	v_dual_mov_b32 v36, v74 :: v_dual_mov_b32 v157, v145
	;; [unrolled: 1-line block ×12, first 2 shown]
	v_mov_b32_e32 v55, v54
.LBB76_87:
	s_or_b32 exec_lo, exec_lo, s2
	v_mov_b32_e32 v40, v6
	s_mov_b32 s2, exec_lo
	v_cmpx_lt_f32_e32 v39, v6
	s_cbranch_execz .LBB76_89
; %bb.88:
	v_mov_b32_e32 v163, v56
	v_dual_mov_b32 v75, v159 :: v_dual_mov_b32 v80, v164
	v_dual_mov_b32 v80, v55 :: v_dual_mov_b32 v81, v165
	;; [unrolled: 1-line block ×7, first 2 shown]
	v_mov_b32_e32 v85, v169
	v_dual_mov_b32 v89, v149 :: v_dual_mov_b32 v92, v152
	v_dual_mov_b32 v91, v151 :: v_dual_mov_b32 v94, v154
	;; [unrolled: 1-line block ×6, first 2 shown]
	v_mov_b32_e32 v88, v148
	v_mov_b32_e32 v6, v39
	s_delay_alu instid0(VALU_DEP_3) | instskip(NEXT) | instid1(VALU_DEP_3)
	v_dual_mov_b32 v13, v75 :: v_dual_mov_b32 v14, v76
	v_dual_mov_b32 v25, v87 :: v_dual_mov_b32 v26, v88
	;; [unrolled: 1-line block ×30, first 2 shown]
	v_mov_b32_e32 v40, v39
	v_mov_b32_e32 v68, v67
	;; [unrolled: 1-line block ×3, first 2 shown]
.LBB76_89:
	s_or_b32 exec_lo, exec_lo, s2
	v_mov_b32_e32 v39, v7
	s_mov_b32 s2, exec_lo
	v_cmpx_lt_f32_e32 v40, v7
	s_cbranch_execz .LBB76_91
; %bb.90:
	v_mov_b32_e32 v116, v57
	v_dual_mov_b32 v6, v7 :: v_dual_mov_b32 v7, v40
	v_dual_mov_b32 v104, v69 :: v_dual_mov_b32 v13, v111
	v_mov_b32_e32 v22, v120
	v_dual_mov_b32 v22, v38 :: v_dual_mov_b32 v25, v99
	v_mov_b32_e32 v34, v108
	v_dual_mov_b32 v34, v37 :: v_dual_mov_b32 v87, v99
	v_dual_mov_b32 v16, v114 :: v_dual_mov_b32 v19, v117
	;; [unrolled: 1-line block ×12, first 2 shown]
	v_mov_b32_e32 v23, v61
	v_dual_mov_b32 v21, v59 :: v_dual_mov_b32 v24, v62
	v_dual_mov_b32 v27, v101 :: v_dual_mov_b32 v26, v100
	;; [unrolled: 1-line block ×3, first 2 shown]
	v_mov_b32_e32 v35, v73
	v_dual_mov_b32 v33, v71 :: v_dual_mov_b32 v36, v74
	v_dual_mov_b32 v89, v101 :: v_dual_mov_b32 v88, v100
	;; [unrolled: 1-line block ×9, first 2 shown]
	v_mov_b32_e32 v39, v40
	v_mov_b32_e32 v69, v68
	v_dual_mov_b32 v57, v56 :: v_dual_mov_b32 v94, v106
	v_dual_mov_b32 v97, v109 :: v_dual_mov_b32 v82, v118
	;; [unrolled: 1-line block ×3, first 2 shown]
.LBB76_91:
	s_or_b32 exec_lo, exec_lo, s2
	v_mov_b32_e32 v40, v8
	s_mov_b32 s2, exec_lo
	v_cmpx_lt_f32_e32 v39, v8
	s_cbranch_execz .LBB76_93
; %bb.92:
	v_dual_mov_b32 v81, v58 :: v_dual_mov_b32 v82, v57
	v_dual_mov_b32 v83, v59 :: v_dual_mov_b32 v84, v38
	v_dual_mov_b32 v85, v61 :: v_dual_mov_b32 v98, v74
	v_dual_mov_b32 v93, v70 :: v_dual_mov_b32 v94, v69
	v_dual_mov_b32 v95, v71 :: v_dual_mov_b32 v96, v37
	v_dual_mov_b32 v97, v73 :: v_dual_mov_b32 v86, v62
	v_dual_mov_b32 v25, v87 :: v_dual_mov_b32 v26, v88
	v_dual_mov_b32 v13, v75 :: v_dual_mov_b32 v14, v76
	v_dual_mov_b32 v7, v8 :: v_dual_mov_b32 v8, v39
	v_dual_mov_b32 v27, v89 :: v_dual_mov_b32 v28, v90
	v_dual_mov_b32 v29, v91 :: v_dual_mov_b32 v30, v92
	v_dual_mov_b32 v31, v93 :: v_dual_mov_b32 v32, v94
	v_dual_mov_b32 v33, v95 :: v_dual_mov_b32 v34, v96
	v_dual_mov_b32 v35, v97 :: v_dual_mov_b32 v36, v98
	v_dual_mov_b32 v15, v77 :: v_dual_mov_b32 v16, v78
	v_dual_mov_b32 v17, v79 :: v_dual_mov_b32 v18, v80
	v_dual_mov_b32 v19, v81 :: v_dual_mov_b32 v20, v82
	v_dual_mov_b32 v21, v83 :: v_dual_mov_b32 v22, v84
	v_dual_mov_b32 v23, v85 :: v_dual_mov_b32 v24, v86
	v_mov_b32_e32 v40, v39
.LBB76_93:
	s_or_b32 exec_lo, exec_lo, s2
	s_delay_alu instid0(VALU_DEP_1)
	v_cmp_lt_f32_e32 vcc_lo, v40, v9
	v_dual_mov_b32 v38, v2 :: v_dual_mov_b32 v41, v5
	v_dual_mov_b32 v42, v6 :: v_dual_mov_b32 v47, v11
	v_dual_cndmask_b32 v145, v33, v32 :: v_dual_cndmask_b32 v32, v32, v33
	v_dual_cndmask_b32 v146, v21, v20 :: v_dual_mov_b32 v39, v3
	v_dual_cndmask_b32 v20, v20, v21 :: v_dual_cndmask_b32 v45, v9, v40
	v_dual_cndmask_b32 v44, v8, v9 :: v_dual_mov_b32 v37, v1
	v_dual_mov_b32 v40, v4 :: v_dual_mov_b32 v43, v7
	v_mov_b32_e32 v46, v10
	v_mov_b32_e32 v48, v12
	s_mov_b32 s2, exec_lo
	v_cmpx_lt_f32_e32 v1, v2
	s_cbranch_execz .LBB76_95
; %bb.94:
	v_dual_mov_b32 v49, v38 :: v_dual_mov_b32 v50, v37
	v_dual_mov_b32 v51, v39 :: v_dual_mov_b32 v52, v40
	;; [unrolled: 1-line block ×6, first 2 shown]
	v_mov_b32_e32 v3, v25
	v_mov_b32_e32 v4, v13
	v_dual_mov_b32 v37, v49 :: v_dual_mov_b32 v40, v52
	v_swap_b32 v25, v26
	v_swap_b32 v13, v14
	v_dual_mov_b32 v38, v50 :: v_dual_mov_b32 v39, v51
	v_dual_mov_b32 v41, v53 :: v_dual_mov_b32 v42, v54
	;; [unrolled: 1-line block ×5, first 2 shown]
	v_mov_b32_e32 v2, v1
.LBB76_95:
	s_or_b32 exec_lo, exec_lo, s2
	v_mov_b32_e32 v21, v146
	v_dual_mov_b32 v33, v145 :: v_dual_mov_b32 v60, v24
	v_dual_mov_b32 v72, v36 :: v_dual_mov_b32 v61, v25
	v_dual_mov_b32 v96, v36 :: v_dual_mov_b32 v51, v15
	v_dual_mov_b32 v84, v24 :: v_dual_mov_b32 v85, v25
	v_dual_mov_b32 v132, v36 :: v_dual_mov_b32 v75, v15
	v_dual_mov_b32 v144, v24 :: v_dual_mov_b32 v121, v25
	v_dual_mov_b32 v120, v36 :: v_dual_mov_b32 v135, v15
	v_dual_mov_b32 v108, v24 :: v_dual_mov_b32 v71, v35
	v_dual_mov_b32 v70, v34 :: v_dual_mov_b32 v69, v33
	v_dual_mov_b32 v68, v32 :: v_dual_mov_b32 v67, v31
	v_dual_mov_b32 v66, v30 :: v_dual_mov_b32 v65, v29
	v_dual_mov_b32 v64, v28 :: v_dual_mov_b32 v63, v27
	v_dual_mov_b32 v62, v26 :: v_dual_mov_b32 v89, v29
	v_dual_mov_b32 v88, v28 :: v_dual_mov_b32 v87, v27
	v_dual_mov_b32 v86, v26 :: v_dual_mov_b32 v131, v35
	v_dual_mov_b32 v130, v34 :: v_dual_mov_b32 v129, v33
	v_dual_mov_b32 v128, v32 :: v_dual_mov_b32 v127, v31
	v_dual_mov_b32 v126, v30 :: v_dual_mov_b32 v125, v29
	v_dual_mov_b32 v124, v28 :: v_dual_mov_b32 v123, v27
	v_dual_mov_b32 v122, v26 :: v_dual_mov_b32 v119, v35
	v_dual_mov_b32 v118, v34 :: v_dual_mov_b32 v117, v33
	v_dual_mov_b32 v116, v32 :: v_dual_mov_b32 v115, v31
	v_dual_mov_b32 v114, v30 :: v_dual_mov_b32 v113, v29
	v_dual_mov_b32 v112, v28 :: v_dual_mov_b32 v111, v27
	v_dual_mov_b32 v110, v26 :: v_dual_mov_b32 v109, v25
	v_dual_mov_b32 v58, v22 :: v_dual_mov_b32 v59, v23
	v_dual_mov_b32 v56, v20 :: v_dual_mov_b32 v57, v21
	v_dual_mov_b32 v54, v18 :: v_dual_mov_b32 v55, v19
	v_dual_mov_b32 v52, v16 :: v_dual_mov_b32 v53, v17
	v_dual_mov_b32 v50, v14 :: v_dual_mov_b32 v49, v13
	v_dual_mov_b32 v82, v22 :: v_dual_mov_b32 v79, v19
	v_dual_mov_b32 v76, v16 :: v_dual_mov_b32 v77, v17
	v_dual_mov_b32 v74, v14 :: v_dual_mov_b32 v73, v13
	v_dual_mov_b32 v142, v22 :: v_dual_mov_b32 v143, v23
	v_dual_mov_b32 v140, v20 :: v_dual_mov_b32 v141, v21
	v_dual_mov_b32 v138, v18 :: v_dual_mov_b32 v139, v19
	v_dual_mov_b32 v136, v16 :: v_dual_mov_b32 v137, v17
	v_dual_mov_b32 v134, v14 :: v_dual_mov_b32 v133, v13
	v_dual_mov_b32 v106, v22 :: v_dual_mov_b32 v107, v23
	v_dual_mov_b32 v104, v20 :: v_dual_mov_b32 v105, v21
	v_dual_mov_b32 v102, v18 :: v_dual_mov_b32 v103, v19
	v_dual_mov_b32 v100, v16 :: v_dual_mov_b32 v101, v17
	v_dual_mov_b32 v98, v14 :: v_dual_mov_b32 v99, v15
	v_mov_b32_e32 v97, v13
	v_mov_b32_e32 v1, v39
	s_mov_b32 s2, exec_lo
	v_dual_mov_b32 v95, v35 :: v_dual_mov_b32 v94, v34
	v_dual_mov_b32 v93, v33 :: v_dual_mov_b32 v92, v32
	;; [unrolled: 1-line block ×5, first 2 shown]
	v_cmpx_lt_f32_e32 v2, v39
	s_cbranch_execz .LBB76_97
; %bb.96:
	v_dual_mov_b32 v108, v24 :: v_dual_mov_b32 v107, v23
	v_dual_mov_b32 v98, v14 :: v_dual_mov_b32 v97, v13
	v_mov_b32_e32 v98, v15
	v_dual_mov_b32 v104, v20 :: v_dual_mov_b32 v103, v19
	v_dual_mov_b32 v100, v16 :: v_dual_mov_b32 v99, v15
	;; [unrolled: 1-line block ×26, first 2 shown]
	v_mov_b32_e32 v84, v144
	v_dual_mov_b32 v74, v134 :: v_dual_mov_b32 v77, v137
	v_mov_b32_e32 v75, v135
	v_dual_mov_b32 v38, v39 :: v_dual_mov_b32 v85, v121
	v_dual_mov_b32 v76, v136 :: v_dual_mov_b32 v79, v139
	;; [unrolled: 1-line block ×10, first 2 shown]
	v_mov_b32_e32 v39, v2
	v_dual_mov_b32 v49, v73 :: v_dual_mov_b32 v50, v74
	v_dual_mov_b32 v59, v83 :: v_dual_mov_b32 v60, v84
	v_dual_mov_b32 v60, v24 :: v_dual_mov_b32 v61, v85
	v_dual_mov_b32 v53, v77 :: v_dual_mov_b32 v54, v78
	v_dual_mov_b32 v55, v79 :: v_dual_mov_b32 v56, v80
	v_dual_mov_b32 v57, v81 :: v_dual_mov_b32 v58, v82
	v_dual_mov_b32 v66, v90 :: v_dual_mov_b32 v67, v91
	v_dual_mov_b32 v68, v92 :: v_dual_mov_b32 v69, v93
	v_dual_mov_b32 v70, v94 :: v_dual_mov_b32 v71, v95
	v_dual_mov_b32 v72, v96 :: v_dual_mov_b32 v67, v31
	v_dual_mov_b32 v51, v75 :: v_dual_mov_b32 v52, v76
	v_dual_mov_b32 v54, v18 :: v_dual_mov_b32 v55, v19
	v_dual_mov_b32 v56, v20 :: v_dual_mov_b32 v57, v146
	v_dual_mov_b32 v58, v22 :: v_dual_mov_b32 v59, v23
	v_dual_mov_b32 v62, v86 :: v_dual_mov_b32 v63, v87
	v_dual_mov_b32 v64, v88 :: v_dual_mov_b32 v65, v89
	v_dual_mov_b32 v66, v30 :: v_dual_mov_b32 v69, v145
	v_dual_mov_b32 v68, v32 :: v_dual_mov_b32 v71, v35
	v_mov_b32_e32 v70, v34
	v_dual_mov_b32 v72, v36 :: v_dual_mov_b32 v1, v2
	v_mov_b32_e32 v27, v26
	v_mov_b32_e32 v15, v14
.LBB76_97:
	s_or_b32 exec_lo, exec_lo, s2
	v_mov_b32_e32 v2, v40
	s_mov_b32 s2, exec_lo
	v_cmpx_lt_f32_e32 v1, v40
	s_cbranch_execz .LBB76_99
; %bb.98:
	v_mov_b32_e32 v99, v16
	v_mov_b32_e32 v144, v108
	;; [unrolled: 1-line block ×3, first 2 shown]
	v_dual_mov_b32 v136, v15 :: v_dual_mov_b32 v111, v28
	v_dual_mov_b32 v142, v106 :: v_dual_mov_b32 v133, v97
	;; [unrolled: 1-line block ×4, first 2 shown]
	v_mov_b32_e32 v135, v99
	v_dual_mov_b32 v125, v113 :: v_dual_mov_b32 v124, v112
	v_mov_b32_e32 v143, v107
	v_dual_mov_b32 v141, v105 :: v_dual_mov_b32 v140, v104
	v_dual_mov_b32 v139, v103 :: v_dual_mov_b32 v138, v102
	;; [unrolled: 1-line block ×18, first 2 shown]
	v_mov_b32_e32 v95, v131
	v_dual_mov_b32 v89, v29 :: v_dual_mov_b32 v88, v124
	v_dual_mov_b32 v49, v73 :: v_dual_mov_b32 v54, v78
	v_mov_b32_e32 v50, v74
	v_dual_mov_b32 v52, v76 :: v_dual_mov_b32 v61, v85
	s_delay_alu instid0(VALU_DEP_4)
	v_dual_mov_b32 v64, v88 :: v_dual_mov_b32 v51, v75
	v_dual_mov_b32 v56, v80 :: v_dual_mov_b32 v53, v77
	;; [unrolled: 1-line block ×12, first 2 shown]
	v_mov_b32_e32 v58, v22
	v_dual_mov_b32 v57, v146 :: v_dual_mov_b32 v60, v24
	v_dual_mov_b32 v59, v23 :: v_dual_mov_b32 v62, v86
	;; [unrolled: 1-line block ×5, first 2 shown]
	v_mov_b32_e32 v2, v1
	v_mov_b32_e32 v28, v27
	;; [unrolled: 1-line block ×3, first 2 shown]
.LBB76_99:
	s_or_b32 exec_lo, exec_lo, s2
	v_mov_b32_e32 v1, v41
	s_mov_b32 s2, exec_lo
	v_cmpx_lt_f32_e32 v2, v41
	s_cbranch_execz .LBB76_101
; %bb.100:
	v_mov_b32_e32 v100, v17
	v_mov_b32_e32 v73, v97
	;; [unrolled: 1-line block ×3, first 2 shown]
	v_dual_mov_b32 v77, v16 :: v_dual_mov_b32 v78, v102
	v_dual_mov_b32 v112, v29 :: v_dual_mov_b32 v75, v99
	;; [unrolled: 1-line block ×3, first 2 shown]
	v_mov_b32_e32 v84, v108
	v_dual_mov_b32 v74, v98 :: v_dual_mov_b32 v85, v109
	v_mov_b32_e32 v86, v110
	v_dual_mov_b32 v76, v100 :: v_dual_mov_b32 v79, v103
	v_dual_mov_b32 v80, v104 :: v_dual_mov_b32 v81, v105
	;; [unrolled: 1-line block ×8, first 2 shown]
	v_mov_b32_e32 v49, v73
	v_dual_mov_b32 v89, v28 :: v_dual_mov_b32 v50, v74
	v_dual_mov_b32 v59, v83 :: v_dual_mov_b32 v60, v84
	;; [unrolled: 1-line block ×32, first 2 shown]
	v_mov_b32_e32 v17, v16
.LBB76_101:
	s_or_b32 exec_lo, exec_lo, s2
	v_mov_b32_e32 v2, v42
	s_mov_b32 s2, exec_lo
	v_cmpx_lt_f32_e32 v1, v42
	s_cbranch_execz .LBB76_103
; %bb.102:
	v_mov_b32_e32 v137, v18
	v_mov_b32_e32 v125, v30
	v_dual_mov_b32 v41, v42 :: v_dual_mov_b32 v42, v1
	v_dual_mov_b32 v49, v133 :: v_dual_mov_b32 v50, v134
	;; [unrolled: 1-line block ×13, first 2 shown]
	v_mov_b32_e32 v66, v29
	v_dual_mov_b32 v85, v121 :: v_dual_mov_b32 v86, v122
	v_dual_mov_b32 v73, v133 :: v_dual_mov_b32 v74, v134
	v_dual_mov_b32 v52, v136 :: v_dual_mov_b32 v55, v19
	v_dual_mov_b32 v56, v20 :: v_dual_mov_b32 v57, v146
	v_mov_b32_e32 v64, v124
	v_dual_mov_b32 v58, v22 :: v_dual_mov_b32 v59, v23
	v_dual_mov_b32 v67, v31 :: v_dual_mov_b32 v68, v32
	;; [unrolled: 1-line block ×8, first 2 shown]
	v_mov_b32_e32 v2, v1
	v_mov_b32_e32 v30, v29
	v_dual_mov_b32 v18, v17 :: v_dual_mov_b32 v91, v127
	v_dual_mov_b32 v92, v128 :: v_dual_mov_b32 v93, v129
	;; [unrolled: 1-line block ×6, first 2 shown]
	v_mov_b32_e32 v84, v144
.LBB76_103:
	s_or_b32 exec_lo, exec_lo, s2
	v_mov_b32_e32 v1, v43
	s_mov_b32 s2, exec_lo
	v_cmpx_lt_f32_e32 v2, v43
	s_cbranch_execz .LBB76_105
; %bb.104:
	v_dual_mov_b32 v94, v34 :: v_dual_mov_b32 v95, v35
	v_dual_mov_b32 v78, v19 :: v_dual_mov_b32 v79, v18
	;; [unrolled: 1-line block ×6, first 2 shown]
	v_mov_b32_e32 v96, v36
	v_dual_mov_b32 v42, v43 :: v_dual_mov_b32 v43, v2
	v_dual_mov_b32 v84, v24 :: v_dual_mov_b32 v61, v85
	;; [unrolled: 1-line block ×14, first 2 shown]
.LBB76_105:
	s_or_b32 exec_lo, exec_lo, s2
	s_delay_alu instid0(VALU_DEP_1)
	v_cmp_lt_f32_e32 vcc_lo, v1, v44
	v_dual_mov_b32 v3, v39 :: v_dual_mov_b32 v10, v46
	v_dual_mov_b32 v5, v41 :: v_dual_mov_b32 v12, v48
	v_dual_cndmask_b32 v121, v68, v67 :: v_dual_mov_b32 v2, v38
	v_dual_cndmask_b32 v67, v67, v68 :: v_dual_cndmask_b32 v122, v56, v55
	v_dual_cndmask_b32 v55, v55, v56 :: v_dual_cndmask_b32 v8, v44, v1
	v_dual_cndmask_b32 v7, v43, v44 :: v_dual_mov_b32 v4, v40
	v_dual_mov_b32 v1, v37 :: v_dual_mov_b32 v6, v42
	v_mov_b32_e32 v9, v45
	v_mov_b32_e32 v11, v47
	s_mov_b32 s2, exec_lo
	v_cmpx_lt_f32_e32 v37, v38
	s_cbranch_execz .LBB76_107
; %bb.106:
	v_dual_mov_b32 v13, v2 :: v_dual_mov_b32 v14, v1
	v_dual_mov_b32 v15, v3 :: v_dual_mov_b32 v16, v4
	;; [unrolled: 1-line block ×6, first 2 shown]
	v_mov_b32_e32 v25, v61
	v_mov_b32_e32 v26, v49
	v_dual_mov_b32 v1, v13 :: v_dual_mov_b32 v4, v16
	v_swap_b32 v61, v62
	v_swap_b32 v49, v50
	v_dual_mov_b32 v2, v14 :: v_dual_mov_b32 v3, v15
	v_dual_mov_b32 v5, v17 :: v_dual_mov_b32 v6, v18
	;; [unrolled: 1-line block ×5, first 2 shown]
	v_mov_b32_e32 v38, v37
.LBB76_107:
	s_or_b32 exec_lo, exec_lo, s2
	v_mov_b32_e32 v56, v122
	v_mov_b32_e32 v68, v121
	;; [unrolled: 1-line block ×3, first 2 shown]
	v_dual_mov_b32 v27, v51 :: v_dual_mov_b32 v84, v72
	v_mov_b32_e32 v81, v69
	v_dual_mov_b32 v83, v71 :: v_dual_mov_b32 v96, v60
	v_dual_mov_b32 v91, v55 :: v_dual_mov_b32 v120, v72
	;; [unrolled: 1-line block ×31, first 2 shown]
	v_mov_b32_e32 v24, v60
	s_mov_b32 s2, exec_lo
	v_dual_mov_b32 v118, v70 :: v_dual_mov_b32 v115, v67
	v_dual_mov_b32 v116, v68 :: v_dual_mov_b32 v113, v65
	;; [unrolled: 1-line block ×3, first 2 shown]
	v_cmpx_lt_f32_e32 v38, v3
	s_cbranch_execz .LBB76_109
; %bb.108:
	v_dual_mov_b32 v13, v49 :: v_dual_mov_b32 v14, v50
	v_dual_mov_b32 v23, v59 :: v_dual_mov_b32 v24, v60
	;; [unrolled: 1-line block ×30, first 2 shown]
	v_mov_b32_e32 v112, v64
	v_dual_mov_b32 v34, v94 :: v_dual_mov_b32 v35, v95
	v_dual_mov_b32 v35, v59 :: v_dual_mov_b32 v34, v58
	;; [unrolled: 1-line block ×15, first 2 shown]
	v_mov_b32_e32 v81, v69
	v_dual_mov_b32 v80, v121 :: v_dual_mov_b32 v83, v71
	v_mov_b32_e32 v82, v70
	v_dual_mov_b32 v84, v72 :: v_dual_mov_b32 v37, v38
	v_mov_b32_e32 v63, v62
	v_mov_b32_e32 v51, v50
.LBB76_109:
	s_or_b32 exec_lo, exec_lo, s2
	v_mov_b32_e32 v38, v4
	s_mov_b32 s2, exec_lo
	v_cmpx_lt_f32_e32 v37, v4
	s_cbranch_execz .LBB76_111
; %bb.110:
	v_mov_b32_e32 v15, v52
	v_mov_b32_e32 v96, v24
	;; [unrolled: 1-line block ×3, first 2 shown]
	v_dual_mov_b32 v88, v51 :: v_dual_mov_b32 v99, v64
	v_dual_mov_b32 v94, v22 :: v_dual_mov_b32 v85, v13
	;; [unrolled: 1-line block ×3, first 2 shown]
	v_mov_b32_e32 v95, v23
	v_dual_mov_b32 v93, v21 :: v_dual_mov_b32 v92, v20
	v_dual_mov_b32 v91, v19 :: v_dual_mov_b32 v90, v18
	;; [unrolled: 1-line block ×7, first 2 shown]
	v_mov_b32_e32 v87, v15
	v_dual_mov_b32 v111, v99 :: v_dual_mov_b32 v110, v98
	v_dual_mov_b32 v112, v63 :: v_dual_mov_b32 v25, v85
	;; [unrolled: 1-line block ×3, first 2 shown]
	s_delay_alu instid0(VALU_DEP_3)
	v_dual_mov_b32 v74, v110 :: v_dual_mov_b32 v29, v89
	v_dual_mov_b32 v30, v90 :: v_dual_mov_b32 v31, v91
	;; [unrolled: 1-line block ×8, first 2 shown]
	v_mov_b32_e32 v84, v120
	v_dual_mov_b32 v3, v4 :: v_dual_mov_b32 v4, v37
	v_dual_mov_b32 v27, v87 :: v_dual_mov_b32 v28, v88
	;; [unrolled: 1-line block ×11, first 2 shown]
	v_mov_b32_e32 v38, v37
	v_mov_b32_e32 v64, v63
	;; [unrolled: 1-line block ×3, first 2 shown]
.LBB76_111:
	s_or_b32 exec_lo, exec_lo, s2
	v_mov_b32_e32 v16, v5
	s_mov_b32 s2, exec_lo
	v_cmpx_lt_f32_e32 v38, v5
	s_cbranch_execz .LBB76_113
; %bb.112:
	v_mov_b32_e32 v100, v65
	v_mov_b32_e32 v16, v53
	v_dual_mov_b32 v4, v5 :: v_dual_mov_b32 v5, v38
	v_dual_mov_b32 v36, v24 :: v_dual_mov_b32 v33, v21
	;; [unrolled: 1-line block ×3, first 2 shown]
	v_mov_b32_e32 v31, v19
	v_dual_mov_b32 v35, v59 :: v_dual_mov_b32 v34, v58
	v_dual_mov_b32 v73, v97 :: v_dual_mov_b32 v32, v20
	v_dual_mov_b32 v29, v17 :: v_dual_mov_b32 v30, v18
	v_dual_mov_b32 v27, v15 :: v_dual_mov_b32 v74, v98
	v_dual_mov_b32 v77, v101 :: v_dual_mov_b32 v76, v100
	v_dual_mov_b32 v79, v103 :: v_dual_mov_b32 v78, v102
	v_dual_mov_b32 v81, v105 :: v_dual_mov_b32 v80, v104
	v_dual_mov_b32 v83, v107 :: v_dual_mov_b32 v82, v106
	v_mov_b32_e32 v77, v64
	v_dual_mov_b32 v84, v108 :: v_dual_mov_b32 v79, v67
	v_dual_mov_b32 v120, v108 :: v_dual_mov_b32 v115, v103
	;; [unrolled: 1-line block ×19, first 2 shown]
	v_mov_b32_e32 v88, v16
	v_dual_mov_b32 v86, v14 :: v_dual_mov_b32 v65, v64
	v_dual_mov_b32 v16, v38 :: v_dual_mov_b32 v53, v52
	;; [unrolled: 1-line block ×3, first 2 shown]
.LBB76_113:
	s_or_b32 exec_lo, exec_lo, s2
	v_mov_b32_e32 v13, v6
	s_mov_b32 s2, exec_lo
	v_cmpx_lt_f32_e32 v16, v6
	s_cbranch_execz .LBB76_115
; %bb.114:
	v_dual_mov_b32 v89, v54 :: v_dual_mov_b32 v90, v53
	v_dual_mov_b32 v91, v55 :: v_dual_mov_b32 v92, v122
	;; [unrolled: 1-line block ×21, first 2 shown]
	v_mov_b32_e32 v13, v16
.LBB76_115:
	s_or_b32 exec_lo, exec_lo, s2
	s_delay_alu instid0(VALU_DEP_1)
	v_cmp_lt_f32_e32 vcc_lo, v13, v7
	v_dual_mov_b32 v14, v2 :: v_dual_mov_b32 v17, v5
	v_dual_mov_b32 v16, v4 :: v_dual_mov_b32 v21, v9
	v_dual_cndmask_b32 v37, v79, v78 :: v_dual_cndmask_b32 v78, v78, v79
	v_cndmask_b32_e32 v38, v31, v30, vcc_lo
	v_dual_cndmask_b32 v30, v30, v31 :: v_dual_cndmask_b32 v19, v7, v13
	v_dual_cndmask_b32 v18, v6, v7 :: v_dual_mov_b32 v15, v3
	v_dual_mov_b32 v13, v1 :: v_dual_mov_b32 v20, v8
	v_dual_mov_b32 v23, v11 :: v_dual_mov_b32 v22, v10
	v_mov_b32_e32 v24, v12
	s_mov_b32 s2, exec_lo
	v_cmpx_lt_f32_e32 v1, v2
	s_cbranch_execz .LBB76_117
; %bb.116:
	v_dual_mov_b32 v2, v14 :: v_dual_mov_b32 v3, v13
	v_dual_mov_b32 v12, v23 :: v_dual_mov_b32 v13, v24
	;; [unrolled: 1-line block ×6, first 2 shown]
	v_mov_b32_e32 v24, v13
	v_mov_b32_e32 v31, v73
	v_dual_mov_b32 v39, v25 :: v_dual_mov_b32 v18, v7
	v_swap_b32 v73, v74
	v_swap_b32 v25, v26
	v_dual_mov_b32 v23, v12 :: v_dual_mov_b32 v20, v9
	v_dual_mov_b32 v22, v11 :: v_dual_mov_b32 v21, v10
	;; [unrolled: 1-line block ×4, first 2 shown]
	v_mov_b32_e32 v15, v4
	v_dual_mov_b32 v13, v2 :: v_dual_mov_b32 v2, v1
.LBB76_117:
	s_or_b32 exec_lo, exec_lo, s2
	v_mov_b32_e32 v31, v38
	v_dual_mov_b32 v79, v37 :: v_dual_mov_b32 v50, v36
	v_dual_mov_b32 v51, v73 :: v_dual_mov_b32 v52, v74
	;; [unrolled: 1-line block ×24, first 2 shown]
	v_mov_b32_e32 v85, v25
	v_mov_b32_e32 v1, v15
	s_mov_b32 s2, exec_lo
	v_cmpx_lt_f32_e32 v2, v15
	s_cbranch_execz .LBB76_119
; %bb.118:
	v_dual_mov_b32 v96, v36 :: v_dual_mov_b32 v95, v35
	v_dual_mov_b32 v86, v26 :: v_dual_mov_b32 v85, v25
	;; [unrolled: 1-line block ×8, first 2 shown]
	v_mov_b32_e32 v105, v81
	v_dual_mov_b32 v43, v89 :: v_dual_mov_b32 v44, v90
	v_dual_mov_b32 v100, v76 :: v_dual_mov_b32 v97, v73
	;; [unrolled: 1-line block ×6, first 2 shown]
	v_mov_b32_e32 v98, v74
	v_dual_mov_b32 v98, v75 :: v_dual_mov_b32 v99, v74
	v_dual_mov_b32 v49, v95 :: v_dual_mov_b32 v50, v96
	;; [unrolled: 1-line block ×12, first 2 shown]
	v_mov_b32_e32 v40, v86
	v_dual_mov_b32 v42, v28 :: v_dual_mov_b32 v43, v29
	v_dual_mov_b32 v45, v38 :: v_dual_mov_b32 v46, v32
	;; [unrolled: 1-line block ×9, first 2 shown]
	v_mov_b32_e32 v75, v74
	v_mov_b32_e32 v27, v26
.LBB76_119:
	s_or_b32 exec_lo, exec_lo, s2
	v_mov_b32_e32 v2, v16
	s_mov_b32 s2, exec_lo
	v_cmpx_lt_f32_e32 v1, v16
	s_cbranch_execz .LBB76_121
; %bb.120:
	v_mov_b32_e32 v87, v28
	v_mov_b32_e32 v99, v76
	v_dual_mov_b32 v15, v16 :: v_dual_mov_b32 v16, v1
	v_dual_mov_b32 v39, v85 :: v_dual_mov_b32 v42, v88
	;; [unrolled: 1-line block ×13, first 2 shown]
	v_mov_b32_e32 v56, v78
	v_mov_b32_e32 v40, v86
	v_dual_mov_b32 v42, v27 :: v_dual_mov_b32 v43, v29
	v_dual_mov_b32 v45, v38 :: v_dual_mov_b32 v46, v32
	;; [unrolled: 1-line block ×8, first 2 shown]
	v_mov_b32_e32 v2, v1
	v_mov_b32_e32 v76, v75
	;; [unrolled: 1-line block ×3, first 2 shown]
.LBB76_121:
	s_or_b32 exec_lo, exec_lo, s2
	v_mov_b32_e32 v1, v17
	s_mov_b32 s2, exec_lo
	v_cmpx_lt_f32_e32 v2, v17
	s_cbranch_execz .LBB76_123
; %bb.122:
	v_dual_mov_b32 v106, v82 :: v_dual_mov_b32 v107, v83
	v_dual_mov_b32 v88, v29 :: v_dual_mov_b32 v89, v28
	;; [unrolled: 1-line block ×8, first 2 shown]
	v_mov_b32_e32 v108, v84
	v_dual_mov_b32 v16, v17 :: v_dual_mov_b32 v17, v2
	v_dual_mov_b32 v96, v36 :: v_dual_mov_b32 v51, v97
	v_dual_mov_b32 v60, v106 :: v_dual_mov_b32 v39, v85
	v_dual_mov_b32 v52, v98 :: v_dual_mov_b32 v55, v101
	v_dual_mov_b32 v53, v99 :: v_dual_mov_b32 v54, v100
	v_dual_mov_b32 v57, v103 :: v_dual_mov_b32 v56, v102
	v_dual_mov_b32 v59, v105 :: v_dual_mov_b32 v58, v104
	v_dual_mov_b32 v61, v107 :: v_dual_mov_b32 v62, v108
	v_dual_mov_b32 v41, v87 :: v_dual_mov_b32 v40, v86
	v_dual_mov_b32 v43, v89 :: v_dual_mov_b32 v42, v88
	v_dual_mov_b32 v45, v91 :: v_dual_mov_b32 v44, v90
	v_dual_mov_b32 v47, v93 :: v_dual_mov_b32 v46, v92
	v_dual_mov_b32 v49, v95 :: v_dual_mov_b32 v48, v94
	v_dual_mov_b32 v50, v96 :: v_dual_mov_b32 v1, v2
.LBB76_123:
	s_or_b32 exec_lo, exec_lo, s2
	s_delay_alu instid0(VALU_DEP_1)
	v_cmp_lt_f32_e32 vcc_lo, v1, v18
	v_dual_mov_b32 v27, v13 :: v_dual_mov_b32 v34, v20
	v_dual_mov_b32 v29, v15 :: v_dual_mov_b32 v36, v22
	v_dual_cndmask_b32 v63, v56, v55 :: v_dual_cndmask_b32 v32, v18, v1
	v_dual_cndmask_b32 v55, v55, v56 :: v_dual_cndmask_b32 v64, v44, v43
	v_dual_cndmask_b32 v43, v43, v44 :: v_dual_mov_b32 v28, v14
	v_dual_cndmask_b32 v31, v17, v18 :: v_dual_mov_b32 v30, v16
	v_dual_mov_b32 v33, v19 :: v_dual_mov_b32 v38, v24
	v_mov_b32_e32 v35, v21
	v_mov_b32_e32 v37, v23
	s_mov_b32 s2, exec_lo
	v_cmpx_lt_f32_e32 v13, v14
	s_cbranch_execz .LBB76_125
; %bb.124:
	s_delay_alu instid0(VALU_DEP_2)
	v_dual_mov_b32 v11, v37 :: v_dual_mov_b32 v12, v38
	v_dual_mov_b32 v1, v28 :: v_dual_mov_b32 v2, v27
	;; [unrolled: 1-line block ×7, first 2 shown]
	s_delay_alu instid0(VALU_DEP_2)
	v_dual_mov_b32 v16, v39 :: v_dual_mov_b32 v35, v9
	v_swap_b32 v51, v52
	v_swap_b32 v39, v40
	v_dual_mov_b32 v37, v11 :: v_dual_mov_b32 v36, v10
	v_dual_mov_b32 v34, v8 :: v_dual_mov_b32 v33, v7
	;; [unrolled: 1-line block ×5, first 2 shown]
	v_mov_b32_e32 v14, v13
.LBB76_125:
	s_or_b32 exec_lo, exec_lo, s2
	v_mov_b32_e32 v44, v64
	v_mov_b32_e32 v56, v63
	;; [unrolled: 1-line block ×4, first 2 shown]
	v_dual_mov_b32 v15, v51 :: v_dual_mov_b32 v2, v40
	v_dual_mov_b32 v16, v52 :: v_dual_mov_b32 v17, v53
	;; [unrolled: 1-line block ×11, first 2 shown]
	v_mov_b32_e32 v12, v50
	s_mov_b32 s2, exec_lo
	v_cmpx_lt_f32_e32 v14, v29
	s_cbranch_execz .LBB76_127
; %bb.126:
	v_dual_mov_b32 v1, v39 :: v_dual_mov_b32 v2, v40
	v_dual_mov_b32 v11, v49 :: v_dual_mov_b32 v12, v50
	;; [unrolled: 1-line block ×25, first 2 shown]
	v_mov_b32_e32 v41, v40
.LBB76_127:
	s_or_b32 exec_lo, exec_lo, s2
	v_mov_b32_e32 v39, v30
	s_mov_b32 s2, exec_lo
	v_cmpx_lt_f32_e32 v13, v30
	s_cbranch_execz .LBB76_129
; %bb.128:
	v_dual_mov_b32 v29, v30 :: v_dual_mov_b32 v30, v13
	v_dual_mov_b32 v3, v42 :: v_dual_mov_b32 v4, v41
	;; [unrolled: 1-line block ×11, first 2 shown]
	v_mov_b32_e32 v39, v13
.LBB76_129:
	s_or_b32 exec_lo, exec_lo, s2
	s_delay_alu instid0(VALU_DEP_1)
	v_cmp_lt_f32_e32 vcc_lo, v39, v31
	v_dual_mov_b32 v40, v28 :: v_dual_mov_b32 v45, v33
	v_dual_mov_b32 v44, v32 :: v_dual_mov_b32 v47, v35
	v_dual_cndmask_b32 v13, v19, v18 :: v_dual_cndmask_b32 v18, v18, v19
	v_dual_cndmask_b32 v14, v5, v4 :: v_dual_cndmask_b32 v43, v31, v39
	v_dual_cndmask_b32 v4, v4, v5 :: v_dual_mov_b32 v39, v27
	v_dual_cndmask_b32 v42, v30, v31 :: v_dual_mov_b32 v41, v29
	v_dual_mov_b32 v46, v34 :: v_dual_mov_b32 v49, v37
	v_mov_b32_e32 v48, v36
	v_mov_b32_e32 v50, v38
	s_mov_b32 s2, exec_lo
	v_cmpx_lt_f32_e32 v27, v28
	s_cbranch_execz .LBB76_131
; %bb.130:
	v_dual_mov_b32 v28, v40 :: v_dual_mov_b32 v29, v39
	v_dual_mov_b32 v38, v49 :: v_dual_mov_b32 v39, v50
	;; [unrolled: 1-line block ×7, first 2 shown]
	v_mov_b32_e32 v5, v15
	v_swap_b32 v15, v16
	s_delay_alu instid0(VALU_DEP_4)
	v_mov_b32_e32 v48, v37
	v_swap_b32 v1, v2
	v_dual_mov_b32 v49, v38 :: v_dual_mov_b32 v46, v35
	v_dual_mov_b32 v47, v36 :: v_dual_mov_b32 v44, v33
	;; [unrolled: 1-line block ×4, first 2 shown]
	v_mov_b32_e32 v41, v30
	v_dual_mov_b32 v39, v28 :: v_dual_mov_b32 v28, v27
.LBB76_131:
	s_or_b32 exec_lo, exec_lo, s2
	v_mov_b32_e32 v5, v14
	v_mov_b32_e32 v19, v13
	v_mov_b32_e32 v27, v41
	s_mov_b32 s2, exec_lo
	v_cmpx_lt_f32_e32 v28, v41
	s_cbranch_execz .LBB76_133
; %bb.132:
	v_dual_mov_b32 v74, v26 :: v_dual_mov_b32 v73, v25
	v_dual_mov_b32 v62, v12 :: v_dual_mov_b32 v61, v11
	;; [unrolled: 1-line block ×22, first 2 shown]
	v_mov_b32_e32 v74, v26
	v_dual_mov_b32 v40, v41 :: v_dual_mov_b32 v41, v28
	v_dual_mov_b32 v62, v12 :: v_dual_mov_b32 v15, v63
	;; [unrolled: 1-line block ×14, first 2 shown]
.LBB76_133:
	s_or_b32 exec_lo, exec_lo, s2
	s_delay_alu instid0(VALU_DEP_1)
	v_cmp_lt_f32_e32 vcc_lo, v27, v42
	v_dual_mov_b32 v28, v23 :: v_dual_mov_b32 v29, v24
	v_dual_mov_b32 v30, v25 :: v_dual_mov_b32 v31, v26
	v_dual_cndmask_b32 v13, v18, v17 :: v_dual_cndmask_b32 v14, v4, v3
	v_dual_cndmask_b32 v51, v17, v18 :: v_dual_cndmask_b32 v56, v3, v4
	v_dual_cndmask_b32 v3, v42, v27 :: v_dual_cndmask_b32 v60, v41, v42
	v_cmp_lt_f32_e32 vcc_lo, v39, v40
	v_dual_mov_b32 v4, v19 :: v_dual_mov_b32 v17, v20
	v_dual_mov_b32 v18, v21 :: v_dual_mov_b32 v27, v22
	;; [unrolled: 1-line block ×10, first 2 shown]
	v_mov_b32_e32 v59, v50
	s_and_saveexec_b32 s2, vcc_lo
	s_cbranch_execz .LBB76_135
; %bb.134:
	v_dual_mov_b32 v42, v40 :: v_dual_mov_b32 v27, v22
	v_dual_mov_b32 v4, v15 :: v_dual_mov_b32 v17, v20
	;; [unrolled: 1-line block ×3, first 2 shown]
	v_swap_b32 v15, v16
	v_swap_b32 v1, v2
	v_dual_mov_b32 v40, v39 :: v_dual_mov_b32 v29, v24
	v_dual_mov_b32 v4, v19 :: v_dual_mov_b32 v31, v26
	v_dual_mov_b32 v18, v21 :: v_dual_mov_b32 v33, v6
	v_dual_mov_b32 v28, v23 :: v_dual_mov_b32 v35, v8
	v_dual_mov_b32 v30, v25 :: v_dual_mov_b32 v37, v10
	v_dual_mov_b32 v32, v5 :: v_dual_mov_b32 v41, v12
	v_dual_mov_b32 v34, v7 :: v_dual_mov_b32 v39, v42
	v_dual_mov_b32 v36, v9 :: v_dual_mov_b32 v55, v47
	v_dual_mov_b32 v38, v11 :: v_dual_mov_b32 v53, v45
	v_dual_mov_b32 v42, v43 :: v_dual_mov_b32 v57, v48
	v_dual_mov_b32 v52, v44 :: v_dual_mov_b32 v59, v50
	v_mov_b32_e32 v54, v46
	v_mov_b32_e32 v58, v49
.LBB76_135:
	s_or_b32 exec_lo, exec_lo, s2
	s_clause 0x1
	s_load_b32 s8, s[0:1], 0x28
	s_load_b128 s[4:7], s[0:1], 0x10
	s_waitcnt lgkmcnt(0)
	s_cmp_lt_i32 s8, 1
	s_cbranch_scc1 .LBB76_141
; %bb.136:
	v_cmp_lt_f32_e32 vcc_lo, v40, v60
	v_dual_mov_b32 v7, 0 :: v_dual_mov_b32 v6, 0
	s_mov_b32 s9, 0x76543210
	s_mov_b32 s10, s8
	v_dual_cndmask_b32 v5, v56, v2 :: v_dual_cndmask_b32 v12, v61, v60
	v_dual_cndmask_b32 v10, v2, v56 :: v_dual_cndmask_b32 v19, v16, v51
	v_cndmask_b32_e32 v2, v60, v40, vcc_lo
	v_cndmask_b32_e32 v8, v51, v16, vcc_lo
	s_delay_alu instid0(VALU_DEP_4) | instskip(NEXT) | instid1(VALU_DEP_1)
	v_cmp_lt_f32_e64 s2, v39, v12
	v_cndmask_b32_e64 v9, v10, v1, s2
	v_cndmask_b32_e64 v10, v1, v10, s2
	;; [unrolled: 1-line block ×6, first 2 shown]
	v_mov_b32_e32 v19, v0
	v_mov_b32_e32 v1, 0
.LBB76_137:                             ; =>This Inner Loop Header: Depth=1
	v_cmp_eq_u32_e32 vcc_lo, 1, v7
	v_cmp_eq_u32_e64 s2, 2, v7
	v_cmp_gt_u32_e64 s3, 12, v7
	v_dual_cndmask_b32 v20, v12, v11 :: v_dual_cndmask_b32 v21, v10, v9
	s_delay_alu instid0(VALU_DEP_1) | instskip(NEXT) | instid1(VALU_DEP_2)
	v_cndmask_b32_e64 v20, v20, v2, s2
	v_cndmask_b32_e64 v21, v21, v5, s2
	v_cndmask_b32_e32 v22, v15, v16, vcc_lo
	v_cmp_eq_u32_e32 vcc_lo, 3, v7
	s_delay_alu instid0(VALU_DEP_3) | instskip(NEXT) | instid1(VALU_DEP_3)
	v_cndmask_b32_e32 v21, v21, v14, vcc_lo
	v_cndmask_b32_e64 v22, v22, v8, s2
	v_cmp_eq_u32_e64 s2, 4, v7
	s_delay_alu instid0(VALU_DEP_2) | instskip(NEXT) | instid1(VALU_DEP_2)
	v_cndmask_b32_e32 v22, v22, v13, vcc_lo
	v_cndmask_b32_e64 v21, v21, v32, s2
	v_cndmask_b32_e32 v20, v20, v3, vcc_lo
	v_cmp_eq_u32_e32 vcc_lo, 5, v7
	s_delay_alu instid0(VALU_DEP_4) | instskip(NEXT) | instid1(VALU_DEP_4)
	v_cndmask_b32_e64 v22, v22, v4, s2
	v_cndmask_b32_e32 v21, v21, v33, vcc_lo
	s_delay_alu instid0(VALU_DEP_4) | instskip(SKIP_1) | instid1(VALU_DEP_4)
	v_cndmask_b32_e64 v20, v20, v42, s2
	v_cmp_eq_u32_e64 s2, 6, v7
	v_cndmask_b32_e32 v22, v22, v17, vcc_lo
	s_delay_alu instid0(VALU_DEP_3) | instskip(SKIP_1) | instid1(VALU_DEP_4)
	v_cndmask_b32_e32 v20, v20, v52, vcc_lo
	v_cmp_eq_u32_e32 vcc_lo, 7, v7
	v_cndmask_b32_e64 v21, v21, v34, s2
	s_delay_alu instid0(VALU_DEP_4) | instskip(NEXT) | instid1(VALU_DEP_4)
	v_cndmask_b32_e64 v22, v22, v18, s2
	v_cndmask_b32_e64 v20, v20, v53, s2
	v_cmp_eq_u32_e64 s2, 8, v7
	s_delay_alu instid0(VALU_DEP_4) | instskip(NEXT) | instid1(VALU_DEP_4)
	v_cndmask_b32_e32 v21, v21, v35, vcc_lo
	v_cndmask_b32_e32 v22, v22, v27, vcc_lo
	s_delay_alu instid0(VALU_DEP_4) | instskip(SKIP_1) | instid1(VALU_DEP_4)
	v_cndmask_b32_e32 v20, v20, v54, vcc_lo
	v_cmp_eq_u32_e32 vcc_lo, 9, v7
	v_cndmask_b32_e64 v21, v21, v36, s2
	s_delay_alu instid0(VALU_DEP_4) | instskip(NEXT) | instid1(VALU_DEP_4)
	v_cndmask_b32_e64 v22, v22, v28, s2
	v_cndmask_b32_e64 v20, v20, v55, s2
	v_cmp_eq_u32_e64 s2, 10, v7
	s_delay_alu instid0(VALU_DEP_4) | instskip(NEXT) | instid1(VALU_DEP_4)
	v_cndmask_b32_e32 v21, v21, v37, vcc_lo
	v_cndmask_b32_e32 v22, v22, v29, vcc_lo
	s_delay_alu instid0(VALU_DEP_4) | instskip(SKIP_1) | instid1(VALU_DEP_4)
	v_cndmask_b32_e32 v20, v20, v57, vcc_lo
	v_cmp_eq_u32_e32 vcc_lo, 11, v7
	v_cndmask_b32_e64 v21, v21, v38, s2
	s_delay_alu instid0(VALU_DEP_3) | instskip(NEXT) | instid1(VALU_DEP_1)
	v_cndmask_b32_e64 v20, v20, v58, s2
	v_dual_cndmask_b32 v21, v21, v41 :: v_dual_cndmask_b32 v20, v20, v59
	s_delay_alu instid0(VALU_DEP_1)
	v_cndmask_b32_e64 v20, 0xff800000, v20, s3
	;;#ASMSTART
	v_max_f32 v23, v20, v20 quad_perm:[1,0,3,2] row_mask:0xf bank_mask:0xf bound_ctrl:1
	;;#ASMEND
	;;#ASMSTART
	v_max_f32 v24, v23, v23 quad_perm:[2,3,0,1] row_mask:0xf bank_mask:0xf bound_ctrl:1
	;;#ASMEND
	;;#ASMSTART
	v_max_f32 v23, v24, v24 row_half_mirror row_mask:0xf bank_mask:0xf bound_ctrl:1
	;;#ASMEND
	;;#ASMSTART
	v_max_f32 v24, v23, v23 row_mirror row_mask:0xf bank_mask:0xf bound_ctrl:1
	;;#ASMEND
	v_permlanex16_b32 v23, v24, s9, 0xfedcba98 op_sel:[1,1]
	s_delay_alu instid0(VALU_DEP_1) | instskip(NEXT) | instid1(VALU_DEP_1)
	v_dual_max_f32 v24, v24, v24 :: v_dual_max_f32 v23, v23, v23
	v_max_f32_e32 v23, v24, v23
	v_cndmask_b32_e64 v22, v22, v30, s2
	s_delay_alu instid0(VALU_DEP_2) | instskip(SKIP_1) | instid1(VALU_DEP_2)
	v_cmp_eq_f32_e64 s2, v20, v23
	v_cndmask_b32_e64 v20, 0, v21, s3
	s_ctz_i32_b32 s11, s2
	s_cmp_lg_u32 s2, 0
	s_cselect_b32 s2, s11, 0
	s_add_i32 s10, s10, -1
	v_readlane_b32 s11, v20, s2
	v_cndmask_b32_e32 v20, v22, v31, vcc_lo
	s_delay_alu instid0(VALU_DEP_2)
	v_cmp_eq_u32_e32 vcc_lo, s11, v21
	s_and_b32 s2, s11, 31
	s_and_b32 vcc_lo, s3, vcc_lo
	s_cmp_eq_u32 s10, 0
	v_cndmask_b32_e32 v20, 0, v20, vcc_lo
	v_add_co_ci_u32_e32 v7, vcc_lo, 0, v7, vcc_lo
	s_delay_alu instid0(VALU_DEP_2) | instskip(SKIP_2) | instid1(VALU_DEP_2)
	v_readlane_b32 s3, v20, s2
	v_cmp_eq_u32_e64 s2, 0, v19
	v_add_nc_u32_e32 v19, -1, v19
	v_cndmask_b32_e64 v6, v6, s3, s2
	v_cndmask_b32_e64 v1, v1, s11, s2
	s_cbranch_scc0 .LBB76_137
; %bb.138:
	s_mov_b32 s2, exec_lo
	v_cmpx_gt_i32_e64 s8, v0
	s_cbranch_execz .LBB76_140
.LBB76_139:
	s_clause 0x1
	s_load_b64 s[2:3], s[0:1], 0x20
	s_load_b32 s8, s[0:1], 0x30
	s_ashr_i32 s0, s15, 31
	s_waitcnt lgkmcnt(0)
	s_mul_i32 s1, s15, s3
	s_mul_hi_u32 s3, s15, s2
	s_mul_i32 s0, s0, s2
	s_add_i32 s1, s3, s1
	v_mul_f32_e32 v0, s8, v6
	s_add_i32 s1, s1, s0
	s_mul_i32 s0, s15, s2
	s_delay_alu instid0(SALU_CYCLE_1) | instskip(NEXT) | instid1(SALU_CYCLE_1)
	s_lshl_b64 s[0:1], s[0:1], 2
	s_add_u32 s2, s4, s0
	s_addc_u32 s3, s5, s1
	s_add_u32 s0, s6, s0
	s_addc_u32 s1, s7, s1
	s_clause 0x1
	global_store_b32 v183, v0, s[2:3]
	global_store_b32 v183, v1, s[0:1]
.LBB76_140:
	s_endpgm
.LBB76_141:
	v_dual_mov_b32 v1, 0 :: v_dual_mov_b32 v6, 0
	s_mov_b32 s2, exec_lo
	v_cmpx_gt_i32_e64 s8, v0
	s_cbranch_execnz .LBB76_139
	s_branch .LBB76_140
	.section	.rodata,"a",@progbits
	.p2align	6, 0x0
	.amdhsa_kernel _ZN5aiter24topk_softplus_kernel_optIf12hip_bfloat16Li384ELb0ELi1EEEvPKT_PKT0_PfPimiif
		.amdhsa_group_segment_fixed_size 0
		.amdhsa_private_segment_fixed_size 196
		.amdhsa_kernarg_size 52
		.amdhsa_user_sgpr_count 15
		.amdhsa_user_sgpr_dispatch_ptr 0
		.amdhsa_user_sgpr_queue_ptr 0
		.amdhsa_user_sgpr_kernarg_segment_ptr 1
		.amdhsa_user_sgpr_dispatch_id 0
		.amdhsa_user_sgpr_private_segment_size 0
		.amdhsa_wavefront_size32 1
		.amdhsa_uses_dynamic_stack 0
		.amdhsa_enable_private_segment 1
		.amdhsa_system_sgpr_workgroup_id_x 1
		.amdhsa_system_sgpr_workgroup_id_y 0
		.amdhsa_system_sgpr_workgroup_id_z 0
		.amdhsa_system_sgpr_workgroup_info 0
		.amdhsa_system_vgpr_workitem_id 0
		.amdhsa_next_free_vgpr 184
		.amdhsa_next_free_sgpr 16
		.amdhsa_reserve_vcc 1
		.amdhsa_float_round_mode_32 0
		.amdhsa_float_round_mode_16_64 0
		.amdhsa_float_denorm_mode_32 3
		.amdhsa_float_denorm_mode_16_64 3
		.amdhsa_dx10_clamp 1
		.amdhsa_ieee_mode 1
		.amdhsa_fp16_overflow 0
		.amdhsa_workgroup_processor_mode 1
		.amdhsa_memory_ordered 1
		.amdhsa_forward_progress 0
		.amdhsa_shared_vgpr_count 0
		.amdhsa_exception_fp_ieee_invalid_op 0
		.amdhsa_exception_fp_denorm_src 0
		.amdhsa_exception_fp_ieee_div_zero 0
		.amdhsa_exception_fp_ieee_overflow 0
		.amdhsa_exception_fp_ieee_underflow 0
		.amdhsa_exception_fp_ieee_inexact 0
		.amdhsa_exception_int_div_zero 0
	.end_amdhsa_kernel
	.section	.text._ZN5aiter24topk_softplus_kernel_optIf12hip_bfloat16Li384ELb0ELi1EEEvPKT_PKT0_PfPimiif,"axG",@progbits,_ZN5aiter24topk_softplus_kernel_optIf12hip_bfloat16Li384ELb0ELi1EEEvPKT_PKT0_PfPimiif,comdat
.Lfunc_end76:
	.size	_ZN5aiter24topk_softplus_kernel_optIf12hip_bfloat16Li384ELb0ELi1EEEvPKT_PKT0_PfPimiif, .Lfunc_end76-_ZN5aiter24topk_softplus_kernel_optIf12hip_bfloat16Li384ELb0ELi1EEEvPKT_PKT0_PfPimiif
                                        ; -- End function
	.section	.AMDGPU.csdata,"",@progbits
; Kernel info:
; codeLenInByte = 27912
; NumSgprs: 18
; NumVgprs: 184
; ScratchSize: 196
; MemoryBound: 0
; FloatMode: 240
; IeeeMode: 1
; LDSByteSize: 0 bytes/workgroup (compile time only)
; SGPRBlocks: 2
; VGPRBlocks: 22
; NumSGPRsForWavesPerEU: 18
; NumVGPRsForWavesPerEU: 184
; Occupancy: 8
; WaveLimiterHint : 0
; COMPUTE_PGM_RSRC2:SCRATCH_EN: 1
; COMPUTE_PGM_RSRC2:USER_SGPR: 15
; COMPUTE_PGM_RSRC2:TRAP_HANDLER: 0
; COMPUTE_PGM_RSRC2:TGID_X_EN: 1
; COMPUTE_PGM_RSRC2:TGID_Y_EN: 0
; COMPUTE_PGM_RSRC2:TGID_Z_EN: 0
; COMPUTE_PGM_RSRC2:TIDIG_COMP_CNT: 0
	.section	.text._ZN5aiter20topk_softplus_kernelIf12hip_bfloat16Dv4_fLb1ELi1EEEvPKT_PKT0_PfPimiiif,"axG",@progbits,_ZN5aiter20topk_softplus_kernelIf12hip_bfloat16Dv4_fLb1ELi1EEEvPKT_PKT0_PfPimiiif,comdat
	.protected	_ZN5aiter20topk_softplus_kernelIf12hip_bfloat16Dv4_fLb1ELi1EEEvPKT_PKT0_PfPimiiif ; -- Begin function _ZN5aiter20topk_softplus_kernelIf12hip_bfloat16Dv4_fLb1ELi1EEEvPKT_PKT0_PfPimiiif
	.globl	_ZN5aiter20topk_softplus_kernelIf12hip_bfloat16Dv4_fLb1ELi1EEEvPKT_PKT0_PfPimiiif
	.p2align	8
	.type	_ZN5aiter20topk_softplus_kernelIf12hip_bfloat16Dv4_fLb1ELi1EEEvPKT_PKT0_PfPimiiif,@function
_ZN5aiter20topk_softplus_kernelIf12hip_bfloat16Dv4_fLb1ELi1EEEvPKT_PKT0_PfPimiiif: ; @_ZN5aiter20topk_softplus_kernelIf12hip_bfloat16Dv4_fLb1ELi1EEEvPKT_PKT0_PfPimiiif
; %bb.0:
	s_clause 0x1
	s_load_b64 s[12:13], s[0:1], 0x28
	s_load_b256 s[4:11], s[0:1], 0x0
	v_lshlrev_b32_e32 v11, 2, v0
	s_waitcnt lgkmcnt(0)
	s_ashr_i32 s2, s12, 31
	s_mul_i32 s16, s15, s12
	s_lshr_b32 s2, s2, 30
	s_ashr_i32 s17, s16, 31
	s_add_i32 s2, s12, s2
	s_delay_alu instid0(SALU_CYCLE_1) | instskip(NEXT) | instid1(SALU_CYCLE_1)
	s_ashr_i32 s14, s2, 2
	v_cmp_gt_i32_e64 s2, s14, v0
	s_delay_alu instid0(VALU_DEP_1)
	s_and_saveexec_b32 s18, s2
	s_cbranch_execz .LBB77_11
; %bb.1:
	s_load_b32 s3, s[0:1], 0x44
	s_cmp_lg_u64 s[6:7], 0
	v_dual_mov_b32 v6, 0 :: v_dual_lshlrev_b32 v1, 4, v0
	s_cselect_b32 s19, -1, 0
	v_lshlrev_b32_e32 v5, 2, v0
	s_delay_alu instid0(VALU_DEP_2)
	v_dual_mov_b32 v13, v0 :: v_dual_add_nc_u32 v12, 0, v1
	s_waitcnt lgkmcnt(0)
	s_and_b32 s20, s3, 0xffff
	s_add_u32 s21, s6, 2
	s_addc_u32 s22, s7, 0
	s_add_u32 s23, s6, 4
	s_addc_u32 s24, s7, 0
	;; [unrolled: 2-line block ×3, first 2 shown]
	s_lshl_b64 s[28:29], s[16:17], 2
	s_delay_alu instid0(SALU_CYCLE_1) | instskip(SKIP_2) | instid1(VALU_DEP_1)
	s_add_u32 s3, s4, s28
	s_addc_u32 s27, s5, s29
	v_add_co_u32 v7, s3, s3, v1
	v_add_co_ci_u32_e64 v8, null, s27, 0, s3
	s_mov_b32 s27, 0
	s_lshl_b32 s28, s20, 4
	s_lshl_b32 s29, s20, 2
	s_branch .LBB77_3
.LBB77_2:                               ;   in Loop: Header=BB77_3 Depth=1
	v_add_nc_u32_e32 v13, s20, v13
	v_add_co_u32 v7, s3, v7, s28
	ds_store_b128 v12, v[1:4]
	v_add_co_ci_u32_e64 v8, s3, 0, v8, s3
	v_cmp_le_i32_e32 vcc_lo, s14, v13
	v_add_nc_u32_e32 v5, s29, v5
	v_add_nc_u32_e32 v12, s28, v12
	s_or_b32 s27, vcc_lo, s27
	s_delay_alu instid0(SALU_CYCLE_1)
	s_and_not1_b32 exec_lo, exec_lo, s27
	s_cbranch_execz .LBB77_11
.LBB77_3:                               ; =>This Inner Loop Header: Depth=1
	global_load_b128 v[1:4], v[7:8], off
	s_waitcnt vmcnt(0)
	v_mul_f32_e32 v9, 0xbfb8aa3b, v1
	s_delay_alu instid0(VALU_DEP_1) | instskip(SKIP_3) | instid1(VALU_DEP_2)
	v_cmp_gt_f32_e32 vcc_lo, 0xc2fc0000, v9
	v_cndmask_b32_e64 v10, 0, 0x42800000, vcc_lo
	v_cndmask_b32_e64 v9, 1.0, 0x1f800000, vcc_lo
	s_and_not1_b32 vcc_lo, exec_lo, s19
	v_fmac_f32_e32 v10, 0xbfb8aa3b, v1
	s_delay_alu instid0(VALU_DEP_1) | instskip(SKIP_3) | instid1(VALU_DEP_2)
	v_exp_f32_e32 v1, v10
	s_waitcnt_depctr 0xfff
	v_fma_f32 v1, v1, v9, 1.0
	v_lshlrev_b64 v[9:10], 1, v[5:6]
	v_rcp_f32_e32 v1, v1
	s_cbranch_vccnz .LBB77_5
; %bb.4:                                ;   in Loop: Header=BB77_3 Depth=1
	s_delay_alu instid0(VALU_DEP_1) | instskip(NEXT) | instid1(VALU_DEP_2)
	v_add_co_u32 v14, vcc_lo, s6, v9
	v_add_co_ci_u32_e32 v15, vcc_lo, s7, v10, vcc_lo
	global_load_u16 v14, v[14:15], off
	s_waitcnt vmcnt(0)
	v_lshlrev_b32_e32 v14, 16, v14
	s_delay_alu instid0(VALU_DEP_1)
	v_add_f32_e32 v1, v1, v14
.LBB77_5:                               ;   in Loop: Header=BB77_3 Depth=1
	v_mul_f32_e32 v14, 0xbfb8aa3b, v2
	s_delay_alu instid0(VALU_DEP_1) | instskip(SKIP_3) | instid1(VALU_DEP_2)
	v_cmp_gt_f32_e32 vcc_lo, 0xc2fc0000, v14
	v_cndmask_b32_e64 v15, 0, 0x42800000, vcc_lo
	v_cndmask_b32_e64 v14, 1.0, 0x1f800000, vcc_lo
	s_and_not1_b32 vcc_lo, exec_lo, s19
	v_fmac_f32_e32 v15, 0xbfb8aa3b, v2
	s_delay_alu instid0(VALU_DEP_1) | instskip(SKIP_2) | instid1(VALU_DEP_1)
	v_exp_f32_e32 v2, v15
	s_waitcnt_depctr 0xfff
	v_fma_f32 v2, v2, v14, 1.0
	v_rcp_f32_e32 v2, v2
	s_cbranch_vccnz .LBB77_7
; %bb.6:                                ;   in Loop: Header=BB77_3 Depth=1
	v_add_co_u32 v14, vcc_lo, s21, v9
	v_add_co_ci_u32_e32 v15, vcc_lo, s22, v10, vcc_lo
	global_load_u16 v14, v[14:15], off
	s_waitcnt vmcnt(0)
	v_lshlrev_b32_e32 v14, 16, v14
	s_delay_alu instid0(VALU_DEP_1)
	v_add_f32_e32 v2, v2, v14
.LBB77_7:                               ;   in Loop: Header=BB77_3 Depth=1
	v_mul_f32_e32 v14, 0xbfb8aa3b, v3
	s_delay_alu instid0(VALU_DEP_1) | instskip(SKIP_3) | instid1(VALU_DEP_2)
	v_cmp_gt_f32_e32 vcc_lo, 0xc2fc0000, v14
	v_cndmask_b32_e64 v15, 0, 0x42800000, vcc_lo
	v_cndmask_b32_e64 v14, 1.0, 0x1f800000, vcc_lo
	s_and_not1_b32 vcc_lo, exec_lo, s19
	v_fmac_f32_e32 v15, 0xbfb8aa3b, v3
	s_delay_alu instid0(VALU_DEP_1) | instskip(SKIP_2) | instid1(VALU_DEP_1)
	v_exp_f32_e32 v3, v15
	s_waitcnt_depctr 0xfff
	v_fma_f32 v3, v3, v14, 1.0
	v_rcp_f32_e32 v3, v3
	s_cbranch_vccnz .LBB77_9
; %bb.8:                                ;   in Loop: Header=BB77_3 Depth=1
	v_add_co_u32 v14, vcc_lo, s23, v9
	v_add_co_ci_u32_e32 v15, vcc_lo, s24, v10, vcc_lo
	global_load_u16 v14, v[14:15], off
	s_waitcnt vmcnt(0)
	v_lshlrev_b32_e32 v14, 16, v14
	s_delay_alu instid0(VALU_DEP_1)
	v_add_f32_e32 v3, v3, v14
.LBB77_9:                               ;   in Loop: Header=BB77_3 Depth=1
	v_mul_f32_e32 v14, 0xbfb8aa3b, v4
	s_delay_alu instid0(VALU_DEP_1) | instskip(SKIP_3) | instid1(VALU_DEP_2)
	v_cmp_gt_f32_e32 vcc_lo, 0xc2fc0000, v14
	v_cndmask_b32_e64 v15, 0, 0x42800000, vcc_lo
	v_cndmask_b32_e64 v14, 1.0, 0x1f800000, vcc_lo
	s_and_not1_b32 vcc_lo, exec_lo, s19
	v_fmac_f32_e32 v15, 0xbfb8aa3b, v4
	s_delay_alu instid0(VALU_DEP_1) | instskip(SKIP_2) | instid1(VALU_DEP_1)
	v_exp_f32_e32 v4, v15
	s_waitcnt_depctr 0xfff
	v_fma_f32 v4, v4, v14, 1.0
	v_rcp_f32_e32 v4, v4
	s_cbranch_vccnz .LBB77_2
; %bb.10:                               ;   in Loop: Header=BB77_3 Depth=1
	v_add_co_u32 v9, vcc_lo, s25, v9
	v_add_co_ci_u32_e32 v10, vcc_lo, s26, v10, vcc_lo
	global_load_u16 v9, v[9:10], off
	s_waitcnt vmcnt(0)
	v_lshlrev_b32_e32 v9, 16, v9
	s_delay_alu instid0(VALU_DEP_1)
	v_add_f32_e32 v4, v4, v9
	s_branch .LBB77_2
.LBB77_11:
	s_or_b32 exec_lo, exec_lo, s18
	v_lshl_add_u32 v1, s14, 2, v0
	s_mov_b32 s3, exec_lo
	s_delay_alu instid0(VALU_DEP_1)
	v_cmpx_gt_i32_e64 s12, v1
	s_cbranch_execz .LBB77_16
; %bb.12:
	s_load_b32 s18, s[0:1], 0x44
	s_lshl_b64 s[16:17], s[16:17], 2
	v_lshlrev_b32_e32 v2, 2, v0
	s_add_u32 s4, s4, s16
	s_addc_u32 s5, s5, s17
	s_cmp_lg_u64 s[6:7], 0
	s_cselect_b32 s16, -1, 0
	s_lshl_b32 s17, s14, 4
	s_delay_alu instid0(SALU_CYCLE_1)
	v_add3_u32 v3, 0, s17, v2
	s_waitcnt lgkmcnt(0)
	s_and_b32 s17, s18, 0xffff
	s_mov_b32 s18, 0
	s_lshl_b32 s19, s17, 2
	s_set_inst_prefetch_distance 0x1
	s_branch .LBB77_14
	.p2align	6
.LBB77_13:                              ;   in Loop: Header=BB77_14 Depth=1
	v_add_nc_u32_e32 v1, s17, v1
	v_add_nc_u32_e32 v3, s19, v3
	s_delay_alu instid0(VALU_DEP_2) | instskip(SKIP_1) | instid1(SALU_CYCLE_1)
	v_cmp_le_i32_e32 vcc_lo, s12, v1
	s_or_b32 s18, vcc_lo, s18
	s_and_not1_b32 exec_lo, exec_lo, s18
	s_cbranch_execz .LBB77_16
.LBB77_14:                              ; =>This Inner Loop Header: Depth=1
	v_ashrrev_i32_e32 v2, 31, v1
	s_delay_alu instid0(VALU_DEP_1) | instskip(NEXT) | instid1(VALU_DEP_1)
	v_lshlrev_b64 v[4:5], 2, v[1:2]
	v_add_co_u32 v4, vcc_lo, s4, v4
	s_delay_alu instid0(VALU_DEP_2) | instskip(SKIP_3) | instid1(VALU_DEP_1)
	v_add_co_ci_u32_e32 v5, vcc_lo, s5, v5, vcc_lo
	global_load_b32 v4, v[4:5], off
	s_waitcnt vmcnt(0)
	v_mul_f32_e32 v5, 0xbfb8aa3b, v4
	v_cmp_gt_f32_e32 vcc_lo, 0xc2fc0000, v5
	v_cndmask_b32_e64 v5, 0, 0x42800000, vcc_lo
	s_delay_alu instid0(VALU_DEP_1) | instskip(NEXT) | instid1(VALU_DEP_1)
	v_fmac_f32_e32 v5, 0xbfb8aa3b, v4
	v_exp_f32_e32 v4, v5
	v_cndmask_b32_e64 v5, 1.0, 0x1f800000, vcc_lo
	s_and_not1_b32 vcc_lo, exec_lo, s16
	s_waitcnt_depctr 0xfff
	v_fma_f32 v4, v4, v5, 1.0
	s_delay_alu instid0(VALU_DEP_1)
	v_rcp_f32_e32 v4, v4
	ds_store_b32 v3, v4
	s_cbranch_vccnz .LBB77_13
; %bb.15:                               ;   in Loop: Header=BB77_14 Depth=1
	v_lshlrev_b64 v[5:6], 1, v[1:2]
	s_delay_alu instid0(VALU_DEP_1) | instskip(NEXT) | instid1(VALU_DEP_2)
	v_add_co_u32 v5, vcc_lo, s6, v5
	v_add_co_ci_u32_e32 v6, vcc_lo, s7, v6, vcc_lo
	global_load_u16 v2, v[5:6], off
	s_waitcnt vmcnt(0)
	v_lshlrev_b32_e32 v2, 16, v2
	s_delay_alu instid0(VALU_DEP_1)
	v_add_f32_e32 v2, v4, v2
	ds_store_b32 v3, v2
	s_branch .LBB77_13
.LBB77_16:
	s_set_inst_prefetch_distance 0x2
	s_or_b32 exec_lo, exec_lo, s3
	v_mov_b32_e32 v2, 0
	s_cmp_lt_i32 s13, 1
	s_waitcnt lgkmcnt(0)
	s_barrier
	buffer_gl0_inv
	s_cbranch_scc1 .LBB77_25
; %bb.17:
	s_add_u32 s4, s0, 56
	s_addc_u32 s5, s1, 0
	v_lshl_add_u32 v4, v0, 4, 0
	v_dual_mov_b32 v2, 0 :: v_dual_mov_b32 v5, 0
	v_dual_mov_b32 v6, 0xff800000 :: v_dual_mov_b32 v1, 0
	v_mov_b32_e32 v3, 0
	s_cmp_lg_u64 s[6:7], 0
	s_mov_b32 s18, 0
	s_cselect_b32 s12, -1, 0
	s_mov_b32 s19, 0x76543210
	s_branch .LBB77_19
.LBB77_18:                              ;   in Loop: Header=BB77_19 Depth=1
	v_cmp_eq_u32_e32 vcc_lo, s18, v0
	s_delay_alu instid0(VALU_DEP_2) | instskip(NEXT) | instid1(VALU_DEP_2)
	s_lshl_b32 s3, s16, 2
	v_add_f32_e32 v3, v3, v9
	s_add_i32 s3, s3, 0
	s_add_i32 s18, s18, 1
	v_cndmask_b32_e64 v1, v1, s16, vcc_lo
	v_dual_mov_b32 v7, s3 :: v_dual_cndmask_b32 v2, v2, v9
	s_cmp_eq_u32 s18, s13
	ds_store_b32 v7, v6
	s_cbranch_scc1 .LBB77_26
.LBB77_19:                              ; =>This Loop Header: Depth=1
                                        ;     Child Loop BB77_21 Depth 2
	v_dual_mov_b32 v7, s18 :: v_dual_mov_b32 v8, 0xff800000
	s_and_saveexec_b32 s16, s2
	s_cbranch_execz .LBB77_23
; %bb.20:                               ;   in Loop: Header=BB77_19 Depth=1
	s_load_b32 s3, s[4:5], 0xc
	v_dual_mov_b32 v7, s18 :: v_dual_mov_b32 v8, 0xff800000
	v_dual_mov_b32 v9, v4 :: v_dual_mov_b32 v10, v11
	v_mov_b32_e32 v12, v0
	s_mov_b32 s21, 0
	s_waitcnt lgkmcnt(0)
	s_and_b32 s17, s3, 0xffff
	s_delay_alu instid0(SALU_CYCLE_1)
	s_lshl_b32 s20, s17, 2
	s_lshl_b32 s22, s17, 4
	.p2align	6
.LBB77_21:                              ;   Parent Loop BB77_19 Depth=1
                                        ; =>  This Inner Loop Header: Depth=2
	ds_load_b128 v[13:16], v9
	v_add_nc_u32_e32 v9, s22, v9
	s_waitcnt lgkmcnt(0)
	v_cmp_gt_f32_e32 vcc_lo, v13, v8
	v_dual_cndmask_b32 v8, v8, v13 :: v_dual_add_nc_u32 v13, 1, v10
	v_cndmask_b32_e32 v7, v7, v10, vcc_lo
	s_delay_alu instid0(VALU_DEP_2) | instskip(NEXT) | instid1(VALU_DEP_2)
	v_cmp_gt_f32_e32 vcc_lo, v14, v8
	v_dual_cndmask_b32 v8, v8, v14 :: v_dual_cndmask_b32 v7, v7, v13
	s_delay_alu instid0(VALU_DEP_1) | instskip(SKIP_4) | instid1(VALU_DEP_3)
	v_cmp_gt_f32_e32 vcc_lo, v15, v8
	v_dual_cndmask_b32 v8, v8, v15 :: v_dual_add_nc_u32 v13, 3, v10
	v_add_nc_u32_e32 v14, 2, v10
	v_add_nc_u32_e32 v12, s17, v12
	;; [unrolled: 1-line block ×3, first 2 shown]
	v_cndmask_b32_e32 v7, v7, v14, vcc_lo
	v_cmp_gt_f32_e32 vcc_lo, v16, v8
	s_delay_alu instid0(VALU_DEP_4) | instskip(NEXT) | instid1(VALU_DEP_3)
	v_cmp_le_i32_e64 s3, s14, v12
	v_dual_cndmask_b32 v8, v8, v16 :: v_dual_cndmask_b32 v7, v7, v13
	s_delay_alu instid0(VALU_DEP_2) | instskip(NEXT) | instid1(SALU_CYCLE_1)
	s_or_b32 s21, s3, s21
	s_and_not1_b32 exec_lo, exec_lo, s21
	s_cbranch_execnz .LBB77_21
; %bb.22:                               ;   in Loop: Header=BB77_19 Depth=1
	s_or_b32 exec_lo, exec_lo, s21
.LBB77_23:                              ;   in Loop: Header=BB77_19 Depth=1
	s_delay_alu instid0(SALU_CYCLE_1)
	s_or_b32 exec_lo, exec_lo, s16
	;;#ASMSTART
	v_max_f32 v9, v8, v8 quad_perm:[1,0,3,2] row_mask:0xf bank_mask:0xf bound_ctrl:1
	;;#ASMEND
	;;#ASMSTART
	v_max_f32 v10, v9, v9 quad_perm:[2,3,0,1] row_mask:0xf bank_mask:0xf bound_ctrl:1
	;;#ASMEND
	;;#ASMSTART
	v_max_f32 v9, v10, v10 row_half_mirror row_mask:0xf bank_mask:0xf bound_ctrl:1
	;;#ASMEND
	;;#ASMSTART
	v_max_f32 v10, v9, v9 row_mirror row_mask:0xf bank_mask:0xf bound_ctrl:1
	;;#ASMEND
	v_permlanex16_b32 v9, v10, s19, 0xfedcba98 op_sel:[1,1]
	s_delay_alu instid0(VALU_DEP_1) | instskip(NEXT) | instid1(VALU_DEP_1)
	v_dual_max_f32 v10, v10, v10 :: v_dual_max_f32 v9, v9, v9
	v_max_f32_e32 v9, v10, v9
	s_delay_alu instid0(VALU_DEP_1)
	v_cmp_eq_f32_e32 vcc_lo, v8, v9
	s_ctz_i32_b32 s3, vcc_lo
	s_cmp_lg_u32 vcc_lo, 0
	s_cselect_b32 s3, s3, 0
	s_and_b32 vcc_lo, exec_lo, s12
	v_readlane_b32 s16, v7, s3
	s_cbranch_vccz .LBB77_18
; %bb.24:                               ;   in Loop: Header=BB77_19 Depth=1
	s_delay_alu instid0(VALU_DEP_1) | instskip(NEXT) | instid1(SALU_CYCLE_1)
	s_ashr_i32 s17, s16, 31
	s_lshl_b64 s[20:21], s[16:17], 1
	s_delay_alu instid0(SALU_CYCLE_1) | instskip(SKIP_4) | instid1(VALU_DEP_1)
	s_add_u32 s20, s6, s20
	s_addc_u32 s21, s7, s21
	global_load_u16 v7, v5, s[20:21]
	s_waitcnt vmcnt(0)
	v_lshlrev_b32_e32 v7, 16, v7
	v_sub_f32_e32 v9, v9, v7
	s_branch .LBB77_18
.LBB77_25:
	v_mov_b32_e32 v1, 0
	v_mov_b32_e32 v3, 0
.LBB77_26:
	s_mov_b32 s2, exec_lo
	v_cmpx_gt_i32_e64 s13, v0
	s_cbranch_execz .LBB77_29
; %bb.27:
	s_clause 0x1
	s_load_b32 s2, s[0:1], 0x34
	s_load_b32 s3, s[0:1], 0x44
	v_max_f32_e32 v3, v3, v3
	s_load_b64 s[0:1], s[0:1], 0x20
	s_ashr_i32 s4, s15, 31
	s_delay_alu instid0(VALU_DEP_1) | instskip(SKIP_1) | instid1(VALU_DEP_1)
	v_max_f32_e32 v3, 0x1e3ce508, v3
	s_waitcnt lgkmcnt(0)
	v_div_scale_f32 v4, null, v3, v3, s2
	v_div_scale_f32 v7, vcc_lo, s2, v3, s2
	s_mul_i32 s1, s15, s1
	s_delay_alu instid0(VALU_DEP_2) | instskip(SKIP_4) | instid1(VALU_DEP_1)
	v_rcp_f32_e32 v5, v4
	s_mul_i32 s4, s4, s0
	s_and_b32 s3, s3, 0xffff
	s_waitcnt_depctr 0xfff
	v_fma_f32 v6, -v4, v5, 1.0
	v_fmac_f32_e32 v5, v6, v5
	s_delay_alu instid0(VALU_DEP_1) | instskip(NEXT) | instid1(VALU_DEP_1)
	v_mul_f32_e32 v6, v7, v5
	v_fma_f32 v8, -v4, v6, v7
	s_delay_alu instid0(VALU_DEP_1) | instskip(NEXT) | instid1(VALU_DEP_1)
	v_fmac_f32_e32 v6, v8, v5
	v_fma_f32 v4, -v4, v6, v7
	s_delay_alu instid0(VALU_DEP_1) | instskip(NEXT) | instid1(VALU_DEP_1)
	v_div_fmas_f32 v4, v4, v5, v6
	v_div_fixup_f32 v3, v4, v3, s2
	s_mul_hi_u32 s2, s15, s0
	s_delay_alu instid0(SALU_CYCLE_1) | instskip(SKIP_1) | instid1(VALU_DEP_1)
	s_add_i32 s1, s2, s1
	s_mul_i32 s2, s15, s0
	v_mul_f32_e32 v2, v2, v3
	s_add_i32 s1, s1, s4
	s_mov_b32 s4, 0
	.p2align	6
.LBB77_28:                              ; =>This Inner Loop Header: Depth=1
	v_ashrrev_i32_e32 v4, 31, v0
	v_add_co_u32 v3, vcc_lo, s2, v0
	v_add_nc_u32_e32 v0, s3, v0
	s_delay_alu instid0(VALU_DEP_3) | instskip(NEXT) | instid1(VALU_DEP_2)
	v_add_co_ci_u32_e32 v4, vcc_lo, s1, v4, vcc_lo
	v_cmp_le_i32_e32 vcc_lo, s13, v0
	s_delay_alu instid0(VALU_DEP_2) | instskip(SKIP_1) | instid1(VALU_DEP_1)
	v_lshlrev_b64 v[3:4], 2, v[3:4]
	s_or_b32 s4, vcc_lo, s4
	v_add_co_u32 v5, s0, s8, v3
	s_delay_alu instid0(VALU_DEP_1) | instskip(SKIP_1) | instid1(VALU_DEP_1)
	v_add_co_ci_u32_e64 v6, s0, s9, v4, s0
	v_add_co_u32 v3, s0, s10, v3
	v_add_co_ci_u32_e64 v4, s0, s11, v4, s0
	global_store_b32 v[5:6], v2, off
	global_store_b32 v[3:4], v1, off
	s_and_not1_b32 exec_lo, exec_lo, s4
	s_cbranch_execnz .LBB77_28
.LBB77_29:
	s_nop 0
	s_sendmsg sendmsg(MSG_DEALLOC_VGPRS)
	s_endpgm
	.section	.rodata,"a",@progbits
	.p2align	6, 0x0
	.amdhsa_kernel _ZN5aiter20topk_softplus_kernelIf12hip_bfloat16Dv4_fLb1ELi1EEEvPKT_PKT0_PfPimiiif
		.amdhsa_group_segment_fixed_size 0
		.amdhsa_private_segment_fixed_size 0
		.amdhsa_kernarg_size 312
		.amdhsa_user_sgpr_count 15
		.amdhsa_user_sgpr_dispatch_ptr 0
		.amdhsa_user_sgpr_queue_ptr 0
		.amdhsa_user_sgpr_kernarg_segment_ptr 1
		.amdhsa_user_sgpr_dispatch_id 0
		.amdhsa_user_sgpr_private_segment_size 0
		.amdhsa_wavefront_size32 1
		.amdhsa_uses_dynamic_stack 0
		.amdhsa_enable_private_segment 0
		.amdhsa_system_sgpr_workgroup_id_x 1
		.amdhsa_system_sgpr_workgroup_id_y 0
		.amdhsa_system_sgpr_workgroup_id_z 0
		.amdhsa_system_sgpr_workgroup_info 0
		.amdhsa_system_vgpr_workitem_id 0
		.amdhsa_next_free_vgpr 17
		.amdhsa_next_free_sgpr 30
		.amdhsa_reserve_vcc 1
		.amdhsa_float_round_mode_32 0
		.amdhsa_float_round_mode_16_64 0
		.amdhsa_float_denorm_mode_32 3
		.amdhsa_float_denorm_mode_16_64 3
		.amdhsa_dx10_clamp 1
		.amdhsa_ieee_mode 1
		.amdhsa_fp16_overflow 0
		.amdhsa_workgroup_processor_mode 1
		.amdhsa_memory_ordered 1
		.amdhsa_forward_progress 0
		.amdhsa_shared_vgpr_count 0
		.amdhsa_exception_fp_ieee_invalid_op 0
		.amdhsa_exception_fp_denorm_src 0
		.amdhsa_exception_fp_ieee_div_zero 0
		.amdhsa_exception_fp_ieee_overflow 0
		.amdhsa_exception_fp_ieee_underflow 0
		.amdhsa_exception_fp_ieee_inexact 0
		.amdhsa_exception_int_div_zero 0
	.end_amdhsa_kernel
	.section	.text._ZN5aiter20topk_softplus_kernelIf12hip_bfloat16Dv4_fLb1ELi1EEEvPKT_PKT0_PfPimiiif,"axG",@progbits,_ZN5aiter20topk_softplus_kernelIf12hip_bfloat16Dv4_fLb1ELi1EEEvPKT_PKT0_PfPimiiif,comdat
.Lfunc_end77:
	.size	_ZN5aiter20topk_softplus_kernelIf12hip_bfloat16Dv4_fLb1ELi1EEEvPKT_PKT0_PfPimiiif, .Lfunc_end77-_ZN5aiter20topk_softplus_kernelIf12hip_bfloat16Dv4_fLb1ELi1EEEvPKT_PKT0_PfPimiiif
                                        ; -- End function
	.section	.AMDGPU.csdata,"",@progbits
; Kernel info:
; codeLenInByte = 1984
; NumSgprs: 32
; NumVgprs: 17
; ScratchSize: 0
; MemoryBound: 0
; FloatMode: 240
; IeeeMode: 1
; LDSByteSize: 0 bytes/workgroup (compile time only)
; SGPRBlocks: 3
; VGPRBlocks: 2
; NumSGPRsForWavesPerEU: 32
; NumVGPRsForWavesPerEU: 17
; Occupancy: 16
; WaveLimiterHint : 0
; COMPUTE_PGM_RSRC2:SCRATCH_EN: 0
; COMPUTE_PGM_RSRC2:USER_SGPR: 15
; COMPUTE_PGM_RSRC2:TRAP_HANDLER: 0
; COMPUTE_PGM_RSRC2:TGID_X_EN: 1
; COMPUTE_PGM_RSRC2:TGID_Y_EN: 0
; COMPUTE_PGM_RSRC2:TGID_Z_EN: 0
; COMPUTE_PGM_RSRC2:TIDIG_COMP_CNT: 0
	.section	.text._ZN5aiter20topk_softplus_kernelIf12hip_bfloat16Dv4_fLb0ELi1EEEvPKT_PKT0_PfPimiiif,"axG",@progbits,_ZN5aiter20topk_softplus_kernelIf12hip_bfloat16Dv4_fLb0ELi1EEEvPKT_PKT0_PfPimiiif,comdat
	.protected	_ZN5aiter20topk_softplus_kernelIf12hip_bfloat16Dv4_fLb0ELi1EEEvPKT_PKT0_PfPimiiif ; -- Begin function _ZN5aiter20topk_softplus_kernelIf12hip_bfloat16Dv4_fLb0ELi1EEEvPKT_PKT0_PfPimiiif
	.globl	_ZN5aiter20topk_softplus_kernelIf12hip_bfloat16Dv4_fLb0ELi1EEEvPKT_PKT0_PfPimiiif
	.p2align	8
	.type	_ZN5aiter20topk_softplus_kernelIf12hip_bfloat16Dv4_fLb0ELi1EEEvPKT_PKT0_PfPimiiif,@function
_ZN5aiter20topk_softplus_kernelIf12hip_bfloat16Dv4_fLb0ELi1EEEvPKT_PKT0_PfPimiiif: ; @_ZN5aiter20topk_softplus_kernelIf12hip_bfloat16Dv4_fLb0ELi1EEEvPKT_PKT0_PfPimiiif
; %bb.0:
	s_clause 0x1
	s_load_b64 s[12:13], s[0:1], 0x28
	s_load_b256 s[4:11], s[0:1], 0x0
	v_lshlrev_b32_e32 v11, 2, v0
	s_waitcnt lgkmcnt(0)
	s_ashr_i32 s2, s12, 31
	s_mul_i32 s16, s15, s12
	s_lshr_b32 s2, s2, 30
	s_ashr_i32 s17, s16, 31
	s_add_i32 s2, s12, s2
	s_delay_alu instid0(SALU_CYCLE_1) | instskip(NEXT) | instid1(SALU_CYCLE_1)
	s_ashr_i32 s14, s2, 2
	v_cmp_gt_i32_e64 s2, s14, v0
	s_delay_alu instid0(VALU_DEP_1)
	s_and_saveexec_b32 s18, s2
	s_cbranch_execz .LBB78_11
; %bb.1:
	s_load_b32 s3, s[0:1], 0x44
	s_cmp_lg_u64 s[6:7], 0
	v_dual_mov_b32 v6, 0 :: v_dual_lshlrev_b32 v1, 4, v0
	s_cselect_b32 s19, -1, 0
	v_lshlrev_b32_e32 v5, 2, v0
	s_delay_alu instid0(VALU_DEP_2)
	v_dual_mov_b32 v13, v0 :: v_dual_add_nc_u32 v12, 0, v1
	s_waitcnt lgkmcnt(0)
	s_and_b32 s20, s3, 0xffff
	s_add_u32 s21, s6, 2
	s_addc_u32 s22, s7, 0
	s_add_u32 s23, s6, 4
	s_addc_u32 s24, s7, 0
	;; [unrolled: 2-line block ×3, first 2 shown]
	s_lshl_b64 s[28:29], s[16:17], 2
	s_delay_alu instid0(SALU_CYCLE_1) | instskip(SKIP_2) | instid1(VALU_DEP_1)
	s_add_u32 s3, s4, s28
	s_addc_u32 s27, s5, s29
	v_add_co_u32 v7, s3, s3, v1
	v_add_co_ci_u32_e64 v8, null, s27, 0, s3
	s_mov_b32 s27, 0
	s_lshl_b32 s28, s20, 4
	s_lshl_b32 s29, s20, 2
	s_branch .LBB78_3
.LBB78_2:                               ;   in Loop: Header=BB78_3 Depth=1
	v_add_nc_u32_e32 v13, s20, v13
	v_add_co_u32 v7, s3, v7, s28
	ds_store_b128 v12, v[1:4]
	v_add_co_ci_u32_e64 v8, s3, 0, v8, s3
	v_cmp_le_i32_e32 vcc_lo, s14, v13
	v_add_nc_u32_e32 v5, s29, v5
	v_add_nc_u32_e32 v12, s28, v12
	s_or_b32 s27, vcc_lo, s27
	s_delay_alu instid0(SALU_CYCLE_1)
	s_and_not1_b32 exec_lo, exec_lo, s27
	s_cbranch_execz .LBB78_11
.LBB78_3:                               ; =>This Inner Loop Header: Depth=1
	global_load_b128 v[1:4], v[7:8], off
	s_waitcnt vmcnt(0)
	v_mul_f32_e32 v9, 0xbfb8aa3b, v1
	s_delay_alu instid0(VALU_DEP_1) | instskip(SKIP_3) | instid1(VALU_DEP_2)
	v_cmp_gt_f32_e32 vcc_lo, 0xc2fc0000, v9
	v_cndmask_b32_e64 v10, 0, 0x42800000, vcc_lo
	v_cndmask_b32_e64 v9, 1.0, 0x1f800000, vcc_lo
	s_and_not1_b32 vcc_lo, exec_lo, s19
	v_fmac_f32_e32 v10, 0xbfb8aa3b, v1
	s_delay_alu instid0(VALU_DEP_1) | instskip(SKIP_3) | instid1(VALU_DEP_2)
	v_exp_f32_e32 v1, v10
	s_waitcnt_depctr 0xfff
	v_fma_f32 v1, v1, v9, 1.0
	v_lshlrev_b64 v[9:10], 1, v[5:6]
	v_rcp_f32_e32 v1, v1
	s_cbranch_vccnz .LBB78_5
; %bb.4:                                ;   in Loop: Header=BB78_3 Depth=1
	s_delay_alu instid0(VALU_DEP_1) | instskip(NEXT) | instid1(VALU_DEP_2)
	v_add_co_u32 v14, vcc_lo, s6, v9
	v_add_co_ci_u32_e32 v15, vcc_lo, s7, v10, vcc_lo
	global_load_u16 v14, v[14:15], off
	s_waitcnt vmcnt(0)
	v_lshlrev_b32_e32 v14, 16, v14
	s_delay_alu instid0(VALU_DEP_1)
	v_add_f32_e32 v1, v1, v14
.LBB78_5:                               ;   in Loop: Header=BB78_3 Depth=1
	v_mul_f32_e32 v14, 0xbfb8aa3b, v2
	s_delay_alu instid0(VALU_DEP_1) | instskip(SKIP_3) | instid1(VALU_DEP_2)
	v_cmp_gt_f32_e32 vcc_lo, 0xc2fc0000, v14
	v_cndmask_b32_e64 v15, 0, 0x42800000, vcc_lo
	v_cndmask_b32_e64 v14, 1.0, 0x1f800000, vcc_lo
	s_and_not1_b32 vcc_lo, exec_lo, s19
	v_fmac_f32_e32 v15, 0xbfb8aa3b, v2
	s_delay_alu instid0(VALU_DEP_1) | instskip(SKIP_2) | instid1(VALU_DEP_1)
	v_exp_f32_e32 v2, v15
	s_waitcnt_depctr 0xfff
	v_fma_f32 v2, v2, v14, 1.0
	v_rcp_f32_e32 v2, v2
	s_cbranch_vccnz .LBB78_7
; %bb.6:                                ;   in Loop: Header=BB78_3 Depth=1
	v_add_co_u32 v14, vcc_lo, s21, v9
	v_add_co_ci_u32_e32 v15, vcc_lo, s22, v10, vcc_lo
	global_load_u16 v14, v[14:15], off
	s_waitcnt vmcnt(0)
	v_lshlrev_b32_e32 v14, 16, v14
	s_delay_alu instid0(VALU_DEP_1)
	v_add_f32_e32 v2, v2, v14
.LBB78_7:                               ;   in Loop: Header=BB78_3 Depth=1
	v_mul_f32_e32 v14, 0xbfb8aa3b, v3
	s_delay_alu instid0(VALU_DEP_1) | instskip(SKIP_3) | instid1(VALU_DEP_2)
	v_cmp_gt_f32_e32 vcc_lo, 0xc2fc0000, v14
	v_cndmask_b32_e64 v15, 0, 0x42800000, vcc_lo
	v_cndmask_b32_e64 v14, 1.0, 0x1f800000, vcc_lo
	s_and_not1_b32 vcc_lo, exec_lo, s19
	v_fmac_f32_e32 v15, 0xbfb8aa3b, v3
	s_delay_alu instid0(VALU_DEP_1) | instskip(SKIP_2) | instid1(VALU_DEP_1)
	v_exp_f32_e32 v3, v15
	s_waitcnt_depctr 0xfff
	v_fma_f32 v3, v3, v14, 1.0
	v_rcp_f32_e32 v3, v3
	s_cbranch_vccnz .LBB78_9
; %bb.8:                                ;   in Loop: Header=BB78_3 Depth=1
	v_add_co_u32 v14, vcc_lo, s23, v9
	v_add_co_ci_u32_e32 v15, vcc_lo, s24, v10, vcc_lo
	global_load_u16 v14, v[14:15], off
	s_waitcnt vmcnt(0)
	v_lshlrev_b32_e32 v14, 16, v14
	s_delay_alu instid0(VALU_DEP_1)
	v_add_f32_e32 v3, v3, v14
.LBB78_9:                               ;   in Loop: Header=BB78_3 Depth=1
	v_mul_f32_e32 v14, 0xbfb8aa3b, v4
	s_delay_alu instid0(VALU_DEP_1) | instskip(SKIP_3) | instid1(VALU_DEP_2)
	v_cmp_gt_f32_e32 vcc_lo, 0xc2fc0000, v14
	v_cndmask_b32_e64 v15, 0, 0x42800000, vcc_lo
	v_cndmask_b32_e64 v14, 1.0, 0x1f800000, vcc_lo
	s_and_not1_b32 vcc_lo, exec_lo, s19
	v_fmac_f32_e32 v15, 0xbfb8aa3b, v4
	s_delay_alu instid0(VALU_DEP_1) | instskip(SKIP_2) | instid1(VALU_DEP_1)
	v_exp_f32_e32 v4, v15
	s_waitcnt_depctr 0xfff
	v_fma_f32 v4, v4, v14, 1.0
	v_rcp_f32_e32 v4, v4
	s_cbranch_vccnz .LBB78_2
; %bb.10:                               ;   in Loop: Header=BB78_3 Depth=1
	v_add_co_u32 v9, vcc_lo, s25, v9
	v_add_co_ci_u32_e32 v10, vcc_lo, s26, v10, vcc_lo
	global_load_u16 v9, v[9:10], off
	s_waitcnt vmcnt(0)
	v_lshlrev_b32_e32 v9, 16, v9
	s_delay_alu instid0(VALU_DEP_1)
	v_add_f32_e32 v4, v4, v9
	s_branch .LBB78_2
.LBB78_11:
	s_or_b32 exec_lo, exec_lo, s18
	v_lshl_add_u32 v1, s14, 2, v0
	s_mov_b32 s3, exec_lo
	s_delay_alu instid0(VALU_DEP_1)
	v_cmpx_gt_i32_e64 s12, v1
	s_cbranch_execz .LBB78_16
; %bb.12:
	s_load_b32 s18, s[0:1], 0x44
	s_lshl_b64 s[16:17], s[16:17], 2
	v_lshlrev_b32_e32 v2, 2, v0
	s_add_u32 s4, s4, s16
	s_addc_u32 s5, s5, s17
	s_cmp_lg_u64 s[6:7], 0
	s_cselect_b32 s16, -1, 0
	s_lshl_b32 s17, s14, 4
	s_delay_alu instid0(SALU_CYCLE_1)
	v_add3_u32 v3, 0, s17, v2
	s_waitcnt lgkmcnt(0)
	s_and_b32 s17, s18, 0xffff
	s_mov_b32 s18, 0
	s_lshl_b32 s19, s17, 2
	s_set_inst_prefetch_distance 0x1
	s_branch .LBB78_14
	.p2align	6
.LBB78_13:                              ;   in Loop: Header=BB78_14 Depth=1
	v_add_nc_u32_e32 v1, s17, v1
	v_add_nc_u32_e32 v3, s19, v3
	s_delay_alu instid0(VALU_DEP_2) | instskip(SKIP_1) | instid1(SALU_CYCLE_1)
	v_cmp_le_i32_e32 vcc_lo, s12, v1
	s_or_b32 s18, vcc_lo, s18
	s_and_not1_b32 exec_lo, exec_lo, s18
	s_cbranch_execz .LBB78_16
.LBB78_14:                              ; =>This Inner Loop Header: Depth=1
	v_ashrrev_i32_e32 v2, 31, v1
	s_delay_alu instid0(VALU_DEP_1) | instskip(NEXT) | instid1(VALU_DEP_1)
	v_lshlrev_b64 v[4:5], 2, v[1:2]
	v_add_co_u32 v4, vcc_lo, s4, v4
	s_delay_alu instid0(VALU_DEP_2) | instskip(SKIP_3) | instid1(VALU_DEP_1)
	v_add_co_ci_u32_e32 v5, vcc_lo, s5, v5, vcc_lo
	global_load_b32 v4, v[4:5], off
	s_waitcnt vmcnt(0)
	v_mul_f32_e32 v5, 0xbfb8aa3b, v4
	v_cmp_gt_f32_e32 vcc_lo, 0xc2fc0000, v5
	v_cndmask_b32_e64 v5, 0, 0x42800000, vcc_lo
	s_delay_alu instid0(VALU_DEP_1) | instskip(NEXT) | instid1(VALU_DEP_1)
	v_fmac_f32_e32 v5, 0xbfb8aa3b, v4
	v_exp_f32_e32 v4, v5
	v_cndmask_b32_e64 v5, 1.0, 0x1f800000, vcc_lo
	s_and_not1_b32 vcc_lo, exec_lo, s16
	s_waitcnt_depctr 0xfff
	v_fma_f32 v4, v4, v5, 1.0
	s_delay_alu instid0(VALU_DEP_1)
	v_rcp_f32_e32 v4, v4
	ds_store_b32 v3, v4
	s_cbranch_vccnz .LBB78_13
; %bb.15:                               ;   in Loop: Header=BB78_14 Depth=1
	v_lshlrev_b64 v[5:6], 1, v[1:2]
	s_delay_alu instid0(VALU_DEP_1) | instskip(NEXT) | instid1(VALU_DEP_2)
	v_add_co_u32 v5, vcc_lo, s6, v5
	v_add_co_ci_u32_e32 v6, vcc_lo, s7, v6, vcc_lo
	global_load_u16 v2, v[5:6], off
	s_waitcnt vmcnt(0)
	v_lshlrev_b32_e32 v2, 16, v2
	s_delay_alu instid0(VALU_DEP_1)
	v_add_f32_e32 v2, v4, v2
	ds_store_b32 v3, v2
	s_branch .LBB78_13
.LBB78_16:
	s_set_inst_prefetch_distance 0x2
	s_or_b32 exec_lo, exec_lo, s3
	s_cmp_lt_i32 s13, 1
	s_waitcnt lgkmcnt(0)
	s_barrier
	buffer_gl0_inv
	s_cbranch_scc1 .LBB78_25
; %bb.17:
	s_add_u32 s4, s0, 56
	s_addc_u32 s5, s1, 0
	v_lshl_add_u32 v3, v0, 4, 0
	v_dual_mov_b32 v4, 0 :: v_dual_mov_b32 v1, 0
	v_dual_mov_b32 v5, 0xff800000 :: v_dual_mov_b32 v2, 0
	s_cmp_lg_u64 s[6:7], 0
	s_mov_b32 s18, 0
	s_cselect_b32 s12, -1, 0
	s_mov_b32 s19, 0x76543210
	s_branch .LBB78_19
.LBB78_18:                              ;   in Loop: Header=BB78_19 Depth=1
	v_cmp_eq_u32_e32 vcc_lo, s18, v0
	s_delay_alu instid0(VALU_DEP_2)
	s_lshl_b32 s3, s16, 2
	s_add_i32 s18, s18, 1
	s_add_i32 s3, s3, 0
	s_cmp_eq_u32 s18, s13
	v_cndmask_b32_e64 v1, v1, s16, vcc_lo
	v_mov_b32_e32 v6, s3
	v_cndmask_b32_e32 v2, v2, v8, vcc_lo
	ds_store_b32 v6, v5
	s_cbranch_scc1 .LBB78_26
.LBB78_19:                              ; =>This Loop Header: Depth=1
                                        ;     Child Loop BB78_21 Depth 2
	v_dual_mov_b32 v6, s18 :: v_dual_mov_b32 v7, 0xff800000
	s_and_saveexec_b32 s16, s2
	s_cbranch_execz .LBB78_23
; %bb.20:                               ;   in Loop: Header=BB78_19 Depth=1
	s_load_b32 s3, s[4:5], 0xc
	v_dual_mov_b32 v6, s18 :: v_dual_mov_b32 v7, 0xff800000
	v_mov_b32_e32 v8, v3
	v_dual_mov_b32 v9, v11 :: v_dual_mov_b32 v10, v0
	s_mov_b32 s21, 0
	s_waitcnt lgkmcnt(0)
	s_and_b32 s17, s3, 0xffff
	s_delay_alu instid0(SALU_CYCLE_1)
	s_lshl_b32 s20, s17, 2
	s_lshl_b32 s22, s17, 4
	.p2align	6
.LBB78_21:                              ;   Parent Loop BB78_19 Depth=1
                                        ; =>  This Inner Loop Header: Depth=2
	ds_load_b128 v[12:15], v8
	v_add_nc_u32_e32 v8, s22, v8
	s_waitcnt lgkmcnt(0)
	v_cmp_gt_f32_e32 vcc_lo, v12, v7
	v_dual_cndmask_b32 v7, v7, v12 :: v_dual_add_nc_u32 v12, 1, v9
	v_cndmask_b32_e32 v6, v6, v9, vcc_lo
	s_delay_alu instid0(VALU_DEP_2) | instskip(NEXT) | instid1(VALU_DEP_2)
	v_cmp_gt_f32_e32 vcc_lo, v13, v7
	v_dual_cndmask_b32 v7, v7, v13 :: v_dual_cndmask_b32 v6, v6, v12
	v_add_nc_u32_e32 v12, 3, v9
	v_add_nc_u32_e32 v13, 2, v9
	;; [unrolled: 1-line block ×3, first 2 shown]
	s_delay_alu instid0(VALU_DEP_4) | instskip(NEXT) | instid1(VALU_DEP_3)
	v_cmp_gt_f32_e32 vcc_lo, v14, v7
	v_dual_cndmask_b32 v7, v7, v14 :: v_dual_cndmask_b32 v6, v6, v13
	s_delay_alu instid0(VALU_DEP_1) | instskip(SKIP_1) | instid1(VALU_DEP_1)
	v_cmp_gt_f32_e32 vcc_lo, v15, v7
	v_dual_cndmask_b32 v7, v7, v15 :: v_dual_add_nc_u32 v10, s17, v10
	v_cmp_le_i32_e64 s3, s14, v10
	s_delay_alu instid0(VALU_DEP_4) | instskip(NEXT) | instid1(VALU_DEP_2)
	v_cndmask_b32_e32 v6, v6, v12, vcc_lo
	s_or_b32 s21, s3, s21
	s_delay_alu instid0(SALU_CYCLE_1)
	s_and_not1_b32 exec_lo, exec_lo, s21
	s_cbranch_execnz .LBB78_21
; %bb.22:                               ;   in Loop: Header=BB78_19 Depth=1
	s_or_b32 exec_lo, exec_lo, s21
.LBB78_23:                              ;   in Loop: Header=BB78_19 Depth=1
	s_delay_alu instid0(SALU_CYCLE_1)
	s_or_b32 exec_lo, exec_lo, s16
	;;#ASMSTART
	v_max_f32 v8, v7, v7 quad_perm:[1,0,3,2] row_mask:0xf bank_mask:0xf bound_ctrl:1
	;;#ASMEND
	;;#ASMSTART
	v_max_f32 v9, v8, v8 quad_perm:[2,3,0,1] row_mask:0xf bank_mask:0xf bound_ctrl:1
	;;#ASMEND
	;;#ASMSTART
	v_max_f32 v8, v9, v9 row_half_mirror row_mask:0xf bank_mask:0xf bound_ctrl:1
	;;#ASMEND
	;;#ASMSTART
	v_max_f32 v9, v8, v8 row_mirror row_mask:0xf bank_mask:0xf bound_ctrl:1
	;;#ASMEND
	v_permlanex16_b32 v8, v9, s19, 0xfedcba98 op_sel:[1,1]
	s_delay_alu instid0(VALU_DEP_1) | instskip(NEXT) | instid1(VALU_DEP_1)
	v_dual_max_f32 v9, v9, v9 :: v_dual_max_f32 v8, v8, v8
	v_max_f32_e32 v8, v9, v8
	s_delay_alu instid0(VALU_DEP_1)
	v_cmp_eq_f32_e32 vcc_lo, v7, v8
	s_ctz_i32_b32 s3, vcc_lo
	s_cmp_lg_u32 vcc_lo, 0
	s_cselect_b32 s3, s3, 0
	s_and_b32 vcc_lo, exec_lo, s12
	v_readlane_b32 s16, v6, s3
	s_cbranch_vccz .LBB78_18
; %bb.24:                               ;   in Loop: Header=BB78_19 Depth=1
	s_delay_alu instid0(VALU_DEP_1) | instskip(NEXT) | instid1(SALU_CYCLE_1)
	s_ashr_i32 s17, s16, 31
	s_lshl_b64 s[20:21], s[16:17], 1
	s_delay_alu instid0(SALU_CYCLE_1) | instskip(SKIP_4) | instid1(VALU_DEP_1)
	s_add_u32 s20, s6, s20
	s_addc_u32 s21, s7, s21
	global_load_u16 v6, v4, s[20:21]
	s_waitcnt vmcnt(0)
	v_lshlrev_b32_e32 v6, 16, v6
	v_sub_f32_e32 v8, v8, v6
	s_branch .LBB78_18
.LBB78_25:
	v_dual_mov_b32 v2, 0 :: v_dual_mov_b32 v1, 0
.LBB78_26:
	s_mov_b32 s2, exec_lo
	v_cmpx_gt_i32_e64 s13, v0
	s_cbranch_execz .LBB78_29
; %bb.27:
	s_clause 0x2
	s_load_b32 s4, s[0:1], 0x34
	s_load_b64 s[2:3], s[0:1], 0x20
	s_load_b32 s0, s[0:1], 0x44
	s_ashr_i32 s1, s15, 31
	s_waitcnt lgkmcnt(0)
	v_mul_f32_e32 v2, s4, v2
	s_mul_i32 s3, s15, s3
	s_mul_hi_u32 s4, s15, s2
	s_mul_i32 s5, s1, s2
	s_add_i32 s3, s4, s3
	s_mul_i32 s1, s15, s2
	s_and_b32 s2, s0, 0xffff
	s_add_i32 s3, s3, s5
	s_mov_b32 s4, 0
	.p2align	6
.LBB78_28:                              ; =>This Inner Loop Header: Depth=1
	v_ashrrev_i32_e32 v4, 31, v0
	v_add_co_u32 v3, vcc_lo, s1, v0
	v_add_nc_u32_e32 v0, s2, v0
	s_delay_alu instid0(VALU_DEP_3) | instskip(NEXT) | instid1(VALU_DEP_2)
	v_add_co_ci_u32_e32 v4, vcc_lo, s3, v4, vcc_lo
	v_cmp_le_i32_e32 vcc_lo, s13, v0
	s_delay_alu instid0(VALU_DEP_2) | instskip(SKIP_1) | instid1(VALU_DEP_1)
	v_lshlrev_b64 v[3:4], 2, v[3:4]
	s_or_b32 s4, vcc_lo, s4
	v_add_co_u32 v5, s0, s8, v3
	s_delay_alu instid0(VALU_DEP_1) | instskip(SKIP_1) | instid1(VALU_DEP_1)
	v_add_co_ci_u32_e64 v6, s0, s9, v4, s0
	v_add_co_u32 v3, s0, s10, v3
	v_add_co_ci_u32_e64 v4, s0, s11, v4, s0
	global_store_b32 v[5:6], v2, off
	global_store_b32 v[3:4], v1, off
	s_and_not1_b32 exec_lo, exec_lo, s4
	s_cbranch_execnz .LBB78_28
.LBB78_29:
	s_nop 0
	s_sendmsg sendmsg(MSG_DEALLOC_VGPRS)
	s_endpgm
	.section	.rodata,"a",@progbits
	.p2align	6, 0x0
	.amdhsa_kernel _ZN5aiter20topk_softplus_kernelIf12hip_bfloat16Dv4_fLb0ELi1EEEvPKT_PKT0_PfPimiiif
		.amdhsa_group_segment_fixed_size 0
		.amdhsa_private_segment_fixed_size 0
		.amdhsa_kernarg_size 312
		.amdhsa_user_sgpr_count 15
		.amdhsa_user_sgpr_dispatch_ptr 0
		.amdhsa_user_sgpr_queue_ptr 0
		.amdhsa_user_sgpr_kernarg_segment_ptr 1
		.amdhsa_user_sgpr_dispatch_id 0
		.amdhsa_user_sgpr_private_segment_size 0
		.amdhsa_wavefront_size32 1
		.amdhsa_uses_dynamic_stack 0
		.amdhsa_enable_private_segment 0
		.amdhsa_system_sgpr_workgroup_id_x 1
		.amdhsa_system_sgpr_workgroup_id_y 0
		.amdhsa_system_sgpr_workgroup_id_z 0
		.amdhsa_system_sgpr_workgroup_info 0
		.amdhsa_system_vgpr_workitem_id 0
		.amdhsa_next_free_vgpr 16
		.amdhsa_next_free_sgpr 30
		.amdhsa_reserve_vcc 1
		.amdhsa_float_round_mode_32 0
		.amdhsa_float_round_mode_16_64 0
		.amdhsa_float_denorm_mode_32 3
		.amdhsa_float_denorm_mode_16_64 3
		.amdhsa_dx10_clamp 1
		.amdhsa_ieee_mode 1
		.amdhsa_fp16_overflow 0
		.amdhsa_workgroup_processor_mode 1
		.amdhsa_memory_ordered 1
		.amdhsa_forward_progress 0
		.amdhsa_shared_vgpr_count 0
		.amdhsa_exception_fp_ieee_invalid_op 0
		.amdhsa_exception_fp_denorm_src 0
		.amdhsa_exception_fp_ieee_div_zero 0
		.amdhsa_exception_fp_ieee_overflow 0
		.amdhsa_exception_fp_ieee_underflow 0
		.amdhsa_exception_fp_ieee_inexact 0
		.amdhsa_exception_int_div_zero 0
	.end_amdhsa_kernel
	.section	.text._ZN5aiter20topk_softplus_kernelIf12hip_bfloat16Dv4_fLb0ELi1EEEvPKT_PKT0_PfPimiiif,"axG",@progbits,_ZN5aiter20topk_softplus_kernelIf12hip_bfloat16Dv4_fLb0ELi1EEEvPKT_PKT0_PfPimiiif,comdat
.Lfunc_end78:
	.size	_ZN5aiter20topk_softplus_kernelIf12hip_bfloat16Dv4_fLb0ELi1EEEvPKT_PKT0_PfPimiiif, .Lfunc_end78-_ZN5aiter20topk_softplus_kernelIf12hip_bfloat16Dv4_fLb0ELi1EEEvPKT_PKT0_PfPimiiif
                                        ; -- End function
	.section	.AMDGPU.csdata,"",@progbits
; Kernel info:
; codeLenInByte = 1864
; NumSgprs: 32
; NumVgprs: 16
; ScratchSize: 0
; MemoryBound: 0
; FloatMode: 240
; IeeeMode: 1
; LDSByteSize: 0 bytes/workgroup (compile time only)
; SGPRBlocks: 3
; VGPRBlocks: 1
; NumSGPRsForWavesPerEU: 32
; NumVGPRsForWavesPerEU: 16
; Occupancy: 16
; WaveLimiterHint : 0
; COMPUTE_PGM_RSRC2:SCRATCH_EN: 0
; COMPUTE_PGM_RSRC2:USER_SGPR: 15
; COMPUTE_PGM_RSRC2:TRAP_HANDLER: 0
; COMPUTE_PGM_RSRC2:TGID_X_EN: 1
; COMPUTE_PGM_RSRC2:TGID_Y_EN: 0
; COMPUTE_PGM_RSRC2:TGID_Z_EN: 0
; COMPUTE_PGM_RSRC2:TIDIG_COMP_CNT: 0
	.section	.text._ZN5aiter20topk_softplus_kernelIf12hip_bfloat16Dv2_fLb1ELi1EEEvPKT_PKT0_PfPimiiif,"axG",@progbits,_ZN5aiter20topk_softplus_kernelIf12hip_bfloat16Dv2_fLb1ELi1EEEvPKT_PKT0_PfPimiiif,comdat
	.protected	_ZN5aiter20topk_softplus_kernelIf12hip_bfloat16Dv2_fLb1ELi1EEEvPKT_PKT0_PfPimiiif ; -- Begin function _ZN5aiter20topk_softplus_kernelIf12hip_bfloat16Dv2_fLb1ELi1EEEvPKT_PKT0_PfPimiiif
	.globl	_ZN5aiter20topk_softplus_kernelIf12hip_bfloat16Dv2_fLb1ELi1EEEvPKT_PKT0_PfPimiiif
	.p2align	8
	.type	_ZN5aiter20topk_softplus_kernelIf12hip_bfloat16Dv2_fLb1ELi1EEEvPKT_PKT0_PfPimiiif,@function
_ZN5aiter20topk_softplus_kernelIf12hip_bfloat16Dv2_fLb1ELi1EEEvPKT_PKT0_PfPimiiif: ; @_ZN5aiter20topk_softplus_kernelIf12hip_bfloat16Dv2_fLb1ELi1EEEvPKT_PKT0_PfPimiiif
; %bb.0:
	s_clause 0x1
	s_load_b64 s[12:13], s[0:1], 0x28
	s_load_b256 s[4:11], s[0:1], 0x0
	s_waitcnt lgkmcnt(0)
	s_lshr_b32 s2, s12, 31
	s_mul_i32 s16, s15, s12
	s_add_i32 s2, s12, s2
	s_ashr_i32 s17, s16, 31
	s_ashr_i32 s14, s2, 1
	s_delay_alu instid0(SALU_CYCLE_1) | instskip(NEXT) | instid1(VALU_DEP_1)
	v_cmp_gt_i32_e64 s2, s14, v0
	s_and_saveexec_b32 s18, s2
	s_cbranch_execz .LBB79_7
; %bb.1:
	s_load_b32 s3, s[0:1], 0x44
	v_lshlrev_b32_e32 v1, 2, v0
	s_cmp_lg_u64 s[6:7], 0
	v_dual_mov_b32 v8, v0 :: v_dual_lshlrev_b32 v3, 3, v0
	s_cselect_b32 s19, -1, 0
	s_delay_alu instid0(VALU_DEP_2) | instskip(SKIP_3) | instid1(VALU_DEP_3)
	v_add_co_u32 v1, s20, v1, s6
	s_lshl_b64 s[22:23], s[16:17], 2
	v_add_co_ci_u32_e64 v2, null, 0, s7, s20
	v_add_nc_u32_e32 v7, 0, v3
	v_add_co_u32 v1, vcc_lo, v1, 2
	s_delay_alu instid0(VALU_DEP_3)
	v_add_co_ci_u32_e32 v2, vcc_lo, 0, v2, vcc_lo
	s_waitcnt lgkmcnt(0)
	s_and_b32 s20, s3, 0xffff
	s_add_u32 s3, s4, s22
	s_addc_u32 s21, s5, s23
	v_add_co_u32 v3, s3, s3, v3
	s_delay_alu instid0(VALU_DEP_1)
	v_add_co_ci_u32_e64 v4, null, s21, 0, s3
	s_mov_b32 s21, 0
	s_lshl_b32 s22, s20, 3
	s_lshl_b32 s23, s20, 2
	s_branch .LBB79_3
.LBB79_2:                               ;   in Loop: Header=BB79_3 Depth=1
	v_add_nc_u32_e32 v8, s20, v8
	v_add_co_u32 v3, vcc_lo, v3, s22
	v_add_co_ci_u32_e32 v4, vcc_lo, 0, v4, vcc_lo
	s_delay_alu instid0(VALU_DEP_3)
	v_cmp_le_i32_e32 vcc_lo, s14, v8
	v_add_co_u32 v1, s3, v1, s23
	ds_store_b64 v7, v[5:6]
	v_add_co_ci_u32_e64 v2, s3, 0, v2, s3
	v_add_nc_u32_e32 v7, s22, v7
	s_or_b32 s21, vcc_lo, s21
	s_delay_alu instid0(SALU_CYCLE_1)
	s_and_not1_b32 exec_lo, exec_lo, s21
	s_cbranch_execz .LBB79_7
.LBB79_3:                               ; =>This Inner Loop Header: Depth=1
	global_load_b64 v[5:6], v[3:4], off
	s_waitcnt vmcnt(0)
	v_mul_f32_e32 v9, 0xbfb8aa3b, v5
	s_delay_alu instid0(VALU_DEP_1) | instskip(SKIP_3) | instid1(VALU_DEP_2)
	v_cmp_gt_f32_e32 vcc_lo, 0xc2fc0000, v9
	v_cndmask_b32_e64 v10, 0, 0x42800000, vcc_lo
	v_cndmask_b32_e64 v9, 1.0, 0x1f800000, vcc_lo
	s_and_not1_b32 vcc_lo, exec_lo, s19
	v_fmac_f32_e32 v10, 0xbfb8aa3b, v5
	s_delay_alu instid0(VALU_DEP_1) | instskip(SKIP_2) | instid1(VALU_DEP_1)
	v_exp_f32_e32 v5, v10
	s_waitcnt_depctr 0xfff
	v_fma_f32 v5, v5, v9, 1.0
	v_rcp_f32_e32 v5, v5
	s_cbranch_vccnz .LBB79_5
; %bb.4:                                ;   in Loop: Header=BB79_3 Depth=1
	global_load_u16 v9, v[1:2], off offset:-2
	s_waitcnt vmcnt(0)
	v_lshlrev_b32_e32 v9, 16, v9
	s_delay_alu instid0(VALU_DEP_1)
	v_add_f32_e32 v5, v5, v9
.LBB79_5:                               ;   in Loop: Header=BB79_3 Depth=1
	v_mul_f32_e32 v9, 0xbfb8aa3b, v6
	s_delay_alu instid0(VALU_DEP_1) | instskip(SKIP_3) | instid1(VALU_DEP_2)
	v_cmp_gt_f32_e32 vcc_lo, 0xc2fc0000, v9
	v_cndmask_b32_e64 v10, 0, 0x42800000, vcc_lo
	v_cndmask_b32_e64 v9, 1.0, 0x1f800000, vcc_lo
	s_and_not1_b32 vcc_lo, exec_lo, s19
	v_fmac_f32_e32 v10, 0xbfb8aa3b, v6
	s_delay_alu instid0(VALU_DEP_1) | instskip(SKIP_2) | instid1(VALU_DEP_1)
	v_exp_f32_e32 v6, v10
	s_waitcnt_depctr 0xfff
	v_fma_f32 v6, v6, v9, 1.0
	v_rcp_f32_e32 v6, v6
	s_cbranch_vccnz .LBB79_2
; %bb.6:                                ;   in Loop: Header=BB79_3 Depth=1
	global_load_u16 v9, v[1:2], off
	s_waitcnt vmcnt(0)
	v_lshlrev_b32_e32 v9, 16, v9
	s_delay_alu instid0(VALU_DEP_1)
	v_add_f32_e32 v6, v6, v9
	s_branch .LBB79_2
.LBB79_7:
	s_or_b32 exec_lo, exec_lo, s18
	v_lshl_add_u32 v1, s14, 1, v0
	s_mov_b32 s3, exec_lo
	s_delay_alu instid0(VALU_DEP_1)
	v_cmpx_gt_i32_e64 s12, v1
	s_cbranch_execz .LBB79_12
; %bb.8:
	s_load_b32 s18, s[0:1], 0x44
	s_lshl_b64 s[16:17], s[16:17], 2
	v_lshlrev_b32_e32 v2, 2, v0
	s_add_u32 s4, s4, s16
	s_addc_u32 s5, s5, s17
	s_cmp_lg_u64 s[6:7], 0
	s_cselect_b32 s16, -1, 0
	s_lshl_b32 s17, s14, 3
	s_delay_alu instid0(SALU_CYCLE_1)
	v_add3_u32 v3, 0, s17, v2
	s_waitcnt lgkmcnt(0)
	s_and_b32 s17, s18, 0xffff
	s_mov_b32 s18, 0
	s_lshl_b32 s19, s17, 2
	s_set_inst_prefetch_distance 0x1
	s_branch .LBB79_10
	.p2align	6
.LBB79_9:                               ;   in Loop: Header=BB79_10 Depth=1
	v_add_nc_u32_e32 v1, s17, v1
	v_add_nc_u32_e32 v3, s19, v3
	s_delay_alu instid0(VALU_DEP_2) | instskip(SKIP_1) | instid1(SALU_CYCLE_1)
	v_cmp_le_i32_e32 vcc_lo, s12, v1
	s_or_b32 s18, vcc_lo, s18
	s_and_not1_b32 exec_lo, exec_lo, s18
	s_cbranch_execz .LBB79_12
.LBB79_10:                              ; =>This Inner Loop Header: Depth=1
	v_ashrrev_i32_e32 v2, 31, v1
	s_delay_alu instid0(VALU_DEP_1) | instskip(NEXT) | instid1(VALU_DEP_1)
	v_lshlrev_b64 v[4:5], 2, v[1:2]
	v_add_co_u32 v4, vcc_lo, s4, v4
	s_delay_alu instid0(VALU_DEP_2) | instskip(SKIP_3) | instid1(VALU_DEP_1)
	v_add_co_ci_u32_e32 v5, vcc_lo, s5, v5, vcc_lo
	global_load_b32 v4, v[4:5], off
	s_waitcnt vmcnt(0)
	v_mul_f32_e32 v5, 0xbfb8aa3b, v4
	v_cmp_gt_f32_e32 vcc_lo, 0xc2fc0000, v5
	v_cndmask_b32_e64 v5, 0, 0x42800000, vcc_lo
	s_delay_alu instid0(VALU_DEP_1) | instskip(NEXT) | instid1(VALU_DEP_1)
	v_fmac_f32_e32 v5, 0xbfb8aa3b, v4
	v_exp_f32_e32 v4, v5
	v_cndmask_b32_e64 v5, 1.0, 0x1f800000, vcc_lo
	s_and_not1_b32 vcc_lo, exec_lo, s16
	s_waitcnt_depctr 0xfff
	v_fma_f32 v4, v4, v5, 1.0
	s_delay_alu instid0(VALU_DEP_1)
	v_rcp_f32_e32 v4, v4
	ds_store_b32 v3, v4
	s_cbranch_vccnz .LBB79_9
; %bb.11:                               ;   in Loop: Header=BB79_10 Depth=1
	v_lshlrev_b64 v[5:6], 1, v[1:2]
	s_delay_alu instid0(VALU_DEP_1) | instskip(NEXT) | instid1(VALU_DEP_2)
	v_add_co_u32 v5, vcc_lo, s6, v5
	v_add_co_ci_u32_e32 v6, vcc_lo, s7, v6, vcc_lo
	global_load_u16 v2, v[5:6], off
	s_waitcnt vmcnt(0)
	v_lshlrev_b32_e32 v2, 16, v2
	s_delay_alu instid0(VALU_DEP_1)
	v_add_f32_e32 v2, v4, v2
	ds_store_b32 v3, v2
	s_branch .LBB79_9
.LBB79_12:
	s_set_inst_prefetch_distance 0x2
	s_or_b32 exec_lo, exec_lo, s3
	v_mov_b32_e32 v2, 0
	s_cmp_lt_i32 s13, 1
	s_waitcnt lgkmcnt(0)
	s_barrier
	buffer_gl0_inv
	s_cbranch_scc1 .LBB79_21
; %bb.13:
	s_add_u32 s4, s0, 56
	s_addc_u32 s5, s1, 0
	v_dual_mov_b32 v7, 0xff800000 :: v_dual_lshlrev_b32 v4, 1, v0
	v_lshl_add_u32 v5, v0, 3, 0
	v_dual_mov_b32 v2, 0 :: v_dual_mov_b32 v1, 0
	v_dual_mov_b32 v6, 0 :: v_dual_mov_b32 v3, 0
	s_cmp_lg_u64 s[6:7], 0
	s_mov_b32 s18, 0
	s_cselect_b32 s12, -1, 0
	s_mov_b32 s19, 0x76543210
	s_branch .LBB79_15
.LBB79_14:                              ;   in Loop: Header=BB79_15 Depth=1
	v_cmp_eq_u32_e32 vcc_lo, s18, v0
	s_delay_alu instid0(VALU_DEP_2)
	s_lshl_b32 s3, s16, 2
	s_add_i32 s18, s18, 1
	s_add_i32 s3, s3, 0
	v_add_f32_e32 v3, v3, v10
	v_cndmask_b32_e64 v1, v1, s16, vcc_lo
	v_mov_b32_e32 v8, s3
	v_cndmask_b32_e32 v2, v2, v10, vcc_lo
	s_cmp_eq_u32 s18, s13
	ds_store_b32 v8, v7
	s_cbranch_scc1 .LBB79_22
.LBB79_15:                              ; =>This Loop Header: Depth=1
                                        ;     Child Loop BB79_17 Depth 2
	v_dual_mov_b32 v8, s18 :: v_dual_mov_b32 v9, 0xff800000
	s_and_saveexec_b32 s16, s2
	s_cbranch_execz .LBB79_19
; %bb.16:                               ;   in Loop: Header=BB79_15 Depth=1
	s_load_b32 s3, s[4:5], 0xc
	v_dual_mov_b32 v8, s18 :: v_dual_mov_b32 v9, 0xff800000
	v_dual_mov_b32 v10, v5 :: v_dual_mov_b32 v11, v4
	v_mov_b32_e32 v12, v0
	s_mov_b32 s21, 0
	s_waitcnt lgkmcnt(0)
	s_and_b32 s17, s3, 0xffff
	s_delay_alu instid0(SALU_CYCLE_1)
	s_lshl_b32 s20, s17, 1
	s_lshl_b32 s22, s17, 3
	.p2align	6
.LBB79_17:                              ;   Parent Loop BB79_15 Depth=1
                                        ; =>  This Inner Loop Header: Depth=2
	ds_load_b64 v[13:14], v10
	v_add_nc_u32_e32 v10, s22, v10
	v_add_nc_u32_e32 v12, s17, v12
	s_delay_alu instid0(VALU_DEP_1) | instskip(NEXT) | instid1(VALU_DEP_1)
	v_cmp_le_i32_e64 s3, s14, v12
	s_or_b32 s21, s3, s21
	s_waitcnt lgkmcnt(0)
	v_cmp_gt_f32_e32 vcc_lo, v13, v9
	v_cndmask_b32_e32 v9, v9, v13, vcc_lo
	v_add_nc_u32_e32 v13, 1, v11
	v_cndmask_b32_e32 v8, v8, v11, vcc_lo
	s_delay_alu instid0(VALU_DEP_3) | instskip(SKIP_1) | instid1(VALU_DEP_3)
	v_cmp_gt_f32_e32 vcc_lo, v14, v9
	v_cndmask_b32_e32 v9, v9, v14, vcc_lo
	v_dual_cndmask_b32 v8, v8, v13 :: v_dual_add_nc_u32 v11, s20, v11
	s_and_not1_b32 exec_lo, exec_lo, s21
	s_cbranch_execnz .LBB79_17
; %bb.18:                               ;   in Loop: Header=BB79_15 Depth=1
	s_or_b32 exec_lo, exec_lo, s21
.LBB79_19:                              ;   in Loop: Header=BB79_15 Depth=1
	s_delay_alu instid0(SALU_CYCLE_1)
	s_or_b32 exec_lo, exec_lo, s16
	;;#ASMSTART
	v_max_f32 v10, v9, v9 quad_perm:[1,0,3,2] row_mask:0xf bank_mask:0xf bound_ctrl:1
	;;#ASMEND
	;;#ASMSTART
	v_max_f32 v11, v10, v10 quad_perm:[2,3,0,1] row_mask:0xf bank_mask:0xf bound_ctrl:1
	;;#ASMEND
	;;#ASMSTART
	v_max_f32 v10, v11, v11 row_half_mirror row_mask:0xf bank_mask:0xf bound_ctrl:1
	;;#ASMEND
	;;#ASMSTART
	v_max_f32 v11, v10, v10 row_mirror row_mask:0xf bank_mask:0xf bound_ctrl:1
	;;#ASMEND
	v_permlanex16_b32 v10, v11, s19, 0xfedcba98 op_sel:[1,1]
	s_delay_alu instid0(VALU_DEP_1) | instskip(NEXT) | instid1(VALU_DEP_1)
	v_dual_max_f32 v11, v11, v11 :: v_dual_max_f32 v10, v10, v10
	v_max_f32_e32 v10, v11, v10
	s_delay_alu instid0(VALU_DEP_1)
	v_cmp_eq_f32_e32 vcc_lo, v9, v10
	s_ctz_i32_b32 s3, vcc_lo
	s_cmp_lg_u32 vcc_lo, 0
	s_cselect_b32 s3, s3, 0
	s_and_b32 vcc_lo, exec_lo, s12
	v_readlane_b32 s16, v8, s3
	s_cbranch_vccz .LBB79_14
; %bb.20:                               ;   in Loop: Header=BB79_15 Depth=1
	s_delay_alu instid0(VALU_DEP_1) | instskip(NEXT) | instid1(SALU_CYCLE_1)
	s_ashr_i32 s17, s16, 31
	s_lshl_b64 s[20:21], s[16:17], 1
	s_delay_alu instid0(SALU_CYCLE_1) | instskip(SKIP_4) | instid1(VALU_DEP_1)
	s_add_u32 s20, s6, s20
	s_addc_u32 s21, s7, s21
	global_load_u16 v8, v6, s[20:21]
	s_waitcnt vmcnt(0)
	v_lshlrev_b32_e32 v8, 16, v8
	v_sub_f32_e32 v10, v10, v8
	s_branch .LBB79_14
.LBB79_21:
	v_mov_b32_e32 v1, 0
	v_mov_b32_e32 v3, 0
.LBB79_22:
	s_mov_b32 s2, exec_lo
	v_cmpx_gt_i32_e64 s13, v0
	s_cbranch_execz .LBB79_25
; %bb.23:
	s_clause 0x1
	s_load_b32 s2, s[0:1], 0x34
	s_load_b32 s3, s[0:1], 0x44
	v_max_f32_e32 v3, v3, v3
	s_load_b64 s[0:1], s[0:1], 0x20
	s_ashr_i32 s4, s15, 31
	s_delay_alu instid0(VALU_DEP_1) | instskip(SKIP_1) | instid1(VALU_DEP_1)
	v_max_f32_e32 v3, 0x1e3ce508, v3
	s_waitcnt lgkmcnt(0)
	v_div_scale_f32 v4, null, v3, v3, s2
	v_div_scale_f32 v7, vcc_lo, s2, v3, s2
	s_mul_i32 s1, s15, s1
	s_delay_alu instid0(VALU_DEP_2) | instskip(SKIP_4) | instid1(VALU_DEP_1)
	v_rcp_f32_e32 v5, v4
	s_mul_i32 s4, s4, s0
	s_and_b32 s3, s3, 0xffff
	s_waitcnt_depctr 0xfff
	v_fma_f32 v6, -v4, v5, 1.0
	v_fmac_f32_e32 v5, v6, v5
	s_delay_alu instid0(VALU_DEP_1) | instskip(NEXT) | instid1(VALU_DEP_1)
	v_mul_f32_e32 v6, v7, v5
	v_fma_f32 v8, -v4, v6, v7
	s_delay_alu instid0(VALU_DEP_1) | instskip(NEXT) | instid1(VALU_DEP_1)
	v_fmac_f32_e32 v6, v8, v5
	v_fma_f32 v4, -v4, v6, v7
	s_delay_alu instid0(VALU_DEP_1) | instskip(NEXT) | instid1(VALU_DEP_1)
	v_div_fmas_f32 v4, v4, v5, v6
	v_div_fixup_f32 v3, v4, v3, s2
	s_mul_hi_u32 s2, s15, s0
	s_delay_alu instid0(SALU_CYCLE_1) | instskip(SKIP_1) | instid1(VALU_DEP_1)
	s_add_i32 s1, s2, s1
	s_mul_i32 s2, s15, s0
	v_mul_f32_e32 v2, v2, v3
	s_add_i32 s1, s1, s4
	s_mov_b32 s4, 0
	.p2align	6
.LBB79_24:                              ; =>This Inner Loop Header: Depth=1
	v_ashrrev_i32_e32 v4, 31, v0
	v_add_co_u32 v3, vcc_lo, s2, v0
	v_add_nc_u32_e32 v0, s3, v0
	s_delay_alu instid0(VALU_DEP_3) | instskip(NEXT) | instid1(VALU_DEP_2)
	v_add_co_ci_u32_e32 v4, vcc_lo, s1, v4, vcc_lo
	v_cmp_le_i32_e32 vcc_lo, s13, v0
	s_delay_alu instid0(VALU_DEP_2) | instskip(SKIP_1) | instid1(VALU_DEP_1)
	v_lshlrev_b64 v[3:4], 2, v[3:4]
	s_or_b32 s4, vcc_lo, s4
	v_add_co_u32 v5, s0, s8, v3
	s_delay_alu instid0(VALU_DEP_1) | instskip(SKIP_1) | instid1(VALU_DEP_1)
	v_add_co_ci_u32_e64 v6, s0, s9, v4, s0
	v_add_co_u32 v3, s0, s10, v3
	v_add_co_ci_u32_e64 v4, s0, s11, v4, s0
	global_store_b32 v[5:6], v2, off
	global_store_b32 v[3:4], v1, off
	s_and_not1_b32 exec_lo, exec_lo, s4
	s_cbranch_execnz .LBB79_24
.LBB79_25:
	s_nop 0
	s_sendmsg sendmsg(MSG_DEALLOC_VGPRS)
	s_endpgm
	.section	.rodata,"a",@progbits
	.p2align	6, 0x0
	.amdhsa_kernel _ZN5aiter20topk_softplus_kernelIf12hip_bfloat16Dv2_fLb1ELi1EEEvPKT_PKT0_PfPimiiif
		.amdhsa_group_segment_fixed_size 0
		.amdhsa_private_segment_fixed_size 0
		.amdhsa_kernarg_size 312
		.amdhsa_user_sgpr_count 15
		.amdhsa_user_sgpr_dispatch_ptr 0
		.amdhsa_user_sgpr_queue_ptr 0
		.amdhsa_user_sgpr_kernarg_segment_ptr 1
		.amdhsa_user_sgpr_dispatch_id 0
		.amdhsa_user_sgpr_private_segment_size 0
		.amdhsa_wavefront_size32 1
		.amdhsa_uses_dynamic_stack 0
		.amdhsa_enable_private_segment 0
		.amdhsa_system_sgpr_workgroup_id_x 1
		.amdhsa_system_sgpr_workgroup_id_y 0
		.amdhsa_system_sgpr_workgroup_id_z 0
		.amdhsa_system_sgpr_workgroup_info 0
		.amdhsa_system_vgpr_workitem_id 0
		.amdhsa_next_free_vgpr 15
		.amdhsa_next_free_sgpr 24
		.amdhsa_reserve_vcc 1
		.amdhsa_float_round_mode_32 0
		.amdhsa_float_round_mode_16_64 0
		.amdhsa_float_denorm_mode_32 3
		.amdhsa_float_denorm_mode_16_64 3
		.amdhsa_dx10_clamp 1
		.amdhsa_ieee_mode 1
		.amdhsa_fp16_overflow 0
		.amdhsa_workgroup_processor_mode 1
		.amdhsa_memory_ordered 1
		.amdhsa_forward_progress 0
		.amdhsa_shared_vgpr_count 0
		.amdhsa_exception_fp_ieee_invalid_op 0
		.amdhsa_exception_fp_denorm_src 0
		.amdhsa_exception_fp_ieee_div_zero 0
		.amdhsa_exception_fp_ieee_overflow 0
		.amdhsa_exception_fp_ieee_underflow 0
		.amdhsa_exception_fp_ieee_inexact 0
		.amdhsa_exception_int_div_zero 0
	.end_amdhsa_kernel
	.section	.text._ZN5aiter20topk_softplus_kernelIf12hip_bfloat16Dv2_fLb1ELi1EEEvPKT_PKT0_PfPimiiif,"axG",@progbits,_ZN5aiter20topk_softplus_kernelIf12hip_bfloat16Dv2_fLb1ELi1EEEvPKT_PKT0_PfPimiiif,comdat
.Lfunc_end79:
	.size	_ZN5aiter20topk_softplus_kernelIf12hip_bfloat16Dv2_fLb1ELi1EEEvPKT_PKT0_PfPimiiif, .Lfunc_end79-_ZN5aiter20topk_softplus_kernelIf12hip_bfloat16Dv2_fLb1ELi1EEEvPKT_PKT0_PfPimiiif
                                        ; -- End function
	.section	.AMDGPU.csdata,"",@progbits
; Kernel info:
; codeLenInByte = 1676
; NumSgprs: 26
; NumVgprs: 15
; ScratchSize: 0
; MemoryBound: 0
; FloatMode: 240
; IeeeMode: 1
; LDSByteSize: 0 bytes/workgroup (compile time only)
; SGPRBlocks: 3
; VGPRBlocks: 1
; NumSGPRsForWavesPerEU: 26
; NumVGPRsForWavesPerEU: 15
; Occupancy: 16
; WaveLimiterHint : 0
; COMPUTE_PGM_RSRC2:SCRATCH_EN: 0
; COMPUTE_PGM_RSRC2:USER_SGPR: 15
; COMPUTE_PGM_RSRC2:TRAP_HANDLER: 0
; COMPUTE_PGM_RSRC2:TGID_X_EN: 1
; COMPUTE_PGM_RSRC2:TGID_Y_EN: 0
; COMPUTE_PGM_RSRC2:TGID_Z_EN: 0
; COMPUTE_PGM_RSRC2:TIDIG_COMP_CNT: 0
	.section	.text._ZN5aiter20topk_softplus_kernelIf12hip_bfloat16Dv2_fLb0ELi1EEEvPKT_PKT0_PfPimiiif,"axG",@progbits,_ZN5aiter20topk_softplus_kernelIf12hip_bfloat16Dv2_fLb0ELi1EEEvPKT_PKT0_PfPimiiif,comdat
	.protected	_ZN5aiter20topk_softplus_kernelIf12hip_bfloat16Dv2_fLb0ELi1EEEvPKT_PKT0_PfPimiiif ; -- Begin function _ZN5aiter20topk_softplus_kernelIf12hip_bfloat16Dv2_fLb0ELi1EEEvPKT_PKT0_PfPimiiif
	.globl	_ZN5aiter20topk_softplus_kernelIf12hip_bfloat16Dv2_fLb0ELi1EEEvPKT_PKT0_PfPimiiif
	.p2align	8
	.type	_ZN5aiter20topk_softplus_kernelIf12hip_bfloat16Dv2_fLb0ELi1EEEvPKT_PKT0_PfPimiiif,@function
_ZN5aiter20topk_softplus_kernelIf12hip_bfloat16Dv2_fLb0ELi1EEEvPKT_PKT0_PfPimiiif: ; @_ZN5aiter20topk_softplus_kernelIf12hip_bfloat16Dv2_fLb0ELi1EEEvPKT_PKT0_PfPimiiif
; %bb.0:
	s_clause 0x1
	s_load_b64 s[12:13], s[0:1], 0x28
	s_load_b256 s[4:11], s[0:1], 0x0
	s_waitcnt lgkmcnt(0)
	s_lshr_b32 s2, s12, 31
	s_mul_i32 s16, s15, s12
	s_add_i32 s2, s12, s2
	s_ashr_i32 s17, s16, 31
	s_ashr_i32 s14, s2, 1
	s_delay_alu instid0(SALU_CYCLE_1) | instskip(NEXT) | instid1(VALU_DEP_1)
	v_cmp_gt_i32_e64 s2, s14, v0
	s_and_saveexec_b32 s18, s2
	s_cbranch_execz .LBB80_7
; %bb.1:
	s_load_b32 s3, s[0:1], 0x44
	v_lshlrev_b32_e32 v1, 2, v0
	s_cmp_lg_u64 s[6:7], 0
	v_dual_mov_b32 v8, v0 :: v_dual_lshlrev_b32 v3, 3, v0
	s_cselect_b32 s19, -1, 0
	s_delay_alu instid0(VALU_DEP_2) | instskip(SKIP_3) | instid1(VALU_DEP_3)
	v_add_co_u32 v1, s20, v1, s6
	s_lshl_b64 s[22:23], s[16:17], 2
	v_add_co_ci_u32_e64 v2, null, 0, s7, s20
	v_add_nc_u32_e32 v7, 0, v3
	v_add_co_u32 v1, vcc_lo, v1, 2
	s_delay_alu instid0(VALU_DEP_3)
	v_add_co_ci_u32_e32 v2, vcc_lo, 0, v2, vcc_lo
	s_waitcnt lgkmcnt(0)
	s_and_b32 s20, s3, 0xffff
	s_add_u32 s3, s4, s22
	s_addc_u32 s21, s5, s23
	v_add_co_u32 v3, s3, s3, v3
	s_delay_alu instid0(VALU_DEP_1)
	v_add_co_ci_u32_e64 v4, null, s21, 0, s3
	s_mov_b32 s21, 0
	s_lshl_b32 s22, s20, 3
	s_lshl_b32 s23, s20, 2
	s_branch .LBB80_3
.LBB80_2:                               ;   in Loop: Header=BB80_3 Depth=1
	v_add_nc_u32_e32 v8, s20, v8
	v_add_co_u32 v3, vcc_lo, v3, s22
	v_add_co_ci_u32_e32 v4, vcc_lo, 0, v4, vcc_lo
	s_delay_alu instid0(VALU_DEP_3)
	v_cmp_le_i32_e32 vcc_lo, s14, v8
	v_add_co_u32 v1, s3, v1, s23
	ds_store_b64 v7, v[5:6]
	v_add_co_ci_u32_e64 v2, s3, 0, v2, s3
	v_add_nc_u32_e32 v7, s22, v7
	s_or_b32 s21, vcc_lo, s21
	s_delay_alu instid0(SALU_CYCLE_1)
	s_and_not1_b32 exec_lo, exec_lo, s21
	s_cbranch_execz .LBB80_7
.LBB80_3:                               ; =>This Inner Loop Header: Depth=1
	global_load_b64 v[5:6], v[3:4], off
	s_waitcnt vmcnt(0)
	v_mul_f32_e32 v9, 0xbfb8aa3b, v5
	s_delay_alu instid0(VALU_DEP_1) | instskip(SKIP_3) | instid1(VALU_DEP_2)
	v_cmp_gt_f32_e32 vcc_lo, 0xc2fc0000, v9
	v_cndmask_b32_e64 v10, 0, 0x42800000, vcc_lo
	v_cndmask_b32_e64 v9, 1.0, 0x1f800000, vcc_lo
	s_and_not1_b32 vcc_lo, exec_lo, s19
	v_fmac_f32_e32 v10, 0xbfb8aa3b, v5
	s_delay_alu instid0(VALU_DEP_1) | instskip(SKIP_2) | instid1(VALU_DEP_1)
	v_exp_f32_e32 v5, v10
	s_waitcnt_depctr 0xfff
	v_fma_f32 v5, v5, v9, 1.0
	v_rcp_f32_e32 v5, v5
	s_cbranch_vccnz .LBB80_5
; %bb.4:                                ;   in Loop: Header=BB80_3 Depth=1
	global_load_u16 v9, v[1:2], off offset:-2
	s_waitcnt vmcnt(0)
	v_lshlrev_b32_e32 v9, 16, v9
	s_delay_alu instid0(VALU_DEP_1)
	v_add_f32_e32 v5, v5, v9
.LBB80_5:                               ;   in Loop: Header=BB80_3 Depth=1
	v_mul_f32_e32 v9, 0xbfb8aa3b, v6
	s_delay_alu instid0(VALU_DEP_1) | instskip(SKIP_3) | instid1(VALU_DEP_2)
	v_cmp_gt_f32_e32 vcc_lo, 0xc2fc0000, v9
	v_cndmask_b32_e64 v10, 0, 0x42800000, vcc_lo
	v_cndmask_b32_e64 v9, 1.0, 0x1f800000, vcc_lo
	s_and_not1_b32 vcc_lo, exec_lo, s19
	v_fmac_f32_e32 v10, 0xbfb8aa3b, v6
	s_delay_alu instid0(VALU_DEP_1) | instskip(SKIP_2) | instid1(VALU_DEP_1)
	v_exp_f32_e32 v6, v10
	s_waitcnt_depctr 0xfff
	v_fma_f32 v6, v6, v9, 1.0
	v_rcp_f32_e32 v6, v6
	s_cbranch_vccnz .LBB80_2
; %bb.6:                                ;   in Loop: Header=BB80_3 Depth=1
	global_load_u16 v9, v[1:2], off
	s_waitcnt vmcnt(0)
	v_lshlrev_b32_e32 v9, 16, v9
	s_delay_alu instid0(VALU_DEP_1)
	v_add_f32_e32 v6, v6, v9
	s_branch .LBB80_2
.LBB80_7:
	s_or_b32 exec_lo, exec_lo, s18
	v_lshl_add_u32 v1, s14, 1, v0
	s_mov_b32 s3, exec_lo
	s_delay_alu instid0(VALU_DEP_1)
	v_cmpx_gt_i32_e64 s12, v1
	s_cbranch_execz .LBB80_12
; %bb.8:
	s_load_b32 s18, s[0:1], 0x44
	s_lshl_b64 s[16:17], s[16:17], 2
	v_lshlrev_b32_e32 v2, 2, v0
	s_add_u32 s4, s4, s16
	s_addc_u32 s5, s5, s17
	s_cmp_lg_u64 s[6:7], 0
	s_cselect_b32 s16, -1, 0
	s_lshl_b32 s17, s14, 3
	s_delay_alu instid0(SALU_CYCLE_1)
	v_add3_u32 v3, 0, s17, v2
	s_waitcnt lgkmcnt(0)
	s_and_b32 s17, s18, 0xffff
	s_mov_b32 s18, 0
	s_lshl_b32 s19, s17, 2
	s_set_inst_prefetch_distance 0x1
	s_branch .LBB80_10
	.p2align	6
.LBB80_9:                               ;   in Loop: Header=BB80_10 Depth=1
	v_add_nc_u32_e32 v1, s17, v1
	v_add_nc_u32_e32 v3, s19, v3
	s_delay_alu instid0(VALU_DEP_2) | instskip(SKIP_1) | instid1(SALU_CYCLE_1)
	v_cmp_le_i32_e32 vcc_lo, s12, v1
	s_or_b32 s18, vcc_lo, s18
	s_and_not1_b32 exec_lo, exec_lo, s18
	s_cbranch_execz .LBB80_12
.LBB80_10:                              ; =>This Inner Loop Header: Depth=1
	v_ashrrev_i32_e32 v2, 31, v1
	s_delay_alu instid0(VALU_DEP_1) | instskip(NEXT) | instid1(VALU_DEP_1)
	v_lshlrev_b64 v[4:5], 2, v[1:2]
	v_add_co_u32 v4, vcc_lo, s4, v4
	s_delay_alu instid0(VALU_DEP_2) | instskip(SKIP_3) | instid1(VALU_DEP_1)
	v_add_co_ci_u32_e32 v5, vcc_lo, s5, v5, vcc_lo
	global_load_b32 v4, v[4:5], off
	s_waitcnt vmcnt(0)
	v_mul_f32_e32 v5, 0xbfb8aa3b, v4
	v_cmp_gt_f32_e32 vcc_lo, 0xc2fc0000, v5
	v_cndmask_b32_e64 v5, 0, 0x42800000, vcc_lo
	s_delay_alu instid0(VALU_DEP_1) | instskip(NEXT) | instid1(VALU_DEP_1)
	v_fmac_f32_e32 v5, 0xbfb8aa3b, v4
	v_exp_f32_e32 v4, v5
	v_cndmask_b32_e64 v5, 1.0, 0x1f800000, vcc_lo
	s_and_not1_b32 vcc_lo, exec_lo, s16
	s_waitcnt_depctr 0xfff
	v_fma_f32 v4, v4, v5, 1.0
	s_delay_alu instid0(VALU_DEP_1)
	v_rcp_f32_e32 v4, v4
	ds_store_b32 v3, v4
	s_cbranch_vccnz .LBB80_9
; %bb.11:                               ;   in Loop: Header=BB80_10 Depth=1
	v_lshlrev_b64 v[5:6], 1, v[1:2]
	s_delay_alu instid0(VALU_DEP_1) | instskip(NEXT) | instid1(VALU_DEP_2)
	v_add_co_u32 v5, vcc_lo, s6, v5
	v_add_co_ci_u32_e32 v6, vcc_lo, s7, v6, vcc_lo
	global_load_u16 v2, v[5:6], off
	s_waitcnt vmcnt(0)
	v_lshlrev_b32_e32 v2, 16, v2
	s_delay_alu instid0(VALU_DEP_1)
	v_add_f32_e32 v2, v4, v2
	ds_store_b32 v3, v2
	s_branch .LBB80_9
.LBB80_12:
	s_set_inst_prefetch_distance 0x2
	s_or_b32 exec_lo, exec_lo, s3
	s_cmp_lt_i32 s13, 1
	s_waitcnt lgkmcnt(0)
	s_barrier
	buffer_gl0_inv
	s_cbranch_scc1 .LBB80_21
; %bb.13:
	s_add_u32 s4, s0, 56
	s_addc_u32 s5, s1, 0
	v_dual_mov_b32 v6, 0xff800000 :: v_dual_lshlrev_b32 v3, 1, v0
	v_lshl_add_u32 v4, v0, 3, 0
	v_dual_mov_b32 v5, 0 :: v_dual_mov_b32 v2, 0
	v_mov_b32_e32 v1, 0
	s_cmp_lg_u64 s[6:7], 0
	s_mov_b32 s18, 0
	s_cselect_b32 s12, -1, 0
	s_mov_b32 s19, 0x76543210
	s_branch .LBB80_15
.LBB80_14:                              ;   in Loop: Header=BB80_15 Depth=1
	v_cmp_eq_u32_e32 vcc_lo, s18, v0
	s_delay_alu instid0(VALU_DEP_2)
	s_lshl_b32 s3, s16, 2
	s_add_i32 s18, s18, 1
	s_add_i32 s3, s3, 0
	s_cmp_eq_u32 s18, s13
	v_cndmask_b32_e64 v1, v1, s16, vcc_lo
	v_dual_mov_b32 v7, s3 :: v_dual_cndmask_b32 v2, v2, v9
	ds_store_b32 v7, v6
	s_cbranch_scc1 .LBB80_22
.LBB80_15:                              ; =>This Loop Header: Depth=1
                                        ;     Child Loop BB80_17 Depth 2
	v_dual_mov_b32 v7, s18 :: v_dual_mov_b32 v8, 0xff800000
	s_and_saveexec_b32 s16, s2
	s_cbranch_execz .LBB80_19
; %bb.16:                               ;   in Loop: Header=BB80_15 Depth=1
	s_load_b32 s3, s[4:5], 0xc
	v_dual_mov_b32 v7, s18 :: v_dual_mov_b32 v8, 0xff800000
	v_dual_mov_b32 v9, v4 :: v_dual_mov_b32 v10, v3
	v_mov_b32_e32 v11, v0
	s_mov_b32 s21, 0
	s_waitcnt lgkmcnt(0)
	s_and_b32 s17, s3, 0xffff
	s_delay_alu instid0(SALU_CYCLE_1)
	s_lshl_b32 s20, s17, 1
	s_lshl_b32 s22, s17, 3
	.p2align	6
.LBB80_17:                              ;   Parent Loop BB80_15 Depth=1
                                        ; =>  This Inner Loop Header: Depth=2
	ds_load_b64 v[12:13], v9
	v_add_nc_u32_e32 v9, s22, v9
	v_add_nc_u32_e32 v11, s17, v11
	s_delay_alu instid0(VALU_DEP_1) | instskip(NEXT) | instid1(VALU_DEP_1)
	v_cmp_le_i32_e64 s3, s14, v11
	s_or_b32 s21, s3, s21
	s_waitcnt lgkmcnt(0)
	v_cmp_gt_f32_e32 vcc_lo, v12, v8
	v_cndmask_b32_e32 v8, v8, v12, vcc_lo
	v_add_nc_u32_e32 v12, 1, v10
	v_cndmask_b32_e32 v7, v7, v10, vcc_lo
	s_delay_alu instid0(VALU_DEP_3) | instskip(SKIP_1) | instid1(VALU_DEP_3)
	v_cmp_gt_f32_e32 vcc_lo, v13, v8
	v_cndmask_b32_e32 v8, v8, v13, vcc_lo
	v_dual_cndmask_b32 v7, v7, v12 :: v_dual_add_nc_u32 v10, s20, v10
	s_and_not1_b32 exec_lo, exec_lo, s21
	s_cbranch_execnz .LBB80_17
; %bb.18:                               ;   in Loop: Header=BB80_15 Depth=1
	s_or_b32 exec_lo, exec_lo, s21
.LBB80_19:                              ;   in Loop: Header=BB80_15 Depth=1
	s_delay_alu instid0(SALU_CYCLE_1)
	s_or_b32 exec_lo, exec_lo, s16
	;;#ASMSTART
	v_max_f32 v9, v8, v8 quad_perm:[1,0,3,2] row_mask:0xf bank_mask:0xf bound_ctrl:1
	;;#ASMEND
	;;#ASMSTART
	v_max_f32 v10, v9, v9 quad_perm:[2,3,0,1] row_mask:0xf bank_mask:0xf bound_ctrl:1
	;;#ASMEND
	;;#ASMSTART
	v_max_f32 v9, v10, v10 row_half_mirror row_mask:0xf bank_mask:0xf bound_ctrl:1
	;;#ASMEND
	;;#ASMSTART
	v_max_f32 v10, v9, v9 row_mirror row_mask:0xf bank_mask:0xf bound_ctrl:1
	;;#ASMEND
	v_permlanex16_b32 v9, v10, s19, 0xfedcba98 op_sel:[1,1]
	s_delay_alu instid0(VALU_DEP_1) | instskip(NEXT) | instid1(VALU_DEP_1)
	v_dual_max_f32 v10, v10, v10 :: v_dual_max_f32 v9, v9, v9
	v_max_f32_e32 v9, v10, v9
	s_delay_alu instid0(VALU_DEP_1)
	v_cmp_eq_f32_e32 vcc_lo, v8, v9
	s_ctz_i32_b32 s3, vcc_lo
	s_cmp_lg_u32 vcc_lo, 0
	s_cselect_b32 s3, s3, 0
	s_and_b32 vcc_lo, exec_lo, s12
	v_readlane_b32 s16, v7, s3
	s_cbranch_vccz .LBB80_14
; %bb.20:                               ;   in Loop: Header=BB80_15 Depth=1
	s_delay_alu instid0(VALU_DEP_1) | instskip(NEXT) | instid1(SALU_CYCLE_1)
	s_ashr_i32 s17, s16, 31
	s_lshl_b64 s[20:21], s[16:17], 1
	s_delay_alu instid0(SALU_CYCLE_1) | instskip(SKIP_4) | instid1(VALU_DEP_1)
	s_add_u32 s20, s6, s20
	s_addc_u32 s21, s7, s21
	global_load_u16 v7, v5, s[20:21]
	s_waitcnt vmcnt(0)
	v_lshlrev_b32_e32 v7, 16, v7
	v_sub_f32_e32 v9, v9, v7
	s_branch .LBB80_14
.LBB80_21:
	v_dual_mov_b32 v2, 0 :: v_dual_mov_b32 v1, 0
.LBB80_22:
	s_mov_b32 s2, exec_lo
	v_cmpx_gt_i32_e64 s13, v0
	s_cbranch_execz .LBB80_25
; %bb.23:
	s_clause 0x2
	s_load_b32 s4, s[0:1], 0x34
	s_load_b64 s[2:3], s[0:1], 0x20
	s_load_b32 s0, s[0:1], 0x44
	s_ashr_i32 s1, s15, 31
	s_waitcnt lgkmcnt(0)
	v_mul_f32_e32 v2, s4, v2
	s_mul_i32 s3, s15, s3
	s_mul_hi_u32 s4, s15, s2
	s_mul_i32 s5, s1, s2
	s_add_i32 s3, s4, s3
	s_mul_i32 s1, s15, s2
	s_and_b32 s2, s0, 0xffff
	s_add_i32 s3, s3, s5
	s_mov_b32 s4, 0
	.p2align	6
.LBB80_24:                              ; =>This Inner Loop Header: Depth=1
	v_ashrrev_i32_e32 v4, 31, v0
	v_add_co_u32 v3, vcc_lo, s1, v0
	v_add_nc_u32_e32 v0, s2, v0
	s_delay_alu instid0(VALU_DEP_3) | instskip(NEXT) | instid1(VALU_DEP_2)
	v_add_co_ci_u32_e32 v4, vcc_lo, s3, v4, vcc_lo
	v_cmp_le_i32_e32 vcc_lo, s13, v0
	s_delay_alu instid0(VALU_DEP_2) | instskip(SKIP_1) | instid1(VALU_DEP_1)
	v_lshlrev_b64 v[3:4], 2, v[3:4]
	s_or_b32 s4, vcc_lo, s4
	v_add_co_u32 v5, s0, s8, v3
	s_delay_alu instid0(VALU_DEP_1) | instskip(SKIP_1) | instid1(VALU_DEP_1)
	v_add_co_ci_u32_e64 v6, s0, s9, v4, s0
	v_add_co_u32 v3, s0, s10, v3
	v_add_co_ci_u32_e64 v4, s0, s11, v4, s0
	global_store_b32 v[5:6], v2, off
	global_store_b32 v[3:4], v1, off
	s_and_not1_b32 exec_lo, exec_lo, s4
	s_cbranch_execnz .LBB80_24
.LBB80_25:
	s_nop 0
	s_sendmsg sendmsg(MSG_DEALLOC_VGPRS)
	s_endpgm
	.section	.rodata,"a",@progbits
	.p2align	6, 0x0
	.amdhsa_kernel _ZN5aiter20topk_softplus_kernelIf12hip_bfloat16Dv2_fLb0ELi1EEEvPKT_PKT0_PfPimiiif
		.amdhsa_group_segment_fixed_size 0
		.amdhsa_private_segment_fixed_size 0
		.amdhsa_kernarg_size 312
		.amdhsa_user_sgpr_count 15
		.amdhsa_user_sgpr_dispatch_ptr 0
		.amdhsa_user_sgpr_queue_ptr 0
		.amdhsa_user_sgpr_kernarg_segment_ptr 1
		.amdhsa_user_sgpr_dispatch_id 0
		.amdhsa_user_sgpr_private_segment_size 0
		.amdhsa_wavefront_size32 1
		.amdhsa_uses_dynamic_stack 0
		.amdhsa_enable_private_segment 0
		.amdhsa_system_sgpr_workgroup_id_x 1
		.amdhsa_system_sgpr_workgroup_id_y 0
		.amdhsa_system_sgpr_workgroup_id_z 0
		.amdhsa_system_sgpr_workgroup_info 0
		.amdhsa_system_vgpr_workitem_id 0
		.amdhsa_next_free_vgpr 14
		.amdhsa_next_free_sgpr 24
		.amdhsa_reserve_vcc 1
		.amdhsa_float_round_mode_32 0
		.amdhsa_float_round_mode_16_64 0
		.amdhsa_float_denorm_mode_32 3
		.amdhsa_float_denorm_mode_16_64 3
		.amdhsa_dx10_clamp 1
		.amdhsa_ieee_mode 1
		.amdhsa_fp16_overflow 0
		.amdhsa_workgroup_processor_mode 1
		.amdhsa_memory_ordered 1
		.amdhsa_forward_progress 0
		.amdhsa_shared_vgpr_count 0
		.amdhsa_exception_fp_ieee_invalid_op 0
		.amdhsa_exception_fp_denorm_src 0
		.amdhsa_exception_fp_ieee_div_zero 0
		.amdhsa_exception_fp_ieee_overflow 0
		.amdhsa_exception_fp_ieee_underflow 0
		.amdhsa_exception_fp_ieee_inexact 0
		.amdhsa_exception_int_div_zero 0
	.end_amdhsa_kernel
	.section	.text._ZN5aiter20topk_softplus_kernelIf12hip_bfloat16Dv2_fLb0ELi1EEEvPKT_PKT0_PfPimiiif,"axG",@progbits,_ZN5aiter20topk_softplus_kernelIf12hip_bfloat16Dv2_fLb0ELi1EEEvPKT_PKT0_PfPimiiif,comdat
.Lfunc_end80:
	.size	_ZN5aiter20topk_softplus_kernelIf12hip_bfloat16Dv2_fLb0ELi1EEEvPKT_PKT0_PfPimiiif, .Lfunc_end80-_ZN5aiter20topk_softplus_kernelIf12hip_bfloat16Dv2_fLb0ELi1EEEvPKT_PKT0_PfPimiiif
                                        ; -- End function
	.section	.AMDGPU.csdata,"",@progbits
; Kernel info:
; codeLenInByte = 1552
; NumSgprs: 26
; NumVgprs: 14
; ScratchSize: 0
; MemoryBound: 0
; FloatMode: 240
; IeeeMode: 1
; LDSByteSize: 0 bytes/workgroup (compile time only)
; SGPRBlocks: 3
; VGPRBlocks: 1
; NumSGPRsForWavesPerEU: 26
; NumVGPRsForWavesPerEU: 14
; Occupancy: 16
; WaveLimiterHint : 0
; COMPUTE_PGM_RSRC2:SCRATCH_EN: 0
; COMPUTE_PGM_RSRC2:USER_SGPR: 15
; COMPUTE_PGM_RSRC2:TRAP_HANDLER: 0
; COMPUTE_PGM_RSRC2:TGID_X_EN: 1
; COMPUTE_PGM_RSRC2:TGID_Y_EN: 0
; COMPUTE_PGM_RSRC2:TGID_Z_EN: 0
; COMPUTE_PGM_RSRC2:TIDIG_COMP_CNT: 0
	.section	.text._ZN5aiter20topk_softplus_kernelIf12hip_bfloat16Dv1_fLb1ELi1EEEvPKT_PKT0_PfPimiiif,"axG",@progbits,_ZN5aiter20topk_softplus_kernelIf12hip_bfloat16Dv1_fLb1ELi1EEEvPKT_PKT0_PfPimiiif,comdat
	.protected	_ZN5aiter20topk_softplus_kernelIf12hip_bfloat16Dv1_fLb1ELi1EEEvPKT_PKT0_PfPimiiif ; -- Begin function _ZN5aiter20topk_softplus_kernelIf12hip_bfloat16Dv1_fLb1ELi1EEEvPKT_PKT0_PfPimiiif
	.globl	_ZN5aiter20topk_softplus_kernelIf12hip_bfloat16Dv1_fLb1ELi1EEEvPKT_PKT0_PfPimiiif
	.p2align	8
	.type	_ZN5aiter20topk_softplus_kernelIf12hip_bfloat16Dv1_fLb1ELi1EEEvPKT_PKT0_PfPimiiif,@function
_ZN5aiter20topk_softplus_kernelIf12hip_bfloat16Dv1_fLb1ELi1EEEvPKT_PKT0_PfPimiiif: ; @_ZN5aiter20topk_softplus_kernelIf12hip_bfloat16Dv1_fLb1ELi1EEEvPKT_PKT0_PfPimiiif
; %bb.0:
	s_clause 0x1
	s_load_b64 s[12:13], s[0:1], 0x28
	s_load_b256 s[4:11], s[0:1], 0x0
	v_lshl_add_u32 v3, v0, 2, 0
	s_waitcnt lgkmcnt(0)
	s_mul_i32 s16, s15, s12
	v_cmp_gt_i32_e64 s2, s12, v0
	s_ashr_i32 s17, s16, 31
	s_delay_alu instid0(SALU_CYCLE_1) | instskip(NEXT) | instid1(SALU_CYCLE_1)
	s_lshl_b64 s[16:17], s[16:17], 2
	s_add_u32 s3, s4, s16
	s_addc_u32 s4, s5, s17
	s_and_saveexec_b32 s5, s2
	s_cbranch_execz .LBB81_5
; %bb.1:
	s_load_b32 s16, s[0:1], 0x44
	s_cmp_lg_u64 s[6:7], 0
	v_lshl_add_u32 v4, v0, 2, 0
	v_mov_b32_e32 v1, v0
	s_cselect_b32 s14, -1, 0
	s_mov_b32 s17, 0
	s_waitcnt lgkmcnt(0)
	s_and_b32 s16, s16, 0xffff
	s_delay_alu instid0(SALU_CYCLE_1)
	s_lshl_b32 s18, s16, 2
	s_set_inst_prefetch_distance 0x1
	s_branch .LBB81_3
	.p2align	6
.LBB81_2:                               ;   in Loop: Header=BB81_3 Depth=1
	v_add_nc_u32_e32 v1, s16, v1
	ds_store_b32 v4, v5
	v_add_nc_u32_e32 v4, s18, v4
	v_cmp_le_i32_e32 vcc_lo, s12, v1
	s_or_b32 s17, vcc_lo, s17
	s_delay_alu instid0(SALU_CYCLE_1)
	s_and_not1_b32 exec_lo, exec_lo, s17
	s_cbranch_execz .LBB81_5
.LBB81_3:                               ; =>This Inner Loop Header: Depth=1
	v_ashrrev_i32_e32 v2, 31, v1
	s_delay_alu instid0(VALU_DEP_1) | instskip(NEXT) | instid1(VALU_DEP_1)
	v_lshlrev_b64 v[5:6], 2, v[1:2]
	v_add_co_u32 v5, vcc_lo, s3, v5
	s_delay_alu instid0(VALU_DEP_2) | instskip(SKIP_3) | instid1(VALU_DEP_1)
	v_add_co_ci_u32_e32 v6, vcc_lo, s4, v6, vcc_lo
	global_load_b32 v5, v[5:6], off
	s_waitcnt vmcnt(0)
	v_mul_f32_e32 v6, 0xbfb8aa3b, v5
	v_cmp_gt_f32_e32 vcc_lo, 0xc2fc0000, v6
	v_cndmask_b32_e64 v6, 0, 0x42800000, vcc_lo
	s_delay_alu instid0(VALU_DEP_1) | instskip(NEXT) | instid1(VALU_DEP_1)
	v_fmac_f32_e32 v6, 0xbfb8aa3b, v5
	v_exp_f32_e32 v5, v6
	v_cndmask_b32_e64 v6, 1.0, 0x1f800000, vcc_lo
	s_and_not1_b32 vcc_lo, exec_lo, s14
	s_waitcnt_depctr 0xfff
	v_fma_f32 v5, v5, v6, 1.0
	s_delay_alu instid0(VALU_DEP_1)
	v_rcp_f32_e32 v5, v5
	s_cbranch_vccnz .LBB81_2
; %bb.4:                                ;   in Loop: Header=BB81_3 Depth=1
	v_lshlrev_b64 v[6:7], 1, v[1:2]
	s_delay_alu instid0(VALU_DEP_1) | instskip(NEXT) | instid1(VALU_DEP_2)
	v_add_co_u32 v6, vcc_lo, s6, v6
	v_add_co_ci_u32_e32 v7, vcc_lo, s7, v7, vcc_lo
	global_load_u16 v2, v[6:7], off
	s_waitcnt vmcnt(0)
	v_lshlrev_b32_e32 v2, 16, v2
	s_delay_alu instid0(VALU_DEP_1)
	v_add_f32_e32 v5, v5, v2
	s_branch .LBB81_2
.LBB81_5:
	s_set_inst_prefetch_distance 0x2
	s_or_b32 exec_lo, exec_lo, s5
	v_add_nc_u32_e32 v1, s12, v0
	s_mov_b32 s5, exec_lo
	s_delay_alu instid0(VALU_DEP_1)
	v_cmpx_gt_i32_e64 s12, v1
	s_cbranch_execz .LBB81_10
; %bb.6:
	s_load_b32 s16, s[0:1], 0x44
	s_cmp_lg_u64 s[6:7], 0
	v_lshl_add_u32 v4, v1, 2, 0
	s_cselect_b32 s14, -1, 0
	s_mov_b32 s17, 0
	s_waitcnt lgkmcnt(0)
	s_and_b32 s16, s16, 0xffff
	s_delay_alu instid0(SALU_CYCLE_1)
	s_lshl_b32 s18, s16, 2
	s_set_inst_prefetch_distance 0x1
	s_branch .LBB81_8
	.p2align	6
.LBB81_7:                               ;   in Loop: Header=BB81_8 Depth=1
	v_add_nc_u32_e32 v1, s16, v1
	v_add_nc_u32_e32 v4, s18, v4
	s_delay_alu instid0(VALU_DEP_2) | instskip(SKIP_1) | instid1(SALU_CYCLE_1)
	v_cmp_le_i32_e32 vcc_lo, s12, v1
	s_or_b32 s17, vcc_lo, s17
	s_and_not1_b32 exec_lo, exec_lo, s17
	s_cbranch_execz .LBB81_10
.LBB81_8:                               ; =>This Inner Loop Header: Depth=1
	v_ashrrev_i32_e32 v2, 31, v1
	s_delay_alu instid0(VALU_DEP_1) | instskip(NEXT) | instid1(VALU_DEP_1)
	v_lshlrev_b64 v[5:6], 2, v[1:2]
	v_add_co_u32 v5, vcc_lo, s3, v5
	s_delay_alu instid0(VALU_DEP_2) | instskip(SKIP_3) | instid1(VALU_DEP_1)
	v_add_co_ci_u32_e32 v6, vcc_lo, s4, v6, vcc_lo
	global_load_b32 v5, v[5:6], off
	s_waitcnt vmcnt(0)
	v_mul_f32_e32 v6, 0xbfb8aa3b, v5
	v_cmp_gt_f32_e32 vcc_lo, 0xc2fc0000, v6
	v_cndmask_b32_e64 v6, 0, 0x42800000, vcc_lo
	s_delay_alu instid0(VALU_DEP_1) | instskip(NEXT) | instid1(VALU_DEP_1)
	v_fmac_f32_e32 v6, 0xbfb8aa3b, v5
	v_exp_f32_e32 v5, v6
	v_cndmask_b32_e64 v6, 1.0, 0x1f800000, vcc_lo
	s_and_not1_b32 vcc_lo, exec_lo, s14
	s_waitcnt_depctr 0xfff
	v_fma_f32 v5, v5, v6, 1.0
	s_delay_alu instid0(VALU_DEP_1)
	v_rcp_f32_e32 v5, v5
	ds_store_b32 v4, v5
	s_cbranch_vccnz .LBB81_7
; %bb.9:                                ;   in Loop: Header=BB81_8 Depth=1
	v_lshlrev_b64 v[6:7], 1, v[1:2]
	s_delay_alu instid0(VALU_DEP_1) | instskip(NEXT) | instid1(VALU_DEP_2)
	v_add_co_u32 v6, vcc_lo, s6, v6
	v_add_co_ci_u32_e32 v7, vcc_lo, s7, v7, vcc_lo
	global_load_u16 v2, v[6:7], off
	s_waitcnt vmcnt(0)
	v_lshlrev_b32_e32 v2, 16, v2
	s_delay_alu instid0(VALU_DEP_1)
	v_add_f32_e32 v2, v5, v2
	ds_store_b32 v4, v2
	s_branch .LBB81_7
.LBB81_10:
	s_set_inst_prefetch_distance 0x2
	s_or_b32 exec_lo, exec_lo, s5
	v_mov_b32_e32 v2, 0
	s_cmp_lt_i32 s13, 1
	s_waitcnt lgkmcnt(0)
	s_barrier
	buffer_gl0_inv
	s_cbranch_scc1 .LBB81_19
; %bb.11:
	s_add_u32 s4, s0, 56
	s_addc_u32 s5, s1, 0
	v_dual_mov_b32 v2, 0 :: v_dual_mov_b32 v5, 0
	v_dual_mov_b32 v6, 0xff800000 :: v_dual_mov_b32 v1, 0
	v_mov_b32_e32 v4, 0
	s_cmp_lg_u64 s[6:7], 0
	s_mov_b32 s14, 0
	s_cselect_b32 s3, -1, 0
	s_mov_b32 s18, 0x76543210
	s_branch .LBB81_13
.LBB81_12:                              ;   in Loop: Header=BB81_13 Depth=1
	v_cmp_eq_u32_e32 vcc_lo, s14, v0
	s_delay_alu instid0(VALU_DEP_2) | instskip(NEXT) | instid1(VALU_DEP_2)
	s_lshl_b32 s17, s16, 2
	v_add_f32_e32 v4, v4, v9
	s_add_i32 s17, s17, 0
	s_add_i32 s14, s14, 1
	v_cndmask_b32_e64 v1, v1, s16, vcc_lo
	v_dual_mov_b32 v7, s17 :: v_dual_cndmask_b32 v2, v2, v9
	s_cmp_eq_u32 s14, s13
	ds_store_b32 v7, v6
	s_cbranch_scc1 .LBB81_20
.LBB81_13:                              ; =>This Loop Header: Depth=1
                                        ;     Child Loop BB81_15 Depth 2
	v_dual_mov_b32 v7, s14 :: v_dual_mov_b32 v8, 0xff800000
	s_and_saveexec_b32 s16, s2
	s_cbranch_execz .LBB81_17
; %bb.14:                               ;   in Loop: Header=BB81_13 Depth=1
	s_load_b32 s17, s[4:5], 0xc
	v_dual_mov_b32 v7, s14 :: v_dual_mov_b32 v8, 0xff800000
	v_dual_mov_b32 v9, v3 :: v_dual_mov_b32 v10, v0
	s_mov_b32 s19, 0
	s_waitcnt lgkmcnt(0)
	s_and_b32 s17, s17, 0xffff
	s_delay_alu instid0(SALU_CYCLE_1)
	s_lshl_b32 s20, s17, 2
.LBB81_15:                              ;   Parent Loop BB81_13 Depth=1
                                        ; =>  This Inner Loop Header: Depth=2
	ds_load_b32 v11, v9
	v_add_nc_u32_e32 v9, s20, v9
	s_waitcnt lgkmcnt(0)
	v_cmp_gt_f32_e32 vcc_lo, v11, v8
	v_dual_cndmask_b32 v8, v8, v11 :: v_dual_cndmask_b32 v7, v7, v10
	v_add_nc_u32_e32 v10, s17, v10
	s_delay_alu instid0(VALU_DEP_1) | instskip(SKIP_1) | instid1(SALU_CYCLE_1)
	v_cmp_le_i32_e32 vcc_lo, s12, v10
	s_or_b32 s19, vcc_lo, s19
	s_and_not1_b32 exec_lo, exec_lo, s19
	s_cbranch_execnz .LBB81_15
; %bb.16:                               ;   in Loop: Header=BB81_13 Depth=1
	s_or_b32 exec_lo, exec_lo, s19
.LBB81_17:                              ;   in Loop: Header=BB81_13 Depth=1
	s_delay_alu instid0(SALU_CYCLE_1)
	s_or_b32 exec_lo, exec_lo, s16
	;;#ASMSTART
	v_max_f32 v9, v8, v8 quad_perm:[1,0,3,2] row_mask:0xf bank_mask:0xf bound_ctrl:1
	;;#ASMEND
	;;#ASMSTART
	v_max_f32 v10, v9, v9 quad_perm:[2,3,0,1] row_mask:0xf bank_mask:0xf bound_ctrl:1
	;;#ASMEND
	;;#ASMSTART
	v_max_f32 v9, v10, v10 row_half_mirror row_mask:0xf bank_mask:0xf bound_ctrl:1
	;;#ASMEND
	;;#ASMSTART
	v_max_f32 v10, v9, v9 row_mirror row_mask:0xf bank_mask:0xf bound_ctrl:1
	;;#ASMEND
	v_permlanex16_b32 v9, v10, s18, 0xfedcba98 op_sel:[1,1]
	s_delay_alu instid0(VALU_DEP_1) | instskip(NEXT) | instid1(VALU_DEP_1)
	v_dual_max_f32 v10, v10, v10 :: v_dual_max_f32 v9, v9, v9
	v_max_f32_e32 v9, v10, v9
	s_delay_alu instid0(VALU_DEP_1)
	v_cmp_eq_f32_e32 vcc_lo, v8, v9
	s_ctz_i32_b32 s16, vcc_lo
	s_cmp_lg_u32 vcc_lo, 0
	s_cselect_b32 s16, s16, 0
	s_and_b32 vcc_lo, exec_lo, s3
	v_readlane_b32 s16, v7, s16
	s_cbranch_vccz .LBB81_12
; %bb.18:                               ;   in Loop: Header=BB81_13 Depth=1
	s_delay_alu instid0(VALU_DEP_1) | instskip(NEXT) | instid1(SALU_CYCLE_1)
	s_ashr_i32 s17, s16, 31
	s_lshl_b64 s[20:21], s[16:17], 1
	s_delay_alu instid0(SALU_CYCLE_1) | instskip(SKIP_4) | instid1(VALU_DEP_1)
	s_add_u32 s20, s6, s20
	s_addc_u32 s21, s7, s21
	global_load_u16 v7, v5, s[20:21]
	s_waitcnt vmcnt(0)
	v_lshlrev_b32_e32 v7, 16, v7
	v_sub_f32_e32 v9, v9, v7
	s_branch .LBB81_12
.LBB81_19:
	v_dual_mov_b32 v1, 0 :: v_dual_mov_b32 v4, 0
.LBB81_20:
	s_mov_b32 s2, exec_lo
	v_cmpx_gt_i32_e64 s13, v0
	s_cbranch_execz .LBB81_23
; %bb.21:
	s_clause 0x1
	s_load_b32 s2, s[0:1], 0x34
	s_load_b32 s3, s[0:1], 0x44
	v_max_f32_e32 v3, v4, v4
	s_load_b64 s[0:1], s[0:1], 0x20
	s_ashr_i32 s4, s15, 31
	s_delay_alu instid0(VALU_DEP_1) | instskip(SKIP_1) | instid1(VALU_DEP_1)
	v_max_f32_e32 v3, 0x1e3ce508, v3
	s_waitcnt lgkmcnt(0)
	v_div_scale_f32 v4, null, v3, v3, s2
	v_div_scale_f32 v7, vcc_lo, s2, v3, s2
	s_mul_i32 s1, s15, s1
	s_delay_alu instid0(VALU_DEP_2) | instskip(SKIP_4) | instid1(VALU_DEP_1)
	v_rcp_f32_e32 v5, v4
	s_mul_i32 s4, s4, s0
	s_and_b32 s3, s3, 0xffff
	s_waitcnt_depctr 0xfff
	v_fma_f32 v6, -v4, v5, 1.0
	v_fmac_f32_e32 v5, v6, v5
	s_delay_alu instid0(VALU_DEP_1) | instskip(NEXT) | instid1(VALU_DEP_1)
	v_mul_f32_e32 v6, v7, v5
	v_fma_f32 v8, -v4, v6, v7
	s_delay_alu instid0(VALU_DEP_1) | instskip(NEXT) | instid1(VALU_DEP_1)
	v_fmac_f32_e32 v6, v8, v5
	v_fma_f32 v4, -v4, v6, v7
	s_delay_alu instid0(VALU_DEP_1) | instskip(NEXT) | instid1(VALU_DEP_1)
	v_div_fmas_f32 v4, v4, v5, v6
	v_div_fixup_f32 v3, v4, v3, s2
	s_mul_hi_u32 s2, s15, s0
	s_delay_alu instid0(SALU_CYCLE_1) | instskip(SKIP_1) | instid1(VALU_DEP_1)
	s_add_i32 s1, s2, s1
	s_mul_i32 s2, s15, s0
	v_mul_f32_e32 v2, v2, v3
	s_add_i32 s1, s1, s4
	s_mov_b32 s4, 0
	.p2align	6
.LBB81_22:                              ; =>This Inner Loop Header: Depth=1
	v_ashrrev_i32_e32 v4, 31, v0
	v_add_co_u32 v3, vcc_lo, s2, v0
	v_add_nc_u32_e32 v0, s3, v0
	s_delay_alu instid0(VALU_DEP_3) | instskip(NEXT) | instid1(VALU_DEP_2)
	v_add_co_ci_u32_e32 v4, vcc_lo, s1, v4, vcc_lo
	v_cmp_le_i32_e32 vcc_lo, s13, v0
	s_delay_alu instid0(VALU_DEP_2) | instskip(SKIP_1) | instid1(VALU_DEP_1)
	v_lshlrev_b64 v[3:4], 2, v[3:4]
	s_or_b32 s4, vcc_lo, s4
	v_add_co_u32 v5, s0, s8, v3
	s_delay_alu instid0(VALU_DEP_1) | instskip(SKIP_1) | instid1(VALU_DEP_1)
	v_add_co_ci_u32_e64 v6, s0, s9, v4, s0
	v_add_co_u32 v3, s0, s10, v3
	v_add_co_ci_u32_e64 v4, s0, s11, v4, s0
	global_store_b32 v[5:6], v2, off
	global_store_b32 v[3:4], v1, off
	s_and_not1_b32 exec_lo, exec_lo, s4
	s_cbranch_execnz .LBB81_22
.LBB81_23:
	s_nop 0
	s_sendmsg sendmsg(MSG_DEALLOC_VGPRS)
	s_endpgm
	.section	.rodata,"a",@progbits
	.p2align	6, 0x0
	.amdhsa_kernel _ZN5aiter20topk_softplus_kernelIf12hip_bfloat16Dv1_fLb1ELi1EEEvPKT_PKT0_PfPimiiif
		.amdhsa_group_segment_fixed_size 0
		.amdhsa_private_segment_fixed_size 0
		.amdhsa_kernarg_size 312
		.amdhsa_user_sgpr_count 15
		.amdhsa_user_sgpr_dispatch_ptr 0
		.amdhsa_user_sgpr_queue_ptr 0
		.amdhsa_user_sgpr_kernarg_segment_ptr 1
		.amdhsa_user_sgpr_dispatch_id 0
		.amdhsa_user_sgpr_private_segment_size 0
		.amdhsa_wavefront_size32 1
		.amdhsa_uses_dynamic_stack 0
		.amdhsa_enable_private_segment 0
		.amdhsa_system_sgpr_workgroup_id_x 1
		.amdhsa_system_sgpr_workgroup_id_y 0
		.amdhsa_system_sgpr_workgroup_id_z 0
		.amdhsa_system_sgpr_workgroup_info 0
		.amdhsa_system_vgpr_workitem_id 0
		.amdhsa_next_free_vgpr 12
		.amdhsa_next_free_sgpr 22
		.amdhsa_reserve_vcc 1
		.amdhsa_float_round_mode_32 0
		.amdhsa_float_round_mode_16_64 0
		.amdhsa_float_denorm_mode_32 3
		.amdhsa_float_denorm_mode_16_64 3
		.amdhsa_dx10_clamp 1
		.amdhsa_ieee_mode 1
		.amdhsa_fp16_overflow 0
		.amdhsa_workgroup_processor_mode 1
		.amdhsa_memory_ordered 1
		.amdhsa_forward_progress 0
		.amdhsa_shared_vgpr_count 0
		.amdhsa_exception_fp_ieee_invalid_op 0
		.amdhsa_exception_fp_denorm_src 0
		.amdhsa_exception_fp_ieee_div_zero 0
		.amdhsa_exception_fp_ieee_overflow 0
		.amdhsa_exception_fp_ieee_underflow 0
		.amdhsa_exception_fp_ieee_inexact 0
		.amdhsa_exception_int_div_zero 0
	.end_amdhsa_kernel
	.section	.text._ZN5aiter20topk_softplus_kernelIf12hip_bfloat16Dv1_fLb1ELi1EEEvPKT_PKT0_PfPimiiif,"axG",@progbits,_ZN5aiter20topk_softplus_kernelIf12hip_bfloat16Dv1_fLb1ELi1EEEvPKT_PKT0_PfPimiiif,comdat
.Lfunc_end81:
	.size	_ZN5aiter20topk_softplus_kernelIf12hip_bfloat16Dv1_fLb1ELi1EEEvPKT_PKT0_PfPimiiif, .Lfunc_end81-_ZN5aiter20topk_softplus_kernelIf12hip_bfloat16Dv1_fLb1ELi1EEEvPKT_PKT0_PfPimiiif
                                        ; -- End function
	.section	.AMDGPU.csdata,"",@progbits
; Kernel info:
; codeLenInByte = 1464
; NumSgprs: 24
; NumVgprs: 12
; ScratchSize: 0
; MemoryBound: 0
; FloatMode: 240
; IeeeMode: 1
; LDSByteSize: 0 bytes/workgroup (compile time only)
; SGPRBlocks: 2
; VGPRBlocks: 1
; NumSGPRsForWavesPerEU: 24
; NumVGPRsForWavesPerEU: 12
; Occupancy: 16
; WaveLimiterHint : 0
; COMPUTE_PGM_RSRC2:SCRATCH_EN: 0
; COMPUTE_PGM_RSRC2:USER_SGPR: 15
; COMPUTE_PGM_RSRC2:TRAP_HANDLER: 0
; COMPUTE_PGM_RSRC2:TGID_X_EN: 1
; COMPUTE_PGM_RSRC2:TGID_Y_EN: 0
; COMPUTE_PGM_RSRC2:TGID_Z_EN: 0
; COMPUTE_PGM_RSRC2:TIDIG_COMP_CNT: 0
	.section	.text._ZN5aiter20topk_softplus_kernelIf12hip_bfloat16Dv1_fLb0ELi1EEEvPKT_PKT0_PfPimiiif,"axG",@progbits,_ZN5aiter20topk_softplus_kernelIf12hip_bfloat16Dv1_fLb0ELi1EEEvPKT_PKT0_PfPimiiif,comdat
	.protected	_ZN5aiter20topk_softplus_kernelIf12hip_bfloat16Dv1_fLb0ELi1EEEvPKT_PKT0_PfPimiiif ; -- Begin function _ZN5aiter20topk_softplus_kernelIf12hip_bfloat16Dv1_fLb0ELi1EEEvPKT_PKT0_PfPimiiif
	.globl	_ZN5aiter20topk_softplus_kernelIf12hip_bfloat16Dv1_fLb0ELi1EEEvPKT_PKT0_PfPimiiif
	.p2align	8
	.type	_ZN5aiter20topk_softplus_kernelIf12hip_bfloat16Dv1_fLb0ELi1EEEvPKT_PKT0_PfPimiiif,@function
_ZN5aiter20topk_softplus_kernelIf12hip_bfloat16Dv1_fLb0ELi1EEEvPKT_PKT0_PfPimiiif: ; @_ZN5aiter20topk_softplus_kernelIf12hip_bfloat16Dv1_fLb0ELi1EEEvPKT_PKT0_PfPimiiif
; %bb.0:
	s_clause 0x1
	s_load_b64 s[12:13], s[0:1], 0x28
	s_load_b256 s[4:11], s[0:1], 0x0
	v_lshl_add_u32 v3, v0, 2, 0
	s_waitcnt lgkmcnt(0)
	s_mul_i32 s16, s15, s12
	v_cmp_gt_i32_e64 s2, s12, v0
	s_ashr_i32 s17, s16, 31
	s_delay_alu instid0(SALU_CYCLE_1) | instskip(NEXT) | instid1(SALU_CYCLE_1)
	s_lshl_b64 s[16:17], s[16:17], 2
	s_add_u32 s3, s4, s16
	s_addc_u32 s4, s5, s17
	s_and_saveexec_b32 s5, s2
	s_cbranch_execz .LBB82_5
; %bb.1:
	s_load_b32 s16, s[0:1], 0x44
	s_cmp_lg_u64 s[6:7], 0
	v_lshl_add_u32 v4, v0, 2, 0
	v_mov_b32_e32 v1, v0
	s_cselect_b32 s14, -1, 0
	s_mov_b32 s17, 0
	s_waitcnt lgkmcnt(0)
	s_and_b32 s16, s16, 0xffff
	s_delay_alu instid0(SALU_CYCLE_1)
	s_lshl_b32 s18, s16, 2
	s_set_inst_prefetch_distance 0x1
	s_branch .LBB82_3
	.p2align	6
.LBB82_2:                               ;   in Loop: Header=BB82_3 Depth=1
	v_add_nc_u32_e32 v1, s16, v1
	ds_store_b32 v4, v5
	v_add_nc_u32_e32 v4, s18, v4
	v_cmp_le_i32_e32 vcc_lo, s12, v1
	s_or_b32 s17, vcc_lo, s17
	s_delay_alu instid0(SALU_CYCLE_1)
	s_and_not1_b32 exec_lo, exec_lo, s17
	s_cbranch_execz .LBB82_5
.LBB82_3:                               ; =>This Inner Loop Header: Depth=1
	v_ashrrev_i32_e32 v2, 31, v1
	s_delay_alu instid0(VALU_DEP_1) | instskip(NEXT) | instid1(VALU_DEP_1)
	v_lshlrev_b64 v[5:6], 2, v[1:2]
	v_add_co_u32 v5, vcc_lo, s3, v5
	s_delay_alu instid0(VALU_DEP_2) | instskip(SKIP_3) | instid1(VALU_DEP_1)
	v_add_co_ci_u32_e32 v6, vcc_lo, s4, v6, vcc_lo
	global_load_b32 v5, v[5:6], off
	s_waitcnt vmcnt(0)
	v_mul_f32_e32 v6, 0xbfb8aa3b, v5
	v_cmp_gt_f32_e32 vcc_lo, 0xc2fc0000, v6
	v_cndmask_b32_e64 v6, 0, 0x42800000, vcc_lo
	s_delay_alu instid0(VALU_DEP_1) | instskip(NEXT) | instid1(VALU_DEP_1)
	v_fmac_f32_e32 v6, 0xbfb8aa3b, v5
	v_exp_f32_e32 v5, v6
	v_cndmask_b32_e64 v6, 1.0, 0x1f800000, vcc_lo
	s_and_not1_b32 vcc_lo, exec_lo, s14
	s_waitcnt_depctr 0xfff
	v_fma_f32 v5, v5, v6, 1.0
	s_delay_alu instid0(VALU_DEP_1)
	v_rcp_f32_e32 v5, v5
	s_cbranch_vccnz .LBB82_2
; %bb.4:                                ;   in Loop: Header=BB82_3 Depth=1
	v_lshlrev_b64 v[6:7], 1, v[1:2]
	s_delay_alu instid0(VALU_DEP_1) | instskip(NEXT) | instid1(VALU_DEP_2)
	v_add_co_u32 v6, vcc_lo, s6, v6
	v_add_co_ci_u32_e32 v7, vcc_lo, s7, v7, vcc_lo
	global_load_u16 v2, v[6:7], off
	s_waitcnt vmcnt(0)
	v_lshlrev_b32_e32 v2, 16, v2
	s_delay_alu instid0(VALU_DEP_1)
	v_add_f32_e32 v5, v5, v2
	s_branch .LBB82_2
.LBB82_5:
	s_set_inst_prefetch_distance 0x2
	s_or_b32 exec_lo, exec_lo, s5
	v_add_nc_u32_e32 v1, s12, v0
	s_mov_b32 s5, exec_lo
	s_delay_alu instid0(VALU_DEP_1)
	v_cmpx_gt_i32_e64 s12, v1
	s_cbranch_execz .LBB82_10
; %bb.6:
	s_load_b32 s16, s[0:1], 0x44
	s_cmp_lg_u64 s[6:7], 0
	v_lshl_add_u32 v4, v1, 2, 0
	s_cselect_b32 s14, -1, 0
	s_mov_b32 s17, 0
	s_waitcnt lgkmcnt(0)
	s_and_b32 s16, s16, 0xffff
	s_delay_alu instid0(SALU_CYCLE_1)
	s_lshl_b32 s18, s16, 2
	s_set_inst_prefetch_distance 0x1
	s_branch .LBB82_8
	.p2align	6
.LBB82_7:                               ;   in Loop: Header=BB82_8 Depth=1
	v_add_nc_u32_e32 v1, s16, v1
	v_add_nc_u32_e32 v4, s18, v4
	s_delay_alu instid0(VALU_DEP_2) | instskip(SKIP_1) | instid1(SALU_CYCLE_1)
	v_cmp_le_i32_e32 vcc_lo, s12, v1
	s_or_b32 s17, vcc_lo, s17
	s_and_not1_b32 exec_lo, exec_lo, s17
	s_cbranch_execz .LBB82_10
.LBB82_8:                               ; =>This Inner Loop Header: Depth=1
	v_ashrrev_i32_e32 v2, 31, v1
	s_delay_alu instid0(VALU_DEP_1) | instskip(NEXT) | instid1(VALU_DEP_1)
	v_lshlrev_b64 v[5:6], 2, v[1:2]
	v_add_co_u32 v5, vcc_lo, s3, v5
	s_delay_alu instid0(VALU_DEP_2) | instskip(SKIP_3) | instid1(VALU_DEP_1)
	v_add_co_ci_u32_e32 v6, vcc_lo, s4, v6, vcc_lo
	global_load_b32 v5, v[5:6], off
	s_waitcnt vmcnt(0)
	v_mul_f32_e32 v6, 0xbfb8aa3b, v5
	v_cmp_gt_f32_e32 vcc_lo, 0xc2fc0000, v6
	v_cndmask_b32_e64 v6, 0, 0x42800000, vcc_lo
	s_delay_alu instid0(VALU_DEP_1) | instskip(NEXT) | instid1(VALU_DEP_1)
	v_fmac_f32_e32 v6, 0xbfb8aa3b, v5
	v_exp_f32_e32 v5, v6
	v_cndmask_b32_e64 v6, 1.0, 0x1f800000, vcc_lo
	s_and_not1_b32 vcc_lo, exec_lo, s14
	s_waitcnt_depctr 0xfff
	v_fma_f32 v5, v5, v6, 1.0
	s_delay_alu instid0(VALU_DEP_1)
	v_rcp_f32_e32 v5, v5
	ds_store_b32 v4, v5
	s_cbranch_vccnz .LBB82_7
; %bb.9:                                ;   in Loop: Header=BB82_8 Depth=1
	v_lshlrev_b64 v[6:7], 1, v[1:2]
	s_delay_alu instid0(VALU_DEP_1) | instskip(NEXT) | instid1(VALU_DEP_2)
	v_add_co_u32 v6, vcc_lo, s6, v6
	v_add_co_ci_u32_e32 v7, vcc_lo, s7, v7, vcc_lo
	global_load_u16 v2, v[6:7], off
	s_waitcnt vmcnt(0)
	v_lshlrev_b32_e32 v2, 16, v2
	s_delay_alu instid0(VALU_DEP_1)
	v_add_f32_e32 v2, v5, v2
	ds_store_b32 v4, v2
	s_branch .LBB82_7
.LBB82_10:
	s_set_inst_prefetch_distance 0x2
	s_or_b32 exec_lo, exec_lo, s5
	s_cmp_lt_i32 s13, 1
	s_waitcnt lgkmcnt(0)
	s_barrier
	buffer_gl0_inv
	s_cbranch_scc1 .LBB82_19
; %bb.11:
	s_add_u32 s4, s0, 56
	s_addc_u32 s5, s1, 0
	v_dual_mov_b32 v4, 0 :: v_dual_mov_b32 v1, 0
	v_dual_mov_b32 v5, 0xff800000 :: v_dual_mov_b32 v2, 0
	s_cmp_lg_u64 s[6:7], 0
	s_mov_b32 s14, 0
	s_cselect_b32 s3, -1, 0
	s_mov_b32 s18, 0x76543210
	s_branch .LBB82_13
.LBB82_12:                              ;   in Loop: Header=BB82_13 Depth=1
	v_cmp_eq_u32_e32 vcc_lo, s14, v0
	s_delay_alu instid0(VALU_DEP_2)
	s_lshl_b32 s17, s16, 2
	s_add_i32 s14, s14, 1
	s_add_i32 s17, s17, 0
	s_cmp_eq_u32 s14, s13
	v_cndmask_b32_e64 v1, v1, s16, vcc_lo
	v_mov_b32_e32 v6, s17
	v_cndmask_b32_e32 v2, v2, v8, vcc_lo
	ds_store_b32 v6, v5
	s_cbranch_scc1 .LBB82_20
.LBB82_13:                              ; =>This Loop Header: Depth=1
                                        ;     Child Loop BB82_15 Depth 2
	v_dual_mov_b32 v6, s14 :: v_dual_mov_b32 v7, 0xff800000
	s_and_saveexec_b32 s16, s2
	s_cbranch_execz .LBB82_17
; %bb.14:                               ;   in Loop: Header=BB82_13 Depth=1
	s_load_b32 s17, s[4:5], 0xc
	v_dual_mov_b32 v6, s14 :: v_dual_mov_b32 v7, 0xff800000
	v_dual_mov_b32 v8, v3 :: v_dual_mov_b32 v9, v0
	s_mov_b32 s19, 0
	s_waitcnt lgkmcnt(0)
	s_and_b32 s17, s17, 0xffff
	s_delay_alu instid0(SALU_CYCLE_1)
	s_lshl_b32 s20, s17, 2
.LBB82_15:                              ;   Parent Loop BB82_13 Depth=1
                                        ; =>  This Inner Loop Header: Depth=2
	ds_load_b32 v10, v8
	v_add_nc_u32_e32 v8, s20, v8
	s_waitcnt lgkmcnt(0)
	v_cmp_gt_f32_e32 vcc_lo, v10, v7
	v_dual_cndmask_b32 v7, v7, v10 :: v_dual_cndmask_b32 v6, v6, v9
	v_add_nc_u32_e32 v9, s17, v9
	s_delay_alu instid0(VALU_DEP_1) | instskip(SKIP_1) | instid1(SALU_CYCLE_1)
	v_cmp_le_i32_e32 vcc_lo, s12, v9
	s_or_b32 s19, vcc_lo, s19
	s_and_not1_b32 exec_lo, exec_lo, s19
	s_cbranch_execnz .LBB82_15
; %bb.16:                               ;   in Loop: Header=BB82_13 Depth=1
	s_or_b32 exec_lo, exec_lo, s19
.LBB82_17:                              ;   in Loop: Header=BB82_13 Depth=1
	s_delay_alu instid0(SALU_CYCLE_1)
	s_or_b32 exec_lo, exec_lo, s16
	;;#ASMSTART
	v_max_f32 v8, v7, v7 quad_perm:[1,0,3,2] row_mask:0xf bank_mask:0xf bound_ctrl:1
	;;#ASMEND
	;;#ASMSTART
	v_max_f32 v9, v8, v8 quad_perm:[2,3,0,1] row_mask:0xf bank_mask:0xf bound_ctrl:1
	;;#ASMEND
	;;#ASMSTART
	v_max_f32 v8, v9, v9 row_half_mirror row_mask:0xf bank_mask:0xf bound_ctrl:1
	;;#ASMEND
	;;#ASMSTART
	v_max_f32 v9, v8, v8 row_mirror row_mask:0xf bank_mask:0xf bound_ctrl:1
	;;#ASMEND
	v_permlanex16_b32 v8, v9, s18, 0xfedcba98 op_sel:[1,1]
	s_delay_alu instid0(VALU_DEP_1) | instskip(NEXT) | instid1(VALU_DEP_1)
	v_dual_max_f32 v9, v9, v9 :: v_dual_max_f32 v8, v8, v8
	v_max_f32_e32 v8, v9, v8
	s_delay_alu instid0(VALU_DEP_1)
	v_cmp_eq_f32_e32 vcc_lo, v7, v8
	s_ctz_i32_b32 s16, vcc_lo
	s_cmp_lg_u32 vcc_lo, 0
	s_cselect_b32 s16, s16, 0
	s_and_b32 vcc_lo, exec_lo, s3
	v_readlane_b32 s16, v6, s16
	s_cbranch_vccz .LBB82_12
; %bb.18:                               ;   in Loop: Header=BB82_13 Depth=1
	s_delay_alu instid0(VALU_DEP_1) | instskip(NEXT) | instid1(SALU_CYCLE_1)
	s_ashr_i32 s17, s16, 31
	s_lshl_b64 s[20:21], s[16:17], 1
	s_delay_alu instid0(SALU_CYCLE_1) | instskip(SKIP_4) | instid1(VALU_DEP_1)
	s_add_u32 s20, s6, s20
	s_addc_u32 s21, s7, s21
	global_load_u16 v6, v4, s[20:21]
	s_waitcnt vmcnt(0)
	v_lshlrev_b32_e32 v6, 16, v6
	v_sub_f32_e32 v8, v8, v6
	s_branch .LBB82_12
.LBB82_19:
	v_dual_mov_b32 v2, 0 :: v_dual_mov_b32 v1, 0
.LBB82_20:
	s_mov_b32 s2, exec_lo
	v_cmpx_gt_i32_e64 s13, v0
	s_cbranch_execz .LBB82_23
; %bb.21:
	s_clause 0x2
	s_load_b32 s4, s[0:1], 0x34
	s_load_b64 s[2:3], s[0:1], 0x20
	s_load_b32 s0, s[0:1], 0x44
	s_ashr_i32 s1, s15, 31
	s_waitcnt lgkmcnt(0)
	v_mul_f32_e32 v2, s4, v2
	s_mul_i32 s3, s15, s3
	s_mul_hi_u32 s4, s15, s2
	s_mul_i32 s5, s1, s2
	s_add_i32 s3, s4, s3
	s_mul_i32 s1, s15, s2
	s_and_b32 s2, s0, 0xffff
	s_add_i32 s3, s3, s5
	s_mov_b32 s4, 0
	.p2align	6
.LBB82_22:                              ; =>This Inner Loop Header: Depth=1
	v_ashrrev_i32_e32 v4, 31, v0
	v_add_co_u32 v3, vcc_lo, s1, v0
	v_add_nc_u32_e32 v0, s2, v0
	s_delay_alu instid0(VALU_DEP_3) | instskip(NEXT) | instid1(VALU_DEP_2)
	v_add_co_ci_u32_e32 v4, vcc_lo, s3, v4, vcc_lo
	v_cmp_le_i32_e32 vcc_lo, s13, v0
	s_delay_alu instid0(VALU_DEP_2) | instskip(SKIP_1) | instid1(VALU_DEP_1)
	v_lshlrev_b64 v[3:4], 2, v[3:4]
	s_or_b32 s4, vcc_lo, s4
	v_add_co_u32 v5, s0, s8, v3
	s_delay_alu instid0(VALU_DEP_1) | instskip(SKIP_1) | instid1(VALU_DEP_1)
	v_add_co_ci_u32_e64 v6, s0, s9, v4, s0
	v_add_co_u32 v3, s0, s10, v3
	v_add_co_ci_u32_e64 v4, s0, s11, v4, s0
	global_store_b32 v[5:6], v2, off
	global_store_b32 v[3:4], v1, off
	s_and_not1_b32 exec_lo, exec_lo, s4
	s_cbranch_execnz .LBB82_22
.LBB82_23:
	s_nop 0
	s_sendmsg sendmsg(MSG_DEALLOC_VGPRS)
	s_endpgm
	.section	.rodata,"a",@progbits
	.p2align	6, 0x0
	.amdhsa_kernel _ZN5aiter20topk_softplus_kernelIf12hip_bfloat16Dv1_fLb0ELi1EEEvPKT_PKT0_PfPimiiif
		.amdhsa_group_segment_fixed_size 0
		.amdhsa_private_segment_fixed_size 0
		.amdhsa_kernarg_size 312
		.amdhsa_user_sgpr_count 15
		.amdhsa_user_sgpr_dispatch_ptr 0
		.amdhsa_user_sgpr_queue_ptr 0
		.amdhsa_user_sgpr_kernarg_segment_ptr 1
		.amdhsa_user_sgpr_dispatch_id 0
		.amdhsa_user_sgpr_private_segment_size 0
		.amdhsa_wavefront_size32 1
		.amdhsa_uses_dynamic_stack 0
		.amdhsa_enable_private_segment 0
		.amdhsa_system_sgpr_workgroup_id_x 1
		.amdhsa_system_sgpr_workgroup_id_y 0
		.amdhsa_system_sgpr_workgroup_id_z 0
		.amdhsa_system_sgpr_workgroup_info 0
		.amdhsa_system_vgpr_workitem_id 0
		.amdhsa_next_free_vgpr 11
		.amdhsa_next_free_sgpr 22
		.amdhsa_reserve_vcc 1
		.amdhsa_float_round_mode_32 0
		.amdhsa_float_round_mode_16_64 0
		.amdhsa_float_denorm_mode_32 3
		.amdhsa_float_denorm_mode_16_64 3
		.amdhsa_dx10_clamp 1
		.amdhsa_ieee_mode 1
		.amdhsa_fp16_overflow 0
		.amdhsa_workgroup_processor_mode 1
		.amdhsa_memory_ordered 1
		.amdhsa_forward_progress 0
		.amdhsa_shared_vgpr_count 0
		.amdhsa_exception_fp_ieee_invalid_op 0
		.amdhsa_exception_fp_denorm_src 0
		.amdhsa_exception_fp_ieee_div_zero 0
		.amdhsa_exception_fp_ieee_overflow 0
		.amdhsa_exception_fp_ieee_underflow 0
		.amdhsa_exception_fp_ieee_inexact 0
		.amdhsa_exception_int_div_zero 0
	.end_amdhsa_kernel
	.section	.text._ZN5aiter20topk_softplus_kernelIf12hip_bfloat16Dv1_fLb0ELi1EEEvPKT_PKT0_PfPimiiif,"axG",@progbits,_ZN5aiter20topk_softplus_kernelIf12hip_bfloat16Dv1_fLb0ELi1EEEvPKT_PKT0_PfPimiiif,comdat
.Lfunc_end82:
	.size	_ZN5aiter20topk_softplus_kernelIf12hip_bfloat16Dv1_fLb0ELi1EEEvPKT_PKT0_PfPimiiif, .Lfunc_end82-_ZN5aiter20topk_softplus_kernelIf12hip_bfloat16Dv1_fLb0ELi1EEEvPKT_PKT0_PfPimiiif
                                        ; -- End function
	.section	.AMDGPU.csdata,"",@progbits
; Kernel info:
; codeLenInByte = 1340
; NumSgprs: 24
; NumVgprs: 11
; ScratchSize: 0
; MemoryBound: 0
; FloatMode: 240
; IeeeMode: 1
; LDSByteSize: 0 bytes/workgroup (compile time only)
; SGPRBlocks: 2
; VGPRBlocks: 1
; NumSGPRsForWavesPerEU: 24
; NumVGPRsForWavesPerEU: 11
; Occupancy: 16
; WaveLimiterHint : 0
; COMPUTE_PGM_RSRC2:SCRATCH_EN: 0
; COMPUTE_PGM_RSRC2:USER_SGPR: 15
; COMPUTE_PGM_RSRC2:TRAP_HANDLER: 0
; COMPUTE_PGM_RSRC2:TGID_X_EN: 1
; COMPUTE_PGM_RSRC2:TGID_Y_EN: 0
; COMPUTE_PGM_RSRC2:TGID_Z_EN: 0
; COMPUTE_PGM_RSRC2:TIDIG_COMP_CNT: 0
	.section	.text._ZN5aiter20topk_softplus_kernelIf12hip_bfloat16Dv4_fLb1ELi2EEEvPKT_PKT0_PfPimiiif,"axG",@progbits,_ZN5aiter20topk_softplus_kernelIf12hip_bfloat16Dv4_fLb1ELi2EEEvPKT_PKT0_PfPimiiif,comdat
	.protected	_ZN5aiter20topk_softplus_kernelIf12hip_bfloat16Dv4_fLb1ELi2EEEvPKT_PKT0_PfPimiiif ; -- Begin function _ZN5aiter20topk_softplus_kernelIf12hip_bfloat16Dv4_fLb1ELi2EEEvPKT_PKT0_PfPimiiif
	.globl	_ZN5aiter20topk_softplus_kernelIf12hip_bfloat16Dv4_fLb1ELi2EEEvPKT_PKT0_PfPimiiif
	.p2align	8
	.type	_ZN5aiter20topk_softplus_kernelIf12hip_bfloat16Dv4_fLb1ELi2EEEvPKT_PKT0_PfPimiiif,@function
_ZN5aiter20topk_softplus_kernelIf12hip_bfloat16Dv4_fLb1ELi2EEEvPKT_PKT0_PfPimiiif: ; @_ZN5aiter20topk_softplus_kernelIf12hip_bfloat16Dv4_fLb1ELi2EEEvPKT_PKT0_PfPimiiif
; %bb.0:
	s_clause 0x1
	s_load_b64 s[12:13], s[0:1], 0x28
	s_load_b256 s[4:11], s[0:1], 0x0
	s_waitcnt lgkmcnt(0)
	s_ashr_i32 s2, s12, 31
	s_mul_i32 s16, s15, s12
	s_lshr_b32 s2, s2, 30
	s_ashr_i32 s17, s16, 31
	s_add_i32 s2, s12, s2
	s_delay_alu instid0(SALU_CYCLE_1) | instskip(NEXT) | instid1(SALU_CYCLE_1)
	s_ashr_i32 s14, s2, 2
	v_cmp_gt_i32_e64 s2, s14, v0
	s_delay_alu instid0(VALU_DEP_1)
	s_and_saveexec_b32 s18, s2
	s_cbranch_execz .LBB83_3
; %bb.1:
	s_load_b32 s3, s[0:1], 0x44
	v_dual_mov_b32 v4, v0 :: v_dual_lshlrev_b32 v1, 4, v0
	s_lshl_b64 s[20:21], s[16:17], 2
	s_delay_alu instid0(VALU_DEP_1)
	v_add_nc_u32_e32 v3, 0, v1
	s_waitcnt lgkmcnt(0)
	s_and_b32 s19, s3, 0xffff
	s_add_u32 s3, s4, s20
	s_addc_u32 s20, s5, s21
	v_add_co_u32 v1, s3, s3, v1
	s_delay_alu instid0(VALU_DEP_1)
	v_add_co_ci_u32_e64 v2, null, s20, 0, s3
	s_mov_b32 s20, 0
	s_lshl_b32 s21, s19, 4
.LBB83_2:                               ; =>This Inner Loop Header: Depth=1
	global_load_b128 v[5:8], v[1:2], off
	v_add_nc_u32_e32 v4, s19, v4
	v_add_co_u32 v1, vcc_lo, v1, s21
	v_add_co_ci_u32_e32 v2, vcc_lo, 0, v2, vcc_lo
	s_delay_alu instid0(VALU_DEP_3) | instskip(NEXT) | instid1(VALU_DEP_1)
	v_cmp_le_i32_e64 s3, s14, v4
	s_or_b32 s20, s3, s20
	s_waitcnt vmcnt(0)
	ds_store_b128 v3, v[5:8]
	v_add_nc_u32_e32 v3, s21, v3
	s_and_not1_b32 exec_lo, exec_lo, s20
	s_cbranch_execnz .LBB83_2
.LBB83_3:
	s_or_b32 exec_lo, exec_lo, s18
	v_lshl_add_u32 v1, s14, 2, v0
	v_lshlrev_b32_e32 v3, 2, v0
	s_mov_b32 s3, exec_lo
	s_delay_alu instid0(VALU_DEP_2)
	v_cmpx_gt_i32_e64 s12, v1
	s_cbranch_execz .LBB83_6
; %bb.4:
	s_load_b32 s18, s[0:1], 0x44
	s_lshl_b64 s[16:17], s[16:17], 2
	v_lshlrev_b32_e32 v2, 2, v0
	s_add_u32 s4, s4, s16
	s_addc_u32 s5, s5, s17
	s_lshl_b32 s16, s14, 4
	s_mov_b32 s17, 0
	v_add3_u32 v4, 0, s16, v2
	s_waitcnt lgkmcnt(0)
	s_and_b32 s16, s18, 0xffff
	s_delay_alu instid0(SALU_CYCLE_1)
	s_lshl_b32 s18, s16, 2
.LBB83_5:                               ; =>This Inner Loop Header: Depth=1
	v_ashrrev_i32_e32 v2, 31, v1
	s_delay_alu instid0(VALU_DEP_1) | instskip(SKIP_1) | instid1(VALU_DEP_2)
	v_lshlrev_b64 v[5:6], 2, v[1:2]
	v_add_nc_u32_e32 v1, s16, v1
	v_add_co_u32 v5, vcc_lo, s4, v5
	s_delay_alu instid0(VALU_DEP_3) | instskip(NEXT) | instid1(VALU_DEP_3)
	v_add_co_ci_u32_e32 v6, vcc_lo, s5, v6, vcc_lo
	v_cmp_le_i32_e32 vcc_lo, s12, v1
	global_load_b32 v2, v[5:6], off
	s_or_b32 s17, vcc_lo, s17
	s_waitcnt vmcnt(0)
	ds_store_b32 v4, v2
	v_add_nc_u32_e32 v4, s18, v4
	s_and_not1_b32 exec_lo, exec_lo, s17
	s_cbranch_execnz .LBB83_5
.LBB83_6:
	s_or_b32 exec_lo, exec_lo, s3
	v_cmp_gt_i32_e32 vcc_lo, s12, v0
	v_mov_b32_e32 v2, 0xff800000
	s_waitcnt lgkmcnt(0)
	s_barrier
	buffer_gl0_inv
	s_and_saveexec_b32 s4, vcc_lo
	s_cbranch_execz .LBB83_10
; %bb.7:
	s_load_b32 s3, s[0:1], 0x44
	v_lshl_add_u32 v1, v0, 2, 0
	v_mov_b32_e32 v2, 0xff800000
	v_mov_b32_e32 v4, v0
	s_mov_b32 s5, 0
	s_waitcnt lgkmcnt(0)
	s_and_b32 s16, s3, 0xffff
	s_delay_alu instid0(SALU_CYCLE_1)
	s_lshl_b32 s17, s16, 2
.LBB83_8:                               ; =>This Inner Loop Header: Depth=1
	ds_load_b32 v5, v1
	v_add_nc_u32_e32 v4, s16, v4
	v_dual_max_f32 v2, v2, v2 :: v_dual_add_nc_u32 v1, s17, v1
	s_waitcnt lgkmcnt(0)
	v_max_f32_e32 v5, v5, v5
	s_delay_alu instid0(VALU_DEP_3) | instskip(NEXT) | instid1(VALU_DEP_2)
	v_cmp_le_i32_e64 s3, s12, v4
	v_max_f32_e32 v2, v2, v5
	s_delay_alu instid0(VALU_DEP_2) | instskip(NEXT) | instid1(SALU_CYCLE_1)
	s_or_b32 s5, s3, s5
	s_and_not1_b32 exec_lo, exec_lo, s5
	s_cbranch_execnz .LBB83_8
; %bb.9:
	s_or_b32 exec_lo, exec_lo, s5
.LBB83_10:
	s_delay_alu instid0(SALU_CYCLE_1)
	s_or_b32 exec_lo, exec_lo, s4
	v_mov_b32_e32 v1, 0
	;;#ASMSTART
	v_max_f32 v4, v2, v2 quad_perm:[1,0,3,2] row_mask:0xf bank_mask:0xf bound_ctrl:1
	;;#ASMEND
	;;#ASMSTART
	v_max_f32 v2, v4, v4 quad_perm:[2,3,0,1] row_mask:0xf bank_mask:0xf bound_ctrl:1
	;;#ASMEND
	;;#ASMSTART
	v_max_f32 v4, v2, v2 row_half_mirror row_mask:0xf bank_mask:0xf bound_ctrl:1
	;;#ASMEND
	;;#ASMSTART
	v_max_f32 v2, v4, v4 row_mirror row_mask:0xf bank_mask:0xf bound_ctrl:1
	;;#ASMEND
	s_and_saveexec_b32 s4, vcc_lo
	s_cbranch_execz .LBB83_14
; %bb.11:
	s_load_b32 s3, s[0:1], 0x44
	s_mov_b32 s5, 0x76543210
	v_lshl_add_u32 v4, v0, 2, 0
	v_permlanex16_b32 v1, v2, s5, 0xfedcba98 op_sel:[1,1]
	v_mov_b32_e32 v5, v0
	s_mov_b32 s5, 0
	s_delay_alu instid0(VALU_DEP_2) | instskip(NEXT) | instid1(VALU_DEP_1)
	v_dual_max_f32 v2, v2, v2 :: v_dual_max_f32 v1, v1, v1
	v_dual_max_f32 v2, v2, v1 :: v_dual_mov_b32 v1, 0
	s_waitcnt lgkmcnt(0)
	s_and_b32 s16, s3, 0xffff
	s_delay_alu instid0(SALU_CYCLE_1)
	s_lshl_b32 s17, s16, 2
	.p2align	6
.LBB83_12:                              ; =>This Inner Loop Header: Depth=1
	ds_load_b32 v6, v4
	s_waitcnt lgkmcnt(0)
	v_dual_sub_f32 v6, v6, v2 :: v_dual_add_nc_u32 v5, s16, v5
	s_delay_alu instid0(VALU_DEP_1) | instskip(NEXT) | instid1(VALU_DEP_1)
	v_mul_f32_e32 v7, 0x3fb8aa3b, v6
	v_cmp_gt_f32_e64 s3, 0xc2fc0000, v7
	s_delay_alu instid0(VALU_DEP_1) | instskip(NEXT) | instid1(VALU_DEP_1)
	v_cndmask_b32_e64 v7, 0, 0x42800000, s3
	v_fmac_f32_e32 v7, 0x3fb8aa3b, v6
	s_delay_alu instid0(VALU_DEP_1) | instskip(SKIP_2) | instid1(VALU_DEP_1)
	v_exp_f32_e32 v6, v7
	v_cndmask_b32_e64 v7, 1.0, 0x1f800000, s3
	v_cmp_le_i32_e64 s3, s12, v5
	s_or_b32 s5, s3, s5
	s_waitcnt_depctr 0xfff
	v_mul_f32_e32 v8, v6, v7
	v_fmac_f32_e32 v1, v6, v7
	ds_store_b32 v4, v8
	v_add_nc_u32_e32 v4, s17, v4
	s_and_not1_b32 exec_lo, exec_lo, s5
	s_cbranch_execnz .LBB83_12
; %bb.13:
	s_or_b32 exec_lo, exec_lo, s5
.LBB83_14:
	s_delay_alu instid0(SALU_CYCLE_1) | instskip(SKIP_1) | instid1(VALU_DEP_1)
	s_or_b32 exec_lo, exec_lo, s4
	v_mov_b32_dpp v2, v1 quad_perm:[1,0,3,2] row_mask:0xf bank_mask:0xf
	v_add_f32_e32 v1, v1, v2
	s_delay_alu instid0(VALU_DEP_1) | instskip(NEXT) | instid1(VALU_DEP_1)
	v_mov_b32_dpp v2, v1 quad_perm:[2,3,0,1] row_mask:0xf bank_mask:0xf
	v_add_f32_e32 v1, v1, v2
	s_delay_alu instid0(VALU_DEP_1) | instskip(NEXT) | instid1(VALU_DEP_1)
	v_mov_b32_dpp v2, v1 row_xmask:7 row_mask:0xf bank_mask:0xf
	v_add_f32_e32 v1, v1, v2
	s_delay_alu instid0(VALU_DEP_1)
	v_mov_b32_dpp v2, v1 row_xmask:15 row_mask:0xf bank_mask:0xf
	s_and_saveexec_b32 s3, vcc_lo
	s_cbranch_execz .LBB83_19
; %bb.15:
	s_delay_alu instid0(VALU_DEP_1)
	v_add_f32_e32 v1, v1, v2
	s_load_b32 s5, s[0:1], 0x44
	s_mov_b32 s4, 0x76543210
	s_cmp_lg_u64 s[6:7], 0
	v_lshl_add_u32 v5, v0, 2, 0
	v_permlanex16_b32 v2, v1, s4, 0xfedcba98 op_sel:[1,1]
	s_cselect_b32 s4, -1, 0
	s_mov_b32 s16, 0
	s_delay_alu instid0(VALU_DEP_1) | instskip(NEXT) | instid1(VALU_DEP_1)
	v_add_f32_e32 v1, v1, v2
	v_rcp_f32_e32 v4, v1
	v_mov_b32_e32 v1, v0
	s_waitcnt lgkmcnt(0)
	s_and_b32 s5, s5, 0xffff
	s_delay_alu instid0(SALU_CYCLE_1)
	s_lshl_b32 s17, s5, 2
	s_set_inst_prefetch_distance 0x1
	s_branch .LBB83_17
	.p2align	6
.LBB83_16:                              ;   in Loop: Header=BB83_17 Depth=1
	v_add_nc_u32_e32 v1, s5, v1
	v_add_nc_u32_e32 v5, s17, v5
	s_delay_alu instid0(VALU_DEP_2) | instskip(SKIP_1) | instid1(SALU_CYCLE_1)
	v_cmp_le_i32_e32 vcc_lo, s12, v1
	s_or_b32 s16, vcc_lo, s16
	s_and_not1_b32 exec_lo, exec_lo, s16
	s_cbranch_execz .LBB83_19
.LBB83_17:                              ; =>This Inner Loop Header: Depth=1
	ds_load_b32 v2, v5
	s_and_not1_b32 vcc_lo, exec_lo, s4
	s_waitcnt lgkmcnt(0)
	v_mul_f32_e32 v6, v4, v2
	ds_store_b32 v5, v6
	s_cbranch_vccnz .LBB83_16
; %bb.18:                               ;   in Loop: Header=BB83_17 Depth=1
	v_ashrrev_i32_e32 v2, 31, v1
	s_delay_alu instid0(VALU_DEP_1) | instskip(NEXT) | instid1(VALU_DEP_1)
	v_lshlrev_b64 v[7:8], 1, v[1:2]
	v_add_co_u32 v7, vcc_lo, s6, v7
	s_delay_alu instid0(VALU_DEP_2) | instskip(SKIP_3) | instid1(VALU_DEP_1)
	v_add_co_ci_u32_e32 v8, vcc_lo, s7, v8, vcc_lo
	global_load_u16 v2, v[7:8], off
	s_waitcnt vmcnt(0)
	v_lshlrev_b32_e32 v2, 16, v2
	v_add_f32_e32 v2, v6, v2
	ds_store_b32 v5, v2
	s_branch .LBB83_16
.LBB83_19:
	s_set_inst_prefetch_distance 0x2
	s_or_b32 exec_lo, exec_lo, s3
	v_mov_b32_e32 v2, 0
	s_cmp_lt_i32 s13, 1
	s_waitcnt lgkmcnt(0)
	s_barrier
	buffer_gl0_inv
	s_cbranch_scc1 .LBB83_28
; %bb.20:
	s_add_u32 s4, s0, 56
	s_addc_u32 s5, s1, 0
	v_lshl_add_u32 v5, v0, 4, 0
	v_dual_mov_b32 v2, 0 :: v_dual_mov_b32 v7, 0xff800000
	v_dual_mov_b32 v6, 0 :: v_dual_mov_b32 v1, 0
	v_mov_b32_e32 v4, 0
	s_cmp_lg_u64 s[6:7], 0
	s_mov_b32 s18, 0
	s_cselect_b32 s12, -1, 0
	s_mov_b32 s19, 0x76543210
	s_branch .LBB83_22
.LBB83_21:                              ;   in Loop: Header=BB83_22 Depth=1
	v_cmp_eq_u32_e32 vcc_lo, s18, v0
	s_delay_alu instid0(VALU_DEP_2) | instskip(NEXT) | instid1(VALU_DEP_2)
	s_lshl_b32 s3, s16, 2
	v_add_f32_e32 v4, v4, v10
	s_add_i32 s3, s3, 0
	s_add_i32 s18, s18, 1
	v_cndmask_b32_e64 v1, v1, s16, vcc_lo
	v_mov_b32_e32 v8, s3
	v_cndmask_b32_e32 v2, v2, v10, vcc_lo
	s_cmp_eq_u32 s18, s13
	ds_store_b32 v8, v7
	s_cbranch_scc1 .LBB83_29
.LBB83_22:                              ; =>This Loop Header: Depth=1
                                        ;     Child Loop BB83_24 Depth 2
	v_dual_mov_b32 v8, s18 :: v_dual_mov_b32 v9, 0xff800000
	s_and_saveexec_b32 s16, s2
	s_cbranch_execz .LBB83_26
; %bb.23:                               ;   in Loop: Header=BB83_22 Depth=1
	s_load_b32 s3, s[4:5], 0xc
	v_dual_mov_b32 v8, s18 :: v_dual_mov_b32 v9, 0xff800000
	v_dual_mov_b32 v10, v5 :: v_dual_mov_b32 v11, v3
	v_mov_b32_e32 v12, v0
	s_mov_b32 s21, 0
	s_waitcnt lgkmcnt(0)
	s_and_b32 s17, s3, 0xffff
	s_delay_alu instid0(SALU_CYCLE_1)
	s_lshl_b32 s20, s17, 2
	s_lshl_b32 s22, s17, 4
	.p2align	6
.LBB83_24:                              ;   Parent Loop BB83_22 Depth=1
                                        ; =>  This Inner Loop Header: Depth=2
	ds_load_b128 v[13:16], v10
	v_add_nc_u32_e32 v12, s17, v12
	s_delay_alu instid0(VALU_DEP_1) | instskip(NEXT) | instid1(VALU_DEP_1)
	v_cmp_le_i32_e64 s3, s14, v12
	s_or_b32 s21, s3, s21
	s_waitcnt lgkmcnt(0)
	v_cmp_gt_f32_e32 vcc_lo, v13, v9
	v_dual_cndmask_b32 v9, v9, v13 :: v_dual_cndmask_b32 v8, v8, v11
	s_delay_alu instid0(VALU_DEP_1) | instskip(SKIP_2) | instid1(VALU_DEP_1)
	v_cmp_gt_f32_e32 vcc_lo, v14, v9
	v_dual_cndmask_b32 v9, v9, v14 :: v_dual_add_nc_u32 v14, 2, v11
	v_add_nc_u32_e32 v13, 1, v11
	v_cndmask_b32_e32 v8, v8, v13, vcc_lo
	s_delay_alu instid0(VALU_DEP_3) | instskip(SKIP_1) | instid1(VALU_DEP_3)
	v_cmp_gt_f32_e32 vcc_lo, v15, v9
	v_add_nc_u32_e32 v13, 3, v11
	v_dual_cndmask_b32 v9, v9, v15 :: v_dual_cndmask_b32 v8, v8, v14
	s_delay_alu instid0(VALU_DEP_1) | instskip(SKIP_1) | instid1(VALU_DEP_3)
	v_cmp_gt_f32_e32 vcc_lo, v16, v9
	v_add_nc_u32_e32 v10, s22, v10
	v_dual_cndmask_b32 v8, v8, v13 :: v_dual_add_nc_u32 v11, s20, v11
	v_cndmask_b32_e32 v9, v9, v16, vcc_lo
	s_and_not1_b32 exec_lo, exec_lo, s21
	s_cbranch_execnz .LBB83_24
; %bb.25:                               ;   in Loop: Header=BB83_22 Depth=1
	s_or_b32 exec_lo, exec_lo, s21
.LBB83_26:                              ;   in Loop: Header=BB83_22 Depth=1
	s_delay_alu instid0(SALU_CYCLE_1)
	s_or_b32 exec_lo, exec_lo, s16
	;;#ASMSTART
	v_max_f32 v10, v9, v9 quad_perm:[1,0,3,2] row_mask:0xf bank_mask:0xf bound_ctrl:1
	;;#ASMEND
	;;#ASMSTART
	v_max_f32 v11, v10, v10 quad_perm:[2,3,0,1] row_mask:0xf bank_mask:0xf bound_ctrl:1
	;;#ASMEND
	;;#ASMSTART
	v_max_f32 v10, v11, v11 row_half_mirror row_mask:0xf bank_mask:0xf bound_ctrl:1
	;;#ASMEND
	;;#ASMSTART
	v_max_f32 v11, v10, v10 row_mirror row_mask:0xf bank_mask:0xf bound_ctrl:1
	;;#ASMEND
	v_permlanex16_b32 v10, v11, s19, 0xfedcba98 op_sel:[1,1]
	s_delay_alu instid0(VALU_DEP_1) | instskip(NEXT) | instid1(VALU_DEP_1)
	v_dual_max_f32 v11, v11, v11 :: v_dual_max_f32 v10, v10, v10
	v_max_f32_e32 v10, v11, v10
	s_delay_alu instid0(VALU_DEP_1)
	v_cmp_eq_f32_e32 vcc_lo, v9, v10
	s_ctz_i32_b32 s3, vcc_lo
	s_cmp_lg_u32 vcc_lo, 0
	s_cselect_b32 s3, s3, 0
	s_and_b32 vcc_lo, exec_lo, s12
	v_readlane_b32 s16, v8, s3
	s_cbranch_vccz .LBB83_21
; %bb.27:                               ;   in Loop: Header=BB83_22 Depth=1
	s_delay_alu instid0(VALU_DEP_1) | instskip(NEXT) | instid1(SALU_CYCLE_1)
	s_ashr_i32 s17, s16, 31
	s_lshl_b64 s[20:21], s[16:17], 1
	s_delay_alu instid0(SALU_CYCLE_1) | instskip(SKIP_4) | instid1(VALU_DEP_1)
	s_add_u32 s20, s6, s20
	s_addc_u32 s21, s7, s21
	global_load_u16 v8, v6, s[20:21]
	s_waitcnt vmcnt(0)
	v_lshlrev_b32_e32 v8, 16, v8
	v_sub_f32_e32 v10, v10, v8
	s_branch .LBB83_21
.LBB83_28:
	v_dual_mov_b32 v1, 0 :: v_dual_mov_b32 v4, 0
.LBB83_29:
	s_mov_b32 s2, exec_lo
	v_cmpx_gt_i32_e64 s13, v0
	s_cbranch_execz .LBB83_32
; %bb.30:
	s_clause 0x1
	s_load_b32 s2, s[0:1], 0x34
	s_load_b32 s3, s[0:1], 0x44
	v_max_f32_e32 v3, v4, v4
	s_load_b64 s[0:1], s[0:1], 0x20
	s_ashr_i32 s4, s15, 31
	s_delay_alu instid0(VALU_DEP_1) | instskip(SKIP_1) | instid1(VALU_DEP_1)
	v_max_f32_e32 v3, 0x1e3ce508, v3
	s_waitcnt lgkmcnt(0)
	v_div_scale_f32 v4, null, v3, v3, s2
	v_div_scale_f32 v7, vcc_lo, s2, v3, s2
	s_mul_i32 s1, s15, s1
	s_delay_alu instid0(VALU_DEP_2) | instskip(SKIP_4) | instid1(VALU_DEP_1)
	v_rcp_f32_e32 v5, v4
	s_mul_i32 s4, s4, s0
	s_and_b32 s3, s3, 0xffff
	s_waitcnt_depctr 0xfff
	v_fma_f32 v6, -v4, v5, 1.0
	v_fmac_f32_e32 v5, v6, v5
	s_delay_alu instid0(VALU_DEP_1) | instskip(NEXT) | instid1(VALU_DEP_1)
	v_mul_f32_e32 v6, v7, v5
	v_fma_f32 v8, -v4, v6, v7
	s_delay_alu instid0(VALU_DEP_1) | instskip(NEXT) | instid1(VALU_DEP_1)
	v_fmac_f32_e32 v6, v8, v5
	v_fma_f32 v4, -v4, v6, v7
	s_delay_alu instid0(VALU_DEP_1) | instskip(NEXT) | instid1(VALU_DEP_1)
	v_div_fmas_f32 v4, v4, v5, v6
	v_div_fixup_f32 v3, v4, v3, s2
	s_mul_hi_u32 s2, s15, s0
	s_delay_alu instid0(SALU_CYCLE_1) | instskip(SKIP_1) | instid1(VALU_DEP_1)
	s_add_i32 s1, s2, s1
	s_mul_i32 s2, s15, s0
	v_mul_f32_e32 v2, v2, v3
	s_add_i32 s1, s1, s4
	s_mov_b32 s4, 0
	.p2align	6
.LBB83_31:                              ; =>This Inner Loop Header: Depth=1
	v_ashrrev_i32_e32 v4, 31, v0
	v_add_co_u32 v3, vcc_lo, s2, v0
	v_add_nc_u32_e32 v0, s3, v0
	s_delay_alu instid0(VALU_DEP_3) | instskip(NEXT) | instid1(VALU_DEP_2)
	v_add_co_ci_u32_e32 v4, vcc_lo, s1, v4, vcc_lo
	v_cmp_le_i32_e32 vcc_lo, s13, v0
	s_delay_alu instid0(VALU_DEP_2) | instskip(SKIP_1) | instid1(VALU_DEP_1)
	v_lshlrev_b64 v[3:4], 2, v[3:4]
	s_or_b32 s4, vcc_lo, s4
	v_add_co_u32 v5, s0, s8, v3
	s_delay_alu instid0(VALU_DEP_1) | instskip(SKIP_1) | instid1(VALU_DEP_1)
	v_add_co_ci_u32_e64 v6, s0, s9, v4, s0
	v_add_co_u32 v3, s0, s10, v3
	v_add_co_ci_u32_e64 v4, s0, s11, v4, s0
	global_store_b32 v[5:6], v2, off
	global_store_b32 v[3:4], v1, off
	s_and_not1_b32 exec_lo, exec_lo, s4
	s_cbranch_execnz .LBB83_31
.LBB83_32:
	s_nop 0
	s_sendmsg sendmsg(MSG_DEALLOC_VGPRS)
	s_endpgm
	.section	.rodata,"a",@progbits
	.p2align	6, 0x0
	.amdhsa_kernel _ZN5aiter20topk_softplus_kernelIf12hip_bfloat16Dv4_fLb1ELi2EEEvPKT_PKT0_PfPimiiif
		.amdhsa_group_segment_fixed_size 0
		.amdhsa_private_segment_fixed_size 0
		.amdhsa_kernarg_size 312
		.amdhsa_user_sgpr_count 15
		.amdhsa_user_sgpr_dispatch_ptr 0
		.amdhsa_user_sgpr_queue_ptr 0
		.amdhsa_user_sgpr_kernarg_segment_ptr 1
		.amdhsa_user_sgpr_dispatch_id 0
		.amdhsa_user_sgpr_private_segment_size 0
		.amdhsa_wavefront_size32 1
		.amdhsa_uses_dynamic_stack 0
		.amdhsa_enable_private_segment 0
		.amdhsa_system_sgpr_workgroup_id_x 1
		.amdhsa_system_sgpr_workgroup_id_y 0
		.amdhsa_system_sgpr_workgroup_id_z 0
		.amdhsa_system_sgpr_workgroup_info 0
		.amdhsa_system_vgpr_workitem_id 0
		.amdhsa_next_free_vgpr 17
		.amdhsa_next_free_sgpr 23
		.amdhsa_reserve_vcc 1
		.amdhsa_float_round_mode_32 0
		.amdhsa_float_round_mode_16_64 0
		.amdhsa_float_denorm_mode_32 3
		.amdhsa_float_denorm_mode_16_64 3
		.amdhsa_dx10_clamp 1
		.amdhsa_ieee_mode 1
		.amdhsa_fp16_overflow 0
		.amdhsa_workgroup_processor_mode 1
		.amdhsa_memory_ordered 1
		.amdhsa_forward_progress 0
		.amdhsa_shared_vgpr_count 0
		.amdhsa_exception_fp_ieee_invalid_op 0
		.amdhsa_exception_fp_denorm_src 0
		.amdhsa_exception_fp_ieee_div_zero 0
		.amdhsa_exception_fp_ieee_overflow 0
		.amdhsa_exception_fp_ieee_underflow 0
		.amdhsa_exception_fp_ieee_inexact 0
		.amdhsa_exception_int_div_zero 0
	.end_amdhsa_kernel
	.section	.text._ZN5aiter20topk_softplus_kernelIf12hip_bfloat16Dv4_fLb1ELi2EEEvPKT_PKT0_PfPimiiif,"axG",@progbits,_ZN5aiter20topk_softplus_kernelIf12hip_bfloat16Dv4_fLb1ELi2EEEvPKT_PKT0_PfPimiiif,comdat
.Lfunc_end83:
	.size	_ZN5aiter20topk_softplus_kernelIf12hip_bfloat16Dv4_fLb1ELi2EEEvPKT_PKT0_PfPimiiif, .Lfunc_end83-_ZN5aiter20topk_softplus_kernelIf12hip_bfloat16Dv4_fLb1ELi2EEEvPKT_PKT0_PfPimiiif
                                        ; -- End function
	.section	.AMDGPU.csdata,"",@progbits
; Kernel info:
; codeLenInByte = 2044
; NumSgprs: 25
; NumVgprs: 17
; ScratchSize: 0
; MemoryBound: 0
; FloatMode: 240
; IeeeMode: 1
; LDSByteSize: 0 bytes/workgroup (compile time only)
; SGPRBlocks: 3
; VGPRBlocks: 2
; NumSGPRsForWavesPerEU: 25
; NumVGPRsForWavesPerEU: 17
; Occupancy: 16
; WaveLimiterHint : 0
; COMPUTE_PGM_RSRC2:SCRATCH_EN: 0
; COMPUTE_PGM_RSRC2:USER_SGPR: 15
; COMPUTE_PGM_RSRC2:TRAP_HANDLER: 0
; COMPUTE_PGM_RSRC2:TGID_X_EN: 1
; COMPUTE_PGM_RSRC2:TGID_Y_EN: 0
; COMPUTE_PGM_RSRC2:TGID_Z_EN: 0
; COMPUTE_PGM_RSRC2:TIDIG_COMP_CNT: 0
	.section	.text._ZN5aiter20topk_softplus_kernelIf12hip_bfloat16Dv4_fLb0ELi2EEEvPKT_PKT0_PfPimiiif,"axG",@progbits,_ZN5aiter20topk_softplus_kernelIf12hip_bfloat16Dv4_fLb0ELi2EEEvPKT_PKT0_PfPimiiif,comdat
	.protected	_ZN5aiter20topk_softplus_kernelIf12hip_bfloat16Dv4_fLb0ELi2EEEvPKT_PKT0_PfPimiiif ; -- Begin function _ZN5aiter20topk_softplus_kernelIf12hip_bfloat16Dv4_fLb0ELi2EEEvPKT_PKT0_PfPimiiif
	.globl	_ZN5aiter20topk_softplus_kernelIf12hip_bfloat16Dv4_fLb0ELi2EEEvPKT_PKT0_PfPimiiif
	.p2align	8
	.type	_ZN5aiter20topk_softplus_kernelIf12hip_bfloat16Dv4_fLb0ELi2EEEvPKT_PKT0_PfPimiiif,@function
_ZN5aiter20topk_softplus_kernelIf12hip_bfloat16Dv4_fLb0ELi2EEEvPKT_PKT0_PfPimiiif: ; @_ZN5aiter20topk_softplus_kernelIf12hip_bfloat16Dv4_fLb0ELi2EEEvPKT_PKT0_PfPimiiif
; %bb.0:
	s_clause 0x1
	s_load_b64 s[12:13], s[0:1], 0x28
	s_load_b256 s[4:11], s[0:1], 0x0
	s_waitcnt lgkmcnt(0)
	s_ashr_i32 s2, s12, 31
	s_mul_i32 s16, s15, s12
	s_lshr_b32 s2, s2, 30
	s_ashr_i32 s17, s16, 31
	s_add_i32 s2, s12, s2
	s_delay_alu instid0(SALU_CYCLE_1) | instskip(NEXT) | instid1(SALU_CYCLE_1)
	s_ashr_i32 s14, s2, 2
	v_cmp_gt_i32_e64 s2, s14, v0
	s_delay_alu instid0(VALU_DEP_1)
	s_and_saveexec_b32 s18, s2
	s_cbranch_execz .LBB84_3
; %bb.1:
	s_load_b32 s3, s[0:1], 0x44
	v_dual_mov_b32 v4, v0 :: v_dual_lshlrev_b32 v1, 4, v0
	s_lshl_b64 s[20:21], s[16:17], 2
	s_delay_alu instid0(VALU_DEP_1)
	v_add_nc_u32_e32 v3, 0, v1
	s_waitcnt lgkmcnt(0)
	s_and_b32 s19, s3, 0xffff
	s_add_u32 s3, s4, s20
	s_addc_u32 s20, s5, s21
	v_add_co_u32 v1, s3, s3, v1
	s_delay_alu instid0(VALU_DEP_1)
	v_add_co_ci_u32_e64 v2, null, s20, 0, s3
	s_mov_b32 s20, 0
	s_lshl_b32 s21, s19, 4
.LBB84_2:                               ; =>This Inner Loop Header: Depth=1
	global_load_b128 v[5:8], v[1:2], off
	v_add_nc_u32_e32 v4, s19, v4
	v_add_co_u32 v1, vcc_lo, v1, s21
	v_add_co_ci_u32_e32 v2, vcc_lo, 0, v2, vcc_lo
	s_delay_alu instid0(VALU_DEP_3) | instskip(NEXT) | instid1(VALU_DEP_1)
	v_cmp_le_i32_e64 s3, s14, v4
	s_or_b32 s20, s3, s20
	s_waitcnt vmcnt(0)
	ds_store_b128 v3, v[5:8]
	v_add_nc_u32_e32 v3, s21, v3
	s_and_not1_b32 exec_lo, exec_lo, s20
	s_cbranch_execnz .LBB84_2
.LBB84_3:
	s_or_b32 exec_lo, exec_lo, s18
	v_lshl_add_u32 v1, s14, 2, v0
	v_lshlrev_b32_e32 v3, 2, v0
	s_mov_b32 s3, exec_lo
	s_delay_alu instid0(VALU_DEP_2)
	v_cmpx_gt_i32_e64 s12, v1
	s_cbranch_execz .LBB84_6
; %bb.4:
	s_load_b32 s18, s[0:1], 0x44
	s_lshl_b64 s[16:17], s[16:17], 2
	v_lshlrev_b32_e32 v2, 2, v0
	s_add_u32 s4, s4, s16
	s_addc_u32 s5, s5, s17
	s_lshl_b32 s16, s14, 4
	s_mov_b32 s17, 0
	v_add3_u32 v4, 0, s16, v2
	s_waitcnt lgkmcnt(0)
	s_and_b32 s16, s18, 0xffff
	s_delay_alu instid0(SALU_CYCLE_1)
	s_lshl_b32 s18, s16, 2
.LBB84_5:                               ; =>This Inner Loop Header: Depth=1
	v_ashrrev_i32_e32 v2, 31, v1
	s_delay_alu instid0(VALU_DEP_1) | instskip(SKIP_1) | instid1(VALU_DEP_2)
	v_lshlrev_b64 v[5:6], 2, v[1:2]
	v_add_nc_u32_e32 v1, s16, v1
	v_add_co_u32 v5, vcc_lo, s4, v5
	s_delay_alu instid0(VALU_DEP_3) | instskip(NEXT) | instid1(VALU_DEP_3)
	v_add_co_ci_u32_e32 v6, vcc_lo, s5, v6, vcc_lo
	v_cmp_le_i32_e32 vcc_lo, s12, v1
	global_load_b32 v2, v[5:6], off
	s_or_b32 s17, vcc_lo, s17
	s_waitcnt vmcnt(0)
	ds_store_b32 v4, v2
	v_add_nc_u32_e32 v4, s18, v4
	s_and_not1_b32 exec_lo, exec_lo, s17
	s_cbranch_execnz .LBB84_5
.LBB84_6:
	s_or_b32 exec_lo, exec_lo, s3
	v_cmp_gt_i32_e32 vcc_lo, s12, v0
	v_mov_b32_e32 v2, 0xff800000
	s_waitcnt lgkmcnt(0)
	s_barrier
	buffer_gl0_inv
	s_and_saveexec_b32 s4, vcc_lo
	s_cbranch_execz .LBB84_10
; %bb.7:
	s_load_b32 s3, s[0:1], 0x44
	v_lshl_add_u32 v1, v0, 2, 0
	v_mov_b32_e32 v2, 0xff800000
	v_mov_b32_e32 v4, v0
	s_mov_b32 s5, 0
	s_waitcnt lgkmcnt(0)
	s_and_b32 s16, s3, 0xffff
	s_delay_alu instid0(SALU_CYCLE_1)
	s_lshl_b32 s17, s16, 2
.LBB84_8:                               ; =>This Inner Loop Header: Depth=1
	ds_load_b32 v5, v1
	v_add_nc_u32_e32 v4, s16, v4
	v_dual_max_f32 v2, v2, v2 :: v_dual_add_nc_u32 v1, s17, v1
	s_waitcnt lgkmcnt(0)
	v_max_f32_e32 v5, v5, v5
	s_delay_alu instid0(VALU_DEP_3) | instskip(NEXT) | instid1(VALU_DEP_2)
	v_cmp_le_i32_e64 s3, s12, v4
	v_max_f32_e32 v2, v2, v5
	s_delay_alu instid0(VALU_DEP_2) | instskip(NEXT) | instid1(SALU_CYCLE_1)
	s_or_b32 s5, s3, s5
	s_and_not1_b32 exec_lo, exec_lo, s5
	s_cbranch_execnz .LBB84_8
; %bb.9:
	s_or_b32 exec_lo, exec_lo, s5
.LBB84_10:
	s_delay_alu instid0(SALU_CYCLE_1)
	s_or_b32 exec_lo, exec_lo, s4
	v_mov_b32_e32 v1, 0
	;;#ASMSTART
	v_max_f32 v4, v2, v2 quad_perm:[1,0,3,2] row_mask:0xf bank_mask:0xf bound_ctrl:1
	;;#ASMEND
	;;#ASMSTART
	v_max_f32 v2, v4, v4 quad_perm:[2,3,0,1] row_mask:0xf bank_mask:0xf bound_ctrl:1
	;;#ASMEND
	;;#ASMSTART
	v_max_f32 v4, v2, v2 row_half_mirror row_mask:0xf bank_mask:0xf bound_ctrl:1
	;;#ASMEND
	;;#ASMSTART
	v_max_f32 v2, v4, v4 row_mirror row_mask:0xf bank_mask:0xf bound_ctrl:1
	;;#ASMEND
	s_and_saveexec_b32 s4, vcc_lo
	s_cbranch_execz .LBB84_14
; %bb.11:
	s_load_b32 s3, s[0:1], 0x44
	s_mov_b32 s5, 0x76543210
	v_lshl_add_u32 v4, v0, 2, 0
	v_permlanex16_b32 v1, v2, s5, 0xfedcba98 op_sel:[1,1]
	v_mov_b32_e32 v5, v0
	s_mov_b32 s5, 0
	s_delay_alu instid0(VALU_DEP_2) | instskip(NEXT) | instid1(VALU_DEP_1)
	v_dual_max_f32 v2, v2, v2 :: v_dual_max_f32 v1, v1, v1
	v_dual_max_f32 v2, v2, v1 :: v_dual_mov_b32 v1, 0
	s_waitcnt lgkmcnt(0)
	s_and_b32 s16, s3, 0xffff
	s_delay_alu instid0(SALU_CYCLE_1)
	s_lshl_b32 s17, s16, 2
	.p2align	6
.LBB84_12:                              ; =>This Inner Loop Header: Depth=1
	ds_load_b32 v6, v4
	s_waitcnt lgkmcnt(0)
	v_dual_sub_f32 v6, v6, v2 :: v_dual_add_nc_u32 v5, s16, v5
	s_delay_alu instid0(VALU_DEP_1) | instskip(NEXT) | instid1(VALU_DEP_1)
	v_mul_f32_e32 v7, 0x3fb8aa3b, v6
	v_cmp_gt_f32_e64 s3, 0xc2fc0000, v7
	s_delay_alu instid0(VALU_DEP_1) | instskip(NEXT) | instid1(VALU_DEP_1)
	v_cndmask_b32_e64 v7, 0, 0x42800000, s3
	v_fmac_f32_e32 v7, 0x3fb8aa3b, v6
	s_delay_alu instid0(VALU_DEP_1) | instskip(SKIP_2) | instid1(VALU_DEP_1)
	v_exp_f32_e32 v6, v7
	v_cndmask_b32_e64 v7, 1.0, 0x1f800000, s3
	v_cmp_le_i32_e64 s3, s12, v5
	s_or_b32 s5, s3, s5
	s_waitcnt_depctr 0xfff
	v_mul_f32_e32 v8, v6, v7
	v_fmac_f32_e32 v1, v6, v7
	ds_store_b32 v4, v8
	v_add_nc_u32_e32 v4, s17, v4
	s_and_not1_b32 exec_lo, exec_lo, s5
	s_cbranch_execnz .LBB84_12
; %bb.13:
	s_or_b32 exec_lo, exec_lo, s5
.LBB84_14:
	s_delay_alu instid0(SALU_CYCLE_1) | instskip(SKIP_1) | instid1(VALU_DEP_1)
	s_or_b32 exec_lo, exec_lo, s4
	v_mov_b32_dpp v2, v1 quad_perm:[1,0,3,2] row_mask:0xf bank_mask:0xf
	v_add_f32_e32 v1, v1, v2
	s_delay_alu instid0(VALU_DEP_1) | instskip(NEXT) | instid1(VALU_DEP_1)
	v_mov_b32_dpp v2, v1 quad_perm:[2,3,0,1] row_mask:0xf bank_mask:0xf
	v_add_f32_e32 v1, v1, v2
	s_delay_alu instid0(VALU_DEP_1) | instskip(NEXT) | instid1(VALU_DEP_1)
	v_mov_b32_dpp v2, v1 row_xmask:7 row_mask:0xf bank_mask:0xf
	v_add_f32_e32 v1, v1, v2
	s_delay_alu instid0(VALU_DEP_1)
	v_mov_b32_dpp v2, v1 row_xmask:15 row_mask:0xf bank_mask:0xf
	s_and_saveexec_b32 s3, vcc_lo
	s_cbranch_execz .LBB84_19
; %bb.15:
	s_delay_alu instid0(VALU_DEP_1)
	v_add_f32_e32 v1, v1, v2
	s_load_b32 s5, s[0:1], 0x44
	s_mov_b32 s4, 0x76543210
	s_cmp_lg_u64 s[6:7], 0
	v_lshl_add_u32 v5, v0, 2, 0
	v_permlanex16_b32 v2, v1, s4, 0xfedcba98 op_sel:[1,1]
	s_cselect_b32 s4, -1, 0
	s_mov_b32 s16, 0
	s_delay_alu instid0(VALU_DEP_1) | instskip(NEXT) | instid1(VALU_DEP_1)
	v_add_f32_e32 v1, v1, v2
	v_rcp_f32_e32 v4, v1
	v_mov_b32_e32 v1, v0
	s_waitcnt lgkmcnt(0)
	s_and_b32 s5, s5, 0xffff
	s_delay_alu instid0(SALU_CYCLE_1)
	s_lshl_b32 s17, s5, 2
	s_set_inst_prefetch_distance 0x1
	s_branch .LBB84_17
	.p2align	6
.LBB84_16:                              ;   in Loop: Header=BB84_17 Depth=1
	v_add_nc_u32_e32 v1, s5, v1
	v_add_nc_u32_e32 v5, s17, v5
	s_delay_alu instid0(VALU_DEP_2) | instskip(SKIP_1) | instid1(SALU_CYCLE_1)
	v_cmp_le_i32_e32 vcc_lo, s12, v1
	s_or_b32 s16, vcc_lo, s16
	s_and_not1_b32 exec_lo, exec_lo, s16
	s_cbranch_execz .LBB84_19
.LBB84_17:                              ; =>This Inner Loop Header: Depth=1
	ds_load_b32 v2, v5
	s_and_not1_b32 vcc_lo, exec_lo, s4
	s_waitcnt lgkmcnt(0)
	v_mul_f32_e32 v6, v4, v2
	ds_store_b32 v5, v6
	s_cbranch_vccnz .LBB84_16
; %bb.18:                               ;   in Loop: Header=BB84_17 Depth=1
	v_ashrrev_i32_e32 v2, 31, v1
	s_delay_alu instid0(VALU_DEP_1) | instskip(NEXT) | instid1(VALU_DEP_1)
	v_lshlrev_b64 v[7:8], 1, v[1:2]
	v_add_co_u32 v7, vcc_lo, s6, v7
	s_delay_alu instid0(VALU_DEP_2) | instskip(SKIP_3) | instid1(VALU_DEP_1)
	v_add_co_ci_u32_e32 v8, vcc_lo, s7, v8, vcc_lo
	global_load_u16 v2, v[7:8], off
	s_waitcnt vmcnt(0)
	v_lshlrev_b32_e32 v2, 16, v2
	v_add_f32_e32 v2, v6, v2
	ds_store_b32 v5, v2
	s_branch .LBB84_16
.LBB84_19:
	s_set_inst_prefetch_distance 0x2
	s_or_b32 exec_lo, exec_lo, s3
	s_cmp_lt_i32 s13, 1
	s_waitcnt lgkmcnt(0)
	s_barrier
	buffer_gl0_inv
	s_cbranch_scc1 .LBB84_28
; %bb.20:
	s_add_u32 s4, s0, 56
	s_addc_u32 s5, s1, 0
	v_lshl_add_u32 v4, v0, 4, 0
	v_dual_mov_b32 v5, 0 :: v_dual_mov_b32 v6, 0xff800000
	v_dual_mov_b32 v1, 0 :: v_dual_mov_b32 v2, 0
	s_cmp_lg_u64 s[6:7], 0
	s_mov_b32 s18, 0
	s_cselect_b32 s12, -1, 0
	s_mov_b32 s19, 0x76543210
	s_branch .LBB84_22
.LBB84_21:                              ;   in Loop: Header=BB84_22 Depth=1
	v_cmp_eq_u32_e32 vcc_lo, s18, v0
	s_delay_alu instid0(VALU_DEP_2)
	s_lshl_b32 s3, s16, 2
	s_add_i32 s18, s18, 1
	s_add_i32 s3, s3, 0
	s_cmp_eq_u32 s18, s13
	v_cndmask_b32_e64 v1, v1, s16, vcc_lo
	v_dual_mov_b32 v7, s3 :: v_dual_cndmask_b32 v2, v2, v9
	ds_store_b32 v7, v6
	s_cbranch_scc1 .LBB84_29
.LBB84_22:                              ; =>This Loop Header: Depth=1
                                        ;     Child Loop BB84_24 Depth 2
	v_dual_mov_b32 v7, s18 :: v_dual_mov_b32 v8, 0xff800000
	s_and_saveexec_b32 s16, s2
	s_cbranch_execz .LBB84_26
; %bb.23:                               ;   in Loop: Header=BB84_22 Depth=1
	s_load_b32 s3, s[4:5], 0xc
	v_dual_mov_b32 v7, s18 :: v_dual_mov_b32 v8, 0xff800000
	v_dual_mov_b32 v9, v4 :: v_dual_mov_b32 v10, v3
	v_mov_b32_e32 v11, v0
	s_mov_b32 s21, 0
	s_waitcnt lgkmcnt(0)
	s_and_b32 s17, s3, 0xffff
	s_delay_alu instid0(SALU_CYCLE_1)
	s_lshl_b32 s20, s17, 2
	s_lshl_b32 s22, s17, 4
	.p2align	6
.LBB84_24:                              ;   Parent Loop BB84_22 Depth=1
                                        ; =>  This Inner Loop Header: Depth=2
	ds_load_b128 v[12:15], v9
	v_add_nc_u32_e32 v11, s17, v11
	s_delay_alu instid0(VALU_DEP_1) | instskip(NEXT) | instid1(VALU_DEP_1)
	v_cmp_le_i32_e64 s3, s14, v11
	s_or_b32 s21, s3, s21
	s_waitcnt lgkmcnt(0)
	v_cmp_gt_f32_e32 vcc_lo, v12, v8
	v_dual_cndmask_b32 v8, v8, v12 :: v_dual_cndmask_b32 v7, v7, v10
	s_delay_alu instid0(VALU_DEP_1) | instskip(SKIP_2) | instid1(VALU_DEP_1)
	v_cmp_gt_f32_e32 vcc_lo, v13, v8
	v_dual_cndmask_b32 v8, v8, v13 :: v_dual_add_nc_u32 v13, 2, v10
	v_add_nc_u32_e32 v12, 1, v10
	v_cndmask_b32_e32 v7, v7, v12, vcc_lo
	s_delay_alu instid0(VALU_DEP_3) | instskip(SKIP_1) | instid1(VALU_DEP_3)
	v_cmp_gt_f32_e32 vcc_lo, v14, v8
	v_add_nc_u32_e32 v12, 3, v10
	v_dual_cndmask_b32 v8, v8, v14 :: v_dual_cndmask_b32 v7, v7, v13
	s_delay_alu instid0(VALU_DEP_1) | instskip(SKIP_1) | instid1(VALU_DEP_3)
	v_cmp_gt_f32_e32 vcc_lo, v15, v8
	v_add_nc_u32_e32 v9, s22, v9
	v_dual_cndmask_b32 v7, v7, v12 :: v_dual_add_nc_u32 v10, s20, v10
	v_cndmask_b32_e32 v8, v8, v15, vcc_lo
	s_and_not1_b32 exec_lo, exec_lo, s21
	s_cbranch_execnz .LBB84_24
; %bb.25:                               ;   in Loop: Header=BB84_22 Depth=1
	s_or_b32 exec_lo, exec_lo, s21
.LBB84_26:                              ;   in Loop: Header=BB84_22 Depth=1
	s_delay_alu instid0(SALU_CYCLE_1)
	s_or_b32 exec_lo, exec_lo, s16
	;;#ASMSTART
	v_max_f32 v9, v8, v8 quad_perm:[1,0,3,2] row_mask:0xf bank_mask:0xf bound_ctrl:1
	;;#ASMEND
	;;#ASMSTART
	v_max_f32 v10, v9, v9 quad_perm:[2,3,0,1] row_mask:0xf bank_mask:0xf bound_ctrl:1
	;;#ASMEND
	;;#ASMSTART
	v_max_f32 v9, v10, v10 row_half_mirror row_mask:0xf bank_mask:0xf bound_ctrl:1
	;;#ASMEND
	;;#ASMSTART
	v_max_f32 v10, v9, v9 row_mirror row_mask:0xf bank_mask:0xf bound_ctrl:1
	;;#ASMEND
	v_permlanex16_b32 v9, v10, s19, 0xfedcba98 op_sel:[1,1]
	s_delay_alu instid0(VALU_DEP_1) | instskip(NEXT) | instid1(VALU_DEP_1)
	v_dual_max_f32 v10, v10, v10 :: v_dual_max_f32 v9, v9, v9
	v_max_f32_e32 v9, v10, v9
	s_delay_alu instid0(VALU_DEP_1)
	v_cmp_eq_f32_e32 vcc_lo, v8, v9
	s_ctz_i32_b32 s3, vcc_lo
	s_cmp_lg_u32 vcc_lo, 0
	s_cselect_b32 s3, s3, 0
	s_and_b32 vcc_lo, exec_lo, s12
	v_readlane_b32 s16, v7, s3
	s_cbranch_vccz .LBB84_21
; %bb.27:                               ;   in Loop: Header=BB84_22 Depth=1
	s_delay_alu instid0(VALU_DEP_1) | instskip(NEXT) | instid1(SALU_CYCLE_1)
	s_ashr_i32 s17, s16, 31
	s_lshl_b64 s[20:21], s[16:17], 1
	s_delay_alu instid0(SALU_CYCLE_1) | instskip(SKIP_4) | instid1(VALU_DEP_1)
	s_add_u32 s20, s6, s20
	s_addc_u32 s21, s7, s21
	global_load_u16 v7, v5, s[20:21]
	s_waitcnt vmcnt(0)
	v_lshlrev_b32_e32 v7, 16, v7
	v_sub_f32_e32 v9, v9, v7
	s_branch .LBB84_21
.LBB84_28:
	v_dual_mov_b32 v2, 0 :: v_dual_mov_b32 v1, 0
.LBB84_29:
	s_mov_b32 s2, exec_lo
	v_cmpx_gt_i32_e64 s13, v0
	s_cbranch_execz .LBB84_32
; %bb.30:
	s_clause 0x2
	s_load_b32 s4, s[0:1], 0x34
	s_load_b64 s[2:3], s[0:1], 0x20
	s_load_b32 s0, s[0:1], 0x44
	s_ashr_i32 s1, s15, 31
	s_waitcnt lgkmcnt(0)
	v_mul_f32_e32 v2, s4, v2
	s_mul_i32 s3, s15, s3
	s_mul_hi_u32 s4, s15, s2
	s_mul_i32 s5, s1, s2
	s_add_i32 s3, s4, s3
	s_mul_i32 s1, s15, s2
	s_and_b32 s2, s0, 0xffff
	s_add_i32 s3, s3, s5
	s_mov_b32 s4, 0
	.p2align	6
.LBB84_31:                              ; =>This Inner Loop Header: Depth=1
	v_ashrrev_i32_e32 v4, 31, v0
	v_add_co_u32 v3, vcc_lo, s1, v0
	v_add_nc_u32_e32 v0, s2, v0
	s_delay_alu instid0(VALU_DEP_3) | instskip(NEXT) | instid1(VALU_DEP_2)
	v_add_co_ci_u32_e32 v4, vcc_lo, s3, v4, vcc_lo
	v_cmp_le_i32_e32 vcc_lo, s13, v0
	s_delay_alu instid0(VALU_DEP_2) | instskip(SKIP_1) | instid1(VALU_DEP_1)
	v_lshlrev_b64 v[3:4], 2, v[3:4]
	s_or_b32 s4, vcc_lo, s4
	v_add_co_u32 v5, s0, s8, v3
	s_delay_alu instid0(VALU_DEP_1) | instskip(SKIP_1) | instid1(VALU_DEP_1)
	v_add_co_ci_u32_e64 v6, s0, s9, v4, s0
	v_add_co_u32 v3, s0, s10, v3
	v_add_co_ci_u32_e64 v4, s0, s11, v4, s0
	global_store_b32 v[5:6], v2, off
	global_store_b32 v[3:4], v1, off
	s_and_not1_b32 exec_lo, exec_lo, s4
	s_cbranch_execnz .LBB84_31
.LBB84_32:
	s_nop 0
	s_sendmsg sendmsg(MSG_DEALLOC_VGPRS)
	s_endpgm
	.section	.rodata,"a",@progbits
	.p2align	6, 0x0
	.amdhsa_kernel _ZN5aiter20topk_softplus_kernelIf12hip_bfloat16Dv4_fLb0ELi2EEEvPKT_PKT0_PfPimiiif
		.amdhsa_group_segment_fixed_size 0
		.amdhsa_private_segment_fixed_size 0
		.amdhsa_kernarg_size 312
		.amdhsa_user_sgpr_count 15
		.amdhsa_user_sgpr_dispatch_ptr 0
		.amdhsa_user_sgpr_queue_ptr 0
		.amdhsa_user_sgpr_kernarg_segment_ptr 1
		.amdhsa_user_sgpr_dispatch_id 0
		.amdhsa_user_sgpr_private_segment_size 0
		.amdhsa_wavefront_size32 1
		.amdhsa_uses_dynamic_stack 0
		.amdhsa_enable_private_segment 0
		.amdhsa_system_sgpr_workgroup_id_x 1
		.amdhsa_system_sgpr_workgroup_id_y 0
		.amdhsa_system_sgpr_workgroup_id_z 0
		.amdhsa_system_sgpr_workgroup_info 0
		.amdhsa_system_vgpr_workitem_id 0
		.amdhsa_next_free_vgpr 16
		.amdhsa_next_free_sgpr 23
		.amdhsa_reserve_vcc 1
		.amdhsa_float_round_mode_32 0
		.amdhsa_float_round_mode_16_64 0
		.amdhsa_float_denorm_mode_32 3
		.amdhsa_float_denorm_mode_16_64 3
		.amdhsa_dx10_clamp 1
		.amdhsa_ieee_mode 1
		.amdhsa_fp16_overflow 0
		.amdhsa_workgroup_processor_mode 1
		.amdhsa_memory_ordered 1
		.amdhsa_forward_progress 0
		.amdhsa_shared_vgpr_count 0
		.amdhsa_exception_fp_ieee_invalid_op 0
		.amdhsa_exception_fp_denorm_src 0
		.amdhsa_exception_fp_ieee_div_zero 0
		.amdhsa_exception_fp_ieee_overflow 0
		.amdhsa_exception_fp_ieee_underflow 0
		.amdhsa_exception_fp_ieee_inexact 0
		.amdhsa_exception_int_div_zero 0
	.end_amdhsa_kernel
	.section	.text._ZN5aiter20topk_softplus_kernelIf12hip_bfloat16Dv4_fLb0ELi2EEEvPKT_PKT0_PfPimiiif,"axG",@progbits,_ZN5aiter20topk_softplus_kernelIf12hip_bfloat16Dv4_fLb0ELi2EEEvPKT_PKT0_PfPimiiif,comdat
.Lfunc_end84:
	.size	_ZN5aiter20topk_softplus_kernelIf12hip_bfloat16Dv4_fLb0ELi2EEEvPKT_PKT0_PfPimiiif, .Lfunc_end84-_ZN5aiter20topk_softplus_kernelIf12hip_bfloat16Dv4_fLb0ELi2EEEvPKT_PKT0_PfPimiiif
                                        ; -- End function
	.section	.AMDGPU.csdata,"",@progbits
; Kernel info:
; codeLenInByte = 1920
; NumSgprs: 25
; NumVgprs: 16
; ScratchSize: 0
; MemoryBound: 0
; FloatMode: 240
; IeeeMode: 1
; LDSByteSize: 0 bytes/workgroup (compile time only)
; SGPRBlocks: 3
; VGPRBlocks: 1
; NumSGPRsForWavesPerEU: 25
; NumVGPRsForWavesPerEU: 16
; Occupancy: 16
; WaveLimiterHint : 0
; COMPUTE_PGM_RSRC2:SCRATCH_EN: 0
; COMPUTE_PGM_RSRC2:USER_SGPR: 15
; COMPUTE_PGM_RSRC2:TRAP_HANDLER: 0
; COMPUTE_PGM_RSRC2:TGID_X_EN: 1
; COMPUTE_PGM_RSRC2:TGID_Y_EN: 0
; COMPUTE_PGM_RSRC2:TGID_Z_EN: 0
; COMPUTE_PGM_RSRC2:TIDIG_COMP_CNT: 0
	.section	.text._ZN5aiter20topk_softplus_kernelIf12hip_bfloat16Dv2_fLb1ELi2EEEvPKT_PKT0_PfPimiiif,"axG",@progbits,_ZN5aiter20topk_softplus_kernelIf12hip_bfloat16Dv2_fLb1ELi2EEEvPKT_PKT0_PfPimiiif,comdat
	.protected	_ZN5aiter20topk_softplus_kernelIf12hip_bfloat16Dv2_fLb1ELi2EEEvPKT_PKT0_PfPimiiif ; -- Begin function _ZN5aiter20topk_softplus_kernelIf12hip_bfloat16Dv2_fLb1ELi2EEEvPKT_PKT0_PfPimiiif
	.globl	_ZN5aiter20topk_softplus_kernelIf12hip_bfloat16Dv2_fLb1ELi2EEEvPKT_PKT0_PfPimiiif
	.p2align	8
	.type	_ZN5aiter20topk_softplus_kernelIf12hip_bfloat16Dv2_fLb1ELi2EEEvPKT_PKT0_PfPimiiif,@function
_ZN5aiter20topk_softplus_kernelIf12hip_bfloat16Dv2_fLb1ELi2EEEvPKT_PKT0_PfPimiiif: ; @_ZN5aiter20topk_softplus_kernelIf12hip_bfloat16Dv2_fLb1ELi2EEEvPKT_PKT0_PfPimiiif
; %bb.0:
	s_clause 0x1
	s_load_b64 s[12:13], s[0:1], 0x28
	s_load_b256 s[4:11], s[0:1], 0x0
	s_waitcnt lgkmcnt(0)
	s_lshr_b32 s2, s12, 31
	s_mul_i32 s16, s15, s12
	s_add_i32 s2, s12, s2
	s_ashr_i32 s17, s16, 31
	s_ashr_i32 s14, s2, 1
	s_delay_alu instid0(SALU_CYCLE_1) | instskip(NEXT) | instid1(VALU_DEP_1)
	v_cmp_gt_i32_e64 s2, s14, v0
	s_and_saveexec_b32 s18, s2
	s_cbranch_execz .LBB85_3
; %bb.1:
	s_load_b32 s3, s[0:1], 0x44
	v_dual_mov_b32 v4, v0 :: v_dual_lshlrev_b32 v1, 3, v0
	s_lshl_b64 s[20:21], s[16:17], 2
	s_delay_alu instid0(VALU_DEP_1)
	v_add_nc_u32_e32 v3, 0, v1
	s_waitcnt lgkmcnt(0)
	s_and_b32 s19, s3, 0xffff
	s_add_u32 s3, s4, s20
	s_addc_u32 s20, s5, s21
	v_add_co_u32 v1, s3, s3, v1
	s_delay_alu instid0(VALU_DEP_1)
	v_add_co_ci_u32_e64 v2, null, s20, 0, s3
	s_mov_b32 s20, 0
	s_lshl_b32 s21, s19, 3
.LBB85_2:                               ; =>This Inner Loop Header: Depth=1
	global_load_b64 v[5:6], v[1:2], off
	v_add_nc_u32_e32 v4, s19, v4
	v_add_co_u32 v1, vcc_lo, v1, s21
	v_add_co_ci_u32_e32 v2, vcc_lo, 0, v2, vcc_lo
	s_delay_alu instid0(VALU_DEP_3) | instskip(NEXT) | instid1(VALU_DEP_1)
	v_cmp_le_i32_e64 s3, s14, v4
	s_or_b32 s20, s3, s20
	s_waitcnt vmcnt(0)
	ds_store_b64 v3, v[5:6]
	v_add_nc_u32_e32 v3, s21, v3
	s_and_not1_b32 exec_lo, exec_lo, s20
	s_cbranch_execnz .LBB85_2
.LBB85_3:
	s_or_b32 exec_lo, exec_lo, s18
	v_lshl_add_u32 v1, s14, 1, v0
	s_mov_b32 s3, exec_lo
	s_delay_alu instid0(VALU_DEP_1)
	v_cmpx_gt_i32_e64 s12, v1
	s_cbranch_execz .LBB85_6
; %bb.4:
	s_load_b32 s18, s[0:1], 0x44
	s_lshl_b64 s[16:17], s[16:17], 2
	v_lshlrev_b32_e32 v2, 2, v0
	s_add_u32 s4, s4, s16
	s_addc_u32 s5, s5, s17
	s_lshl_b32 s16, s14, 3
	s_mov_b32 s17, 0
	v_add3_u32 v3, 0, s16, v2
	s_waitcnt lgkmcnt(0)
	s_and_b32 s16, s18, 0xffff
	s_delay_alu instid0(SALU_CYCLE_1)
	s_lshl_b32 s18, s16, 2
.LBB85_5:                               ; =>This Inner Loop Header: Depth=1
	v_ashrrev_i32_e32 v2, 31, v1
	s_delay_alu instid0(VALU_DEP_1) | instskip(SKIP_1) | instid1(VALU_DEP_2)
	v_lshlrev_b64 v[4:5], 2, v[1:2]
	v_add_nc_u32_e32 v1, s16, v1
	v_add_co_u32 v4, vcc_lo, s4, v4
	s_delay_alu instid0(VALU_DEP_3) | instskip(NEXT) | instid1(VALU_DEP_3)
	v_add_co_ci_u32_e32 v5, vcc_lo, s5, v5, vcc_lo
	v_cmp_le_i32_e32 vcc_lo, s12, v1
	global_load_b32 v2, v[4:5], off
	s_or_b32 s17, vcc_lo, s17
	s_waitcnt vmcnt(0)
	ds_store_b32 v3, v2
	v_add_nc_u32_e32 v3, s18, v3
	s_and_not1_b32 exec_lo, exec_lo, s17
	s_cbranch_execnz .LBB85_5
.LBB85_6:
	s_or_b32 exec_lo, exec_lo, s3
	v_cmp_gt_i32_e32 vcc_lo, s12, v0
	v_mov_b32_e32 v2, 0xff800000
	s_waitcnt lgkmcnt(0)
	s_barrier
	buffer_gl0_inv
	s_and_saveexec_b32 s4, vcc_lo
	s_cbranch_execz .LBB85_10
; %bb.7:
	s_load_b32 s3, s[0:1], 0x44
	v_lshl_add_u32 v1, v0, 2, 0
	v_dual_mov_b32 v2, 0xff800000 :: v_dual_mov_b32 v3, v0
	s_mov_b32 s5, 0
	s_waitcnt lgkmcnt(0)
	s_and_b32 s16, s3, 0xffff
	s_delay_alu instid0(SALU_CYCLE_1)
	s_lshl_b32 s17, s16, 2
.LBB85_8:                               ; =>This Inner Loop Header: Depth=1
	ds_load_b32 v4, v1
	v_dual_max_f32 v2, v2, v2 :: v_dual_add_nc_u32 v3, s16, v3
	v_add_nc_u32_e32 v1, s17, v1
	s_delay_alu instid0(VALU_DEP_2) | instskip(NEXT) | instid1(VALU_DEP_1)
	v_cmp_le_i32_e64 s3, s12, v3
	s_or_b32 s5, s3, s5
	s_waitcnt lgkmcnt(0)
	v_max_f32_e32 v4, v4, v4
	s_delay_alu instid0(VALU_DEP_1)
	v_max_f32_e32 v2, v2, v4
	s_and_not1_b32 exec_lo, exec_lo, s5
	s_cbranch_execnz .LBB85_8
; %bb.9:
	s_or_b32 exec_lo, exec_lo, s5
.LBB85_10:
	s_delay_alu instid0(SALU_CYCLE_1)
	s_or_b32 exec_lo, exec_lo, s4
	v_mov_b32_e32 v1, 0
	;;#ASMSTART
	v_max_f32 v3, v2, v2 quad_perm:[1,0,3,2] row_mask:0xf bank_mask:0xf bound_ctrl:1
	;;#ASMEND
	;;#ASMSTART
	v_max_f32 v2, v3, v3 quad_perm:[2,3,0,1] row_mask:0xf bank_mask:0xf bound_ctrl:1
	;;#ASMEND
	;;#ASMSTART
	v_max_f32 v3, v2, v2 row_half_mirror row_mask:0xf bank_mask:0xf bound_ctrl:1
	;;#ASMEND
	;;#ASMSTART
	v_max_f32 v2, v3, v3 row_mirror row_mask:0xf bank_mask:0xf bound_ctrl:1
	;;#ASMEND
	s_and_saveexec_b32 s4, vcc_lo
	s_cbranch_execz .LBB85_14
; %bb.11:
	s_load_b32 s3, s[0:1], 0x44
	s_mov_b32 s5, 0x76543210
	v_lshl_add_u32 v3, v0, 2, 0
	v_permlanex16_b32 v1, v2, s5, 0xfedcba98 op_sel:[1,1]
	v_mov_b32_e32 v4, v0
	s_mov_b32 s5, 0
	s_delay_alu instid0(VALU_DEP_2) | instskip(NEXT) | instid1(VALU_DEP_1)
	v_dual_max_f32 v2, v2, v2 :: v_dual_max_f32 v1, v1, v1
	v_dual_max_f32 v2, v2, v1 :: v_dual_mov_b32 v1, 0
	s_waitcnt lgkmcnt(0)
	s_and_b32 s16, s3, 0xffff
	s_delay_alu instid0(SALU_CYCLE_1)
	s_lshl_b32 s17, s16, 2
	.p2align	6
.LBB85_12:                              ; =>This Inner Loop Header: Depth=1
	ds_load_b32 v5, v3
	s_waitcnt lgkmcnt(0)
	v_dual_sub_f32 v5, v5, v2 :: v_dual_add_nc_u32 v4, s16, v4
	s_delay_alu instid0(VALU_DEP_1) | instskip(NEXT) | instid1(VALU_DEP_1)
	v_mul_f32_e32 v6, 0x3fb8aa3b, v5
	v_cmp_gt_f32_e64 s3, 0xc2fc0000, v6
	s_delay_alu instid0(VALU_DEP_1) | instskip(NEXT) | instid1(VALU_DEP_1)
	v_cndmask_b32_e64 v6, 0, 0x42800000, s3
	v_fmac_f32_e32 v6, 0x3fb8aa3b, v5
	s_delay_alu instid0(VALU_DEP_1) | instskip(SKIP_2) | instid1(VALU_DEP_1)
	v_exp_f32_e32 v5, v6
	v_cndmask_b32_e64 v6, 1.0, 0x1f800000, s3
	v_cmp_le_i32_e64 s3, s12, v4
	s_or_b32 s5, s3, s5
	s_waitcnt_depctr 0xfff
	v_mul_f32_e32 v7, v5, v6
	v_fmac_f32_e32 v1, v5, v6
	ds_store_b32 v3, v7
	v_add_nc_u32_e32 v3, s17, v3
	s_and_not1_b32 exec_lo, exec_lo, s5
	s_cbranch_execnz .LBB85_12
; %bb.13:
	s_or_b32 exec_lo, exec_lo, s5
.LBB85_14:
	s_delay_alu instid0(SALU_CYCLE_1) | instskip(SKIP_1) | instid1(VALU_DEP_1)
	s_or_b32 exec_lo, exec_lo, s4
	v_mov_b32_dpp v2, v1 quad_perm:[1,0,3,2] row_mask:0xf bank_mask:0xf
	v_add_f32_e32 v1, v1, v2
	s_delay_alu instid0(VALU_DEP_1) | instskip(NEXT) | instid1(VALU_DEP_1)
	v_mov_b32_dpp v2, v1 quad_perm:[2,3,0,1] row_mask:0xf bank_mask:0xf
	v_add_f32_e32 v1, v1, v2
	s_delay_alu instid0(VALU_DEP_1) | instskip(NEXT) | instid1(VALU_DEP_1)
	v_mov_b32_dpp v2, v1 row_xmask:7 row_mask:0xf bank_mask:0xf
	v_add_f32_e32 v1, v1, v2
	s_delay_alu instid0(VALU_DEP_1)
	v_mov_b32_dpp v2, v1 row_xmask:15 row_mask:0xf bank_mask:0xf
	s_and_saveexec_b32 s3, vcc_lo
	s_cbranch_execz .LBB85_19
; %bb.15:
	s_delay_alu instid0(VALU_DEP_1)
	v_add_f32_e32 v1, v1, v2
	s_load_b32 s5, s[0:1], 0x44
	s_mov_b32 s4, 0x76543210
	s_cmp_lg_u64 s[6:7], 0
	v_lshl_add_u32 v4, v0, 2, 0
	v_permlanex16_b32 v2, v1, s4, 0xfedcba98 op_sel:[1,1]
	s_cselect_b32 s4, -1, 0
	s_mov_b32 s16, 0
	s_delay_alu instid0(VALU_DEP_1) | instskip(NEXT) | instid1(VALU_DEP_1)
	v_add_f32_e32 v1, v1, v2
	v_rcp_f32_e32 v3, v1
	v_mov_b32_e32 v1, v0
	s_waitcnt lgkmcnt(0)
	s_and_b32 s5, s5, 0xffff
	s_delay_alu instid0(SALU_CYCLE_1)
	s_lshl_b32 s17, s5, 2
	s_set_inst_prefetch_distance 0x1
	s_branch .LBB85_17
	.p2align	6
.LBB85_16:                              ;   in Loop: Header=BB85_17 Depth=1
	v_add_nc_u32_e32 v1, s5, v1
	v_add_nc_u32_e32 v4, s17, v4
	s_delay_alu instid0(VALU_DEP_2) | instskip(SKIP_1) | instid1(SALU_CYCLE_1)
	v_cmp_le_i32_e32 vcc_lo, s12, v1
	s_or_b32 s16, vcc_lo, s16
	s_and_not1_b32 exec_lo, exec_lo, s16
	s_cbranch_execz .LBB85_19
.LBB85_17:                              ; =>This Inner Loop Header: Depth=1
	ds_load_b32 v2, v4
	s_and_not1_b32 vcc_lo, exec_lo, s4
	s_waitcnt lgkmcnt(0)
	v_mul_f32_e32 v5, v3, v2
	ds_store_b32 v4, v5
	s_cbranch_vccnz .LBB85_16
; %bb.18:                               ;   in Loop: Header=BB85_17 Depth=1
	v_ashrrev_i32_e32 v2, 31, v1
	s_delay_alu instid0(VALU_DEP_1) | instskip(NEXT) | instid1(VALU_DEP_1)
	v_lshlrev_b64 v[6:7], 1, v[1:2]
	v_add_co_u32 v6, vcc_lo, s6, v6
	s_delay_alu instid0(VALU_DEP_2) | instskip(SKIP_3) | instid1(VALU_DEP_1)
	v_add_co_ci_u32_e32 v7, vcc_lo, s7, v7, vcc_lo
	global_load_u16 v2, v[6:7], off
	s_waitcnt vmcnt(0)
	v_lshlrev_b32_e32 v2, 16, v2
	v_add_f32_e32 v2, v5, v2
	ds_store_b32 v4, v2
	s_branch .LBB85_16
.LBB85_19:
	s_set_inst_prefetch_distance 0x2
	s_or_b32 exec_lo, exec_lo, s3
	v_mov_b32_e32 v2, 0
	s_cmp_lt_i32 s13, 1
	s_waitcnt lgkmcnt(0)
	s_barrier
	buffer_gl0_inv
	s_cbranch_scc1 .LBB85_28
; %bb.20:
	s_add_u32 s4, s0, 56
	s_addc_u32 s5, s1, 0
	v_dual_mov_b32 v7, 0xff800000 :: v_dual_lshlrev_b32 v4, 1, v0
	v_lshl_add_u32 v5, v0, 3, 0
	v_dual_mov_b32 v2, 0 :: v_dual_mov_b32 v1, 0
	v_dual_mov_b32 v6, 0 :: v_dual_mov_b32 v3, 0
	s_cmp_lg_u64 s[6:7], 0
	s_mov_b32 s18, 0
	s_cselect_b32 s12, -1, 0
	s_mov_b32 s19, 0x76543210
	s_branch .LBB85_22
.LBB85_21:                              ;   in Loop: Header=BB85_22 Depth=1
	v_cmp_eq_u32_e32 vcc_lo, s18, v0
	s_delay_alu instid0(VALU_DEP_2)
	s_lshl_b32 s3, s16, 2
	s_add_i32 s18, s18, 1
	s_add_i32 s3, s3, 0
	v_add_f32_e32 v3, v3, v10
	v_cndmask_b32_e64 v1, v1, s16, vcc_lo
	v_mov_b32_e32 v8, s3
	v_cndmask_b32_e32 v2, v2, v10, vcc_lo
	s_cmp_eq_u32 s18, s13
	ds_store_b32 v8, v7
	s_cbranch_scc1 .LBB85_29
.LBB85_22:                              ; =>This Loop Header: Depth=1
                                        ;     Child Loop BB85_24 Depth 2
	v_dual_mov_b32 v8, s18 :: v_dual_mov_b32 v9, 0xff800000
	s_and_saveexec_b32 s16, s2
	s_cbranch_execz .LBB85_26
; %bb.23:                               ;   in Loop: Header=BB85_22 Depth=1
	s_load_b32 s3, s[4:5], 0xc
	v_dual_mov_b32 v8, s18 :: v_dual_mov_b32 v9, 0xff800000
	v_dual_mov_b32 v10, v5 :: v_dual_mov_b32 v11, v4
	v_mov_b32_e32 v12, v0
	s_mov_b32 s21, 0
	s_waitcnt lgkmcnt(0)
	s_and_b32 s17, s3, 0xffff
	s_delay_alu instid0(SALU_CYCLE_1)
	s_lshl_b32 s20, s17, 1
	s_lshl_b32 s22, s17, 3
	.p2align	6
.LBB85_24:                              ;   Parent Loop BB85_22 Depth=1
                                        ; =>  This Inner Loop Header: Depth=2
	ds_load_b64 v[13:14], v10
	v_add_nc_u32_e32 v10, s22, v10
	v_add_nc_u32_e32 v12, s17, v12
	s_delay_alu instid0(VALU_DEP_1) | instskip(NEXT) | instid1(VALU_DEP_1)
	v_cmp_le_i32_e64 s3, s14, v12
	s_or_b32 s21, s3, s21
	s_waitcnt lgkmcnt(0)
	v_cmp_gt_f32_e32 vcc_lo, v13, v9
	v_cndmask_b32_e32 v9, v9, v13, vcc_lo
	v_add_nc_u32_e32 v13, 1, v11
	v_cndmask_b32_e32 v8, v8, v11, vcc_lo
	s_delay_alu instid0(VALU_DEP_3) | instskip(SKIP_1) | instid1(VALU_DEP_3)
	v_cmp_gt_f32_e32 vcc_lo, v14, v9
	v_cndmask_b32_e32 v9, v9, v14, vcc_lo
	v_dual_cndmask_b32 v8, v8, v13 :: v_dual_add_nc_u32 v11, s20, v11
	s_and_not1_b32 exec_lo, exec_lo, s21
	s_cbranch_execnz .LBB85_24
; %bb.25:                               ;   in Loop: Header=BB85_22 Depth=1
	s_or_b32 exec_lo, exec_lo, s21
.LBB85_26:                              ;   in Loop: Header=BB85_22 Depth=1
	s_delay_alu instid0(SALU_CYCLE_1)
	s_or_b32 exec_lo, exec_lo, s16
	;;#ASMSTART
	v_max_f32 v10, v9, v9 quad_perm:[1,0,3,2] row_mask:0xf bank_mask:0xf bound_ctrl:1
	;;#ASMEND
	;;#ASMSTART
	v_max_f32 v11, v10, v10 quad_perm:[2,3,0,1] row_mask:0xf bank_mask:0xf bound_ctrl:1
	;;#ASMEND
	;;#ASMSTART
	v_max_f32 v10, v11, v11 row_half_mirror row_mask:0xf bank_mask:0xf bound_ctrl:1
	;;#ASMEND
	;;#ASMSTART
	v_max_f32 v11, v10, v10 row_mirror row_mask:0xf bank_mask:0xf bound_ctrl:1
	;;#ASMEND
	v_permlanex16_b32 v10, v11, s19, 0xfedcba98 op_sel:[1,1]
	s_delay_alu instid0(VALU_DEP_1) | instskip(NEXT) | instid1(VALU_DEP_1)
	v_dual_max_f32 v11, v11, v11 :: v_dual_max_f32 v10, v10, v10
	v_max_f32_e32 v10, v11, v10
	s_delay_alu instid0(VALU_DEP_1)
	v_cmp_eq_f32_e32 vcc_lo, v9, v10
	s_ctz_i32_b32 s3, vcc_lo
	s_cmp_lg_u32 vcc_lo, 0
	s_cselect_b32 s3, s3, 0
	s_and_b32 vcc_lo, exec_lo, s12
	v_readlane_b32 s16, v8, s3
	s_cbranch_vccz .LBB85_21
; %bb.27:                               ;   in Loop: Header=BB85_22 Depth=1
	s_delay_alu instid0(VALU_DEP_1) | instskip(NEXT) | instid1(SALU_CYCLE_1)
	s_ashr_i32 s17, s16, 31
	s_lshl_b64 s[20:21], s[16:17], 1
	s_delay_alu instid0(SALU_CYCLE_1) | instskip(SKIP_4) | instid1(VALU_DEP_1)
	s_add_u32 s20, s6, s20
	s_addc_u32 s21, s7, s21
	global_load_u16 v8, v6, s[20:21]
	s_waitcnt vmcnt(0)
	v_lshlrev_b32_e32 v8, 16, v8
	v_sub_f32_e32 v10, v10, v8
	s_branch .LBB85_21
.LBB85_28:
	v_mov_b32_e32 v1, 0
	v_mov_b32_e32 v3, 0
.LBB85_29:
	s_mov_b32 s2, exec_lo
	v_cmpx_gt_i32_e64 s13, v0
	s_cbranch_execz .LBB85_32
; %bb.30:
	s_clause 0x1
	s_load_b32 s2, s[0:1], 0x34
	s_load_b32 s3, s[0:1], 0x44
	v_max_f32_e32 v3, v3, v3
	s_load_b64 s[0:1], s[0:1], 0x20
	s_ashr_i32 s4, s15, 31
	s_delay_alu instid0(VALU_DEP_1) | instskip(SKIP_1) | instid1(VALU_DEP_1)
	v_max_f32_e32 v3, 0x1e3ce508, v3
	s_waitcnt lgkmcnt(0)
	v_div_scale_f32 v4, null, v3, v3, s2
	v_div_scale_f32 v7, vcc_lo, s2, v3, s2
	s_mul_i32 s1, s15, s1
	s_delay_alu instid0(VALU_DEP_2) | instskip(SKIP_4) | instid1(VALU_DEP_1)
	v_rcp_f32_e32 v5, v4
	s_mul_i32 s4, s4, s0
	s_and_b32 s3, s3, 0xffff
	s_waitcnt_depctr 0xfff
	v_fma_f32 v6, -v4, v5, 1.0
	v_fmac_f32_e32 v5, v6, v5
	s_delay_alu instid0(VALU_DEP_1) | instskip(NEXT) | instid1(VALU_DEP_1)
	v_mul_f32_e32 v6, v7, v5
	v_fma_f32 v8, -v4, v6, v7
	s_delay_alu instid0(VALU_DEP_1) | instskip(NEXT) | instid1(VALU_DEP_1)
	v_fmac_f32_e32 v6, v8, v5
	v_fma_f32 v4, -v4, v6, v7
	s_delay_alu instid0(VALU_DEP_1) | instskip(NEXT) | instid1(VALU_DEP_1)
	v_div_fmas_f32 v4, v4, v5, v6
	v_div_fixup_f32 v3, v4, v3, s2
	s_mul_hi_u32 s2, s15, s0
	s_delay_alu instid0(SALU_CYCLE_1) | instskip(SKIP_1) | instid1(VALU_DEP_1)
	s_add_i32 s1, s2, s1
	s_mul_i32 s2, s15, s0
	v_mul_f32_e32 v2, v2, v3
	s_add_i32 s1, s1, s4
	s_mov_b32 s4, 0
	.p2align	6
.LBB85_31:                              ; =>This Inner Loop Header: Depth=1
	v_ashrrev_i32_e32 v4, 31, v0
	v_add_co_u32 v3, vcc_lo, s2, v0
	v_add_nc_u32_e32 v0, s3, v0
	s_delay_alu instid0(VALU_DEP_3) | instskip(NEXT) | instid1(VALU_DEP_2)
	v_add_co_ci_u32_e32 v4, vcc_lo, s1, v4, vcc_lo
	v_cmp_le_i32_e32 vcc_lo, s13, v0
	s_delay_alu instid0(VALU_DEP_2) | instskip(SKIP_1) | instid1(VALU_DEP_1)
	v_lshlrev_b64 v[3:4], 2, v[3:4]
	s_or_b32 s4, vcc_lo, s4
	v_add_co_u32 v5, s0, s8, v3
	s_delay_alu instid0(VALU_DEP_1) | instskip(SKIP_1) | instid1(VALU_DEP_1)
	v_add_co_ci_u32_e64 v6, s0, s9, v4, s0
	v_add_co_u32 v3, s0, s10, v3
	v_add_co_ci_u32_e64 v4, s0, s11, v4, s0
	global_store_b32 v[5:6], v2, off
	global_store_b32 v[3:4], v1, off
	s_and_not1_b32 exec_lo, exec_lo, s4
	s_cbranch_execnz .LBB85_31
.LBB85_32:
	s_nop 0
	s_sendmsg sendmsg(MSG_DEALLOC_VGPRS)
	s_endpgm
	.section	.rodata,"a",@progbits
	.p2align	6, 0x0
	.amdhsa_kernel _ZN5aiter20topk_softplus_kernelIf12hip_bfloat16Dv2_fLb1ELi2EEEvPKT_PKT0_PfPimiiif
		.amdhsa_group_segment_fixed_size 0
		.amdhsa_private_segment_fixed_size 0
		.amdhsa_kernarg_size 312
		.amdhsa_user_sgpr_count 15
		.amdhsa_user_sgpr_dispatch_ptr 0
		.amdhsa_user_sgpr_queue_ptr 0
		.amdhsa_user_sgpr_kernarg_segment_ptr 1
		.amdhsa_user_sgpr_dispatch_id 0
		.amdhsa_user_sgpr_private_segment_size 0
		.amdhsa_wavefront_size32 1
		.amdhsa_uses_dynamic_stack 0
		.amdhsa_enable_private_segment 0
		.amdhsa_system_sgpr_workgroup_id_x 1
		.amdhsa_system_sgpr_workgroup_id_y 0
		.amdhsa_system_sgpr_workgroup_id_z 0
		.amdhsa_system_sgpr_workgroup_info 0
		.amdhsa_system_vgpr_workitem_id 0
		.amdhsa_next_free_vgpr 15
		.amdhsa_next_free_sgpr 23
		.amdhsa_reserve_vcc 1
		.amdhsa_float_round_mode_32 0
		.amdhsa_float_round_mode_16_64 0
		.amdhsa_float_denorm_mode_32 3
		.amdhsa_float_denorm_mode_16_64 3
		.amdhsa_dx10_clamp 1
		.amdhsa_ieee_mode 1
		.amdhsa_fp16_overflow 0
		.amdhsa_workgroup_processor_mode 1
		.amdhsa_memory_ordered 1
		.amdhsa_forward_progress 0
		.amdhsa_shared_vgpr_count 0
		.amdhsa_exception_fp_ieee_invalid_op 0
		.amdhsa_exception_fp_denorm_src 0
		.amdhsa_exception_fp_ieee_div_zero 0
		.amdhsa_exception_fp_ieee_overflow 0
		.amdhsa_exception_fp_ieee_underflow 0
		.amdhsa_exception_fp_ieee_inexact 0
		.amdhsa_exception_int_div_zero 0
	.end_amdhsa_kernel
	.section	.text._ZN5aiter20topk_softplus_kernelIf12hip_bfloat16Dv2_fLb1ELi2EEEvPKT_PKT0_PfPimiiif,"axG",@progbits,_ZN5aiter20topk_softplus_kernelIf12hip_bfloat16Dv2_fLb1ELi2EEEvPKT_PKT0_PfPimiiif,comdat
.Lfunc_end85:
	.size	_ZN5aiter20topk_softplus_kernelIf12hip_bfloat16Dv2_fLb1ELi2EEEvPKT_PKT0_PfPimiiif, .Lfunc_end85-_ZN5aiter20topk_softplus_kernelIf12hip_bfloat16Dv2_fLb1ELi2EEEvPKT_PKT0_PfPimiiif
                                        ; -- End function
	.section	.AMDGPU.csdata,"",@progbits
; Kernel info:
; codeLenInByte = 1996
; NumSgprs: 25
; NumVgprs: 15
; ScratchSize: 0
; MemoryBound: 0
; FloatMode: 240
; IeeeMode: 1
; LDSByteSize: 0 bytes/workgroup (compile time only)
; SGPRBlocks: 3
; VGPRBlocks: 1
; NumSGPRsForWavesPerEU: 25
; NumVGPRsForWavesPerEU: 15
; Occupancy: 16
; WaveLimiterHint : 0
; COMPUTE_PGM_RSRC2:SCRATCH_EN: 0
; COMPUTE_PGM_RSRC2:USER_SGPR: 15
; COMPUTE_PGM_RSRC2:TRAP_HANDLER: 0
; COMPUTE_PGM_RSRC2:TGID_X_EN: 1
; COMPUTE_PGM_RSRC2:TGID_Y_EN: 0
; COMPUTE_PGM_RSRC2:TGID_Z_EN: 0
; COMPUTE_PGM_RSRC2:TIDIG_COMP_CNT: 0
	.section	.text._ZN5aiter20topk_softplus_kernelIf12hip_bfloat16Dv2_fLb0ELi2EEEvPKT_PKT0_PfPimiiif,"axG",@progbits,_ZN5aiter20topk_softplus_kernelIf12hip_bfloat16Dv2_fLb0ELi2EEEvPKT_PKT0_PfPimiiif,comdat
	.protected	_ZN5aiter20topk_softplus_kernelIf12hip_bfloat16Dv2_fLb0ELi2EEEvPKT_PKT0_PfPimiiif ; -- Begin function _ZN5aiter20topk_softplus_kernelIf12hip_bfloat16Dv2_fLb0ELi2EEEvPKT_PKT0_PfPimiiif
	.globl	_ZN5aiter20topk_softplus_kernelIf12hip_bfloat16Dv2_fLb0ELi2EEEvPKT_PKT0_PfPimiiif
	.p2align	8
	.type	_ZN5aiter20topk_softplus_kernelIf12hip_bfloat16Dv2_fLb0ELi2EEEvPKT_PKT0_PfPimiiif,@function
_ZN5aiter20topk_softplus_kernelIf12hip_bfloat16Dv2_fLb0ELi2EEEvPKT_PKT0_PfPimiiif: ; @_ZN5aiter20topk_softplus_kernelIf12hip_bfloat16Dv2_fLb0ELi2EEEvPKT_PKT0_PfPimiiif
; %bb.0:
	s_clause 0x1
	s_load_b64 s[12:13], s[0:1], 0x28
	s_load_b256 s[4:11], s[0:1], 0x0
	s_waitcnt lgkmcnt(0)
	s_lshr_b32 s2, s12, 31
	s_mul_i32 s16, s15, s12
	s_add_i32 s2, s12, s2
	s_ashr_i32 s17, s16, 31
	s_ashr_i32 s14, s2, 1
	s_delay_alu instid0(SALU_CYCLE_1) | instskip(NEXT) | instid1(VALU_DEP_1)
	v_cmp_gt_i32_e64 s2, s14, v0
	s_and_saveexec_b32 s18, s2
	s_cbranch_execz .LBB86_3
; %bb.1:
	s_load_b32 s3, s[0:1], 0x44
	v_dual_mov_b32 v4, v0 :: v_dual_lshlrev_b32 v1, 3, v0
	s_lshl_b64 s[20:21], s[16:17], 2
	s_delay_alu instid0(VALU_DEP_1)
	v_add_nc_u32_e32 v3, 0, v1
	s_waitcnt lgkmcnt(0)
	s_and_b32 s19, s3, 0xffff
	s_add_u32 s3, s4, s20
	s_addc_u32 s20, s5, s21
	v_add_co_u32 v1, s3, s3, v1
	s_delay_alu instid0(VALU_DEP_1)
	v_add_co_ci_u32_e64 v2, null, s20, 0, s3
	s_mov_b32 s20, 0
	s_lshl_b32 s21, s19, 3
.LBB86_2:                               ; =>This Inner Loop Header: Depth=1
	global_load_b64 v[5:6], v[1:2], off
	v_add_nc_u32_e32 v4, s19, v4
	v_add_co_u32 v1, vcc_lo, v1, s21
	v_add_co_ci_u32_e32 v2, vcc_lo, 0, v2, vcc_lo
	s_delay_alu instid0(VALU_DEP_3) | instskip(NEXT) | instid1(VALU_DEP_1)
	v_cmp_le_i32_e64 s3, s14, v4
	s_or_b32 s20, s3, s20
	s_waitcnt vmcnt(0)
	ds_store_b64 v3, v[5:6]
	v_add_nc_u32_e32 v3, s21, v3
	s_and_not1_b32 exec_lo, exec_lo, s20
	s_cbranch_execnz .LBB86_2
.LBB86_3:
	s_or_b32 exec_lo, exec_lo, s18
	v_lshl_add_u32 v1, s14, 1, v0
	s_mov_b32 s3, exec_lo
	s_delay_alu instid0(VALU_DEP_1)
	v_cmpx_gt_i32_e64 s12, v1
	s_cbranch_execz .LBB86_6
; %bb.4:
	s_load_b32 s18, s[0:1], 0x44
	s_lshl_b64 s[16:17], s[16:17], 2
	v_lshlrev_b32_e32 v2, 2, v0
	s_add_u32 s4, s4, s16
	s_addc_u32 s5, s5, s17
	s_lshl_b32 s16, s14, 3
	s_mov_b32 s17, 0
	v_add3_u32 v3, 0, s16, v2
	s_waitcnt lgkmcnt(0)
	s_and_b32 s16, s18, 0xffff
	s_delay_alu instid0(SALU_CYCLE_1)
	s_lshl_b32 s18, s16, 2
.LBB86_5:                               ; =>This Inner Loop Header: Depth=1
	v_ashrrev_i32_e32 v2, 31, v1
	s_delay_alu instid0(VALU_DEP_1) | instskip(SKIP_1) | instid1(VALU_DEP_2)
	v_lshlrev_b64 v[4:5], 2, v[1:2]
	v_add_nc_u32_e32 v1, s16, v1
	v_add_co_u32 v4, vcc_lo, s4, v4
	s_delay_alu instid0(VALU_DEP_3) | instskip(NEXT) | instid1(VALU_DEP_3)
	v_add_co_ci_u32_e32 v5, vcc_lo, s5, v5, vcc_lo
	v_cmp_le_i32_e32 vcc_lo, s12, v1
	global_load_b32 v2, v[4:5], off
	s_or_b32 s17, vcc_lo, s17
	s_waitcnt vmcnt(0)
	ds_store_b32 v3, v2
	v_add_nc_u32_e32 v3, s18, v3
	s_and_not1_b32 exec_lo, exec_lo, s17
	s_cbranch_execnz .LBB86_5
.LBB86_6:
	s_or_b32 exec_lo, exec_lo, s3
	v_cmp_gt_i32_e32 vcc_lo, s12, v0
	v_mov_b32_e32 v2, 0xff800000
	s_waitcnt lgkmcnt(0)
	s_barrier
	buffer_gl0_inv
	s_and_saveexec_b32 s4, vcc_lo
	s_cbranch_execz .LBB86_10
; %bb.7:
	s_load_b32 s3, s[0:1], 0x44
	v_lshl_add_u32 v1, v0, 2, 0
	v_dual_mov_b32 v2, 0xff800000 :: v_dual_mov_b32 v3, v0
	s_mov_b32 s5, 0
	s_waitcnt lgkmcnt(0)
	s_and_b32 s16, s3, 0xffff
	s_delay_alu instid0(SALU_CYCLE_1)
	s_lshl_b32 s17, s16, 2
.LBB86_8:                               ; =>This Inner Loop Header: Depth=1
	ds_load_b32 v4, v1
	v_dual_max_f32 v2, v2, v2 :: v_dual_add_nc_u32 v3, s16, v3
	v_add_nc_u32_e32 v1, s17, v1
	s_delay_alu instid0(VALU_DEP_2) | instskip(NEXT) | instid1(VALU_DEP_1)
	v_cmp_le_i32_e64 s3, s12, v3
	s_or_b32 s5, s3, s5
	s_waitcnt lgkmcnt(0)
	v_max_f32_e32 v4, v4, v4
	s_delay_alu instid0(VALU_DEP_1)
	v_max_f32_e32 v2, v2, v4
	s_and_not1_b32 exec_lo, exec_lo, s5
	s_cbranch_execnz .LBB86_8
; %bb.9:
	s_or_b32 exec_lo, exec_lo, s5
.LBB86_10:
	s_delay_alu instid0(SALU_CYCLE_1)
	s_or_b32 exec_lo, exec_lo, s4
	v_mov_b32_e32 v1, 0
	;;#ASMSTART
	v_max_f32 v3, v2, v2 quad_perm:[1,0,3,2] row_mask:0xf bank_mask:0xf bound_ctrl:1
	;;#ASMEND
	;;#ASMSTART
	v_max_f32 v2, v3, v3 quad_perm:[2,3,0,1] row_mask:0xf bank_mask:0xf bound_ctrl:1
	;;#ASMEND
	;;#ASMSTART
	v_max_f32 v3, v2, v2 row_half_mirror row_mask:0xf bank_mask:0xf bound_ctrl:1
	;;#ASMEND
	;;#ASMSTART
	v_max_f32 v2, v3, v3 row_mirror row_mask:0xf bank_mask:0xf bound_ctrl:1
	;;#ASMEND
	s_and_saveexec_b32 s4, vcc_lo
	s_cbranch_execz .LBB86_14
; %bb.11:
	s_load_b32 s3, s[0:1], 0x44
	s_mov_b32 s5, 0x76543210
	v_lshl_add_u32 v3, v0, 2, 0
	v_permlanex16_b32 v1, v2, s5, 0xfedcba98 op_sel:[1,1]
	v_mov_b32_e32 v4, v0
	s_mov_b32 s5, 0
	s_delay_alu instid0(VALU_DEP_2) | instskip(NEXT) | instid1(VALU_DEP_1)
	v_dual_max_f32 v2, v2, v2 :: v_dual_max_f32 v1, v1, v1
	v_dual_max_f32 v2, v2, v1 :: v_dual_mov_b32 v1, 0
	s_waitcnt lgkmcnt(0)
	s_and_b32 s16, s3, 0xffff
	s_delay_alu instid0(SALU_CYCLE_1)
	s_lshl_b32 s17, s16, 2
	.p2align	6
.LBB86_12:                              ; =>This Inner Loop Header: Depth=1
	ds_load_b32 v5, v3
	s_waitcnt lgkmcnt(0)
	v_dual_sub_f32 v5, v5, v2 :: v_dual_add_nc_u32 v4, s16, v4
	s_delay_alu instid0(VALU_DEP_1) | instskip(NEXT) | instid1(VALU_DEP_1)
	v_mul_f32_e32 v6, 0x3fb8aa3b, v5
	v_cmp_gt_f32_e64 s3, 0xc2fc0000, v6
	s_delay_alu instid0(VALU_DEP_1) | instskip(NEXT) | instid1(VALU_DEP_1)
	v_cndmask_b32_e64 v6, 0, 0x42800000, s3
	v_fmac_f32_e32 v6, 0x3fb8aa3b, v5
	s_delay_alu instid0(VALU_DEP_1) | instskip(SKIP_2) | instid1(VALU_DEP_1)
	v_exp_f32_e32 v5, v6
	v_cndmask_b32_e64 v6, 1.0, 0x1f800000, s3
	v_cmp_le_i32_e64 s3, s12, v4
	s_or_b32 s5, s3, s5
	s_waitcnt_depctr 0xfff
	v_mul_f32_e32 v7, v5, v6
	v_fmac_f32_e32 v1, v5, v6
	ds_store_b32 v3, v7
	v_add_nc_u32_e32 v3, s17, v3
	s_and_not1_b32 exec_lo, exec_lo, s5
	s_cbranch_execnz .LBB86_12
; %bb.13:
	s_or_b32 exec_lo, exec_lo, s5
.LBB86_14:
	s_delay_alu instid0(SALU_CYCLE_1) | instskip(SKIP_1) | instid1(VALU_DEP_1)
	s_or_b32 exec_lo, exec_lo, s4
	v_mov_b32_dpp v2, v1 quad_perm:[1,0,3,2] row_mask:0xf bank_mask:0xf
	v_add_f32_e32 v1, v1, v2
	s_delay_alu instid0(VALU_DEP_1) | instskip(NEXT) | instid1(VALU_DEP_1)
	v_mov_b32_dpp v2, v1 quad_perm:[2,3,0,1] row_mask:0xf bank_mask:0xf
	v_add_f32_e32 v1, v1, v2
	s_delay_alu instid0(VALU_DEP_1) | instskip(NEXT) | instid1(VALU_DEP_1)
	v_mov_b32_dpp v2, v1 row_xmask:7 row_mask:0xf bank_mask:0xf
	v_add_f32_e32 v1, v1, v2
	s_delay_alu instid0(VALU_DEP_1)
	v_mov_b32_dpp v2, v1 row_xmask:15 row_mask:0xf bank_mask:0xf
	s_and_saveexec_b32 s3, vcc_lo
	s_cbranch_execz .LBB86_19
; %bb.15:
	s_delay_alu instid0(VALU_DEP_1)
	v_add_f32_e32 v1, v1, v2
	s_load_b32 s5, s[0:1], 0x44
	s_mov_b32 s4, 0x76543210
	s_cmp_lg_u64 s[6:7], 0
	v_lshl_add_u32 v4, v0, 2, 0
	v_permlanex16_b32 v2, v1, s4, 0xfedcba98 op_sel:[1,1]
	s_cselect_b32 s4, -1, 0
	s_mov_b32 s16, 0
	s_delay_alu instid0(VALU_DEP_1) | instskip(NEXT) | instid1(VALU_DEP_1)
	v_add_f32_e32 v1, v1, v2
	v_rcp_f32_e32 v3, v1
	v_mov_b32_e32 v1, v0
	s_waitcnt lgkmcnt(0)
	s_and_b32 s5, s5, 0xffff
	s_delay_alu instid0(SALU_CYCLE_1)
	s_lshl_b32 s17, s5, 2
	s_set_inst_prefetch_distance 0x1
	s_branch .LBB86_17
	.p2align	6
.LBB86_16:                              ;   in Loop: Header=BB86_17 Depth=1
	v_add_nc_u32_e32 v1, s5, v1
	v_add_nc_u32_e32 v4, s17, v4
	s_delay_alu instid0(VALU_DEP_2) | instskip(SKIP_1) | instid1(SALU_CYCLE_1)
	v_cmp_le_i32_e32 vcc_lo, s12, v1
	s_or_b32 s16, vcc_lo, s16
	s_and_not1_b32 exec_lo, exec_lo, s16
	s_cbranch_execz .LBB86_19
.LBB86_17:                              ; =>This Inner Loop Header: Depth=1
	ds_load_b32 v2, v4
	s_and_not1_b32 vcc_lo, exec_lo, s4
	s_waitcnt lgkmcnt(0)
	v_mul_f32_e32 v5, v3, v2
	ds_store_b32 v4, v5
	s_cbranch_vccnz .LBB86_16
; %bb.18:                               ;   in Loop: Header=BB86_17 Depth=1
	v_ashrrev_i32_e32 v2, 31, v1
	s_delay_alu instid0(VALU_DEP_1) | instskip(NEXT) | instid1(VALU_DEP_1)
	v_lshlrev_b64 v[6:7], 1, v[1:2]
	v_add_co_u32 v6, vcc_lo, s6, v6
	s_delay_alu instid0(VALU_DEP_2) | instskip(SKIP_3) | instid1(VALU_DEP_1)
	v_add_co_ci_u32_e32 v7, vcc_lo, s7, v7, vcc_lo
	global_load_u16 v2, v[6:7], off
	s_waitcnt vmcnt(0)
	v_lshlrev_b32_e32 v2, 16, v2
	v_add_f32_e32 v2, v5, v2
	ds_store_b32 v4, v2
	s_branch .LBB86_16
.LBB86_19:
	s_set_inst_prefetch_distance 0x2
	s_or_b32 exec_lo, exec_lo, s3
	s_cmp_lt_i32 s13, 1
	s_waitcnt lgkmcnt(0)
	s_barrier
	buffer_gl0_inv
	s_cbranch_scc1 .LBB86_28
; %bb.20:
	s_add_u32 s4, s0, 56
	s_addc_u32 s5, s1, 0
	v_dual_mov_b32 v6, 0xff800000 :: v_dual_lshlrev_b32 v3, 1, v0
	v_lshl_add_u32 v4, v0, 3, 0
	v_dual_mov_b32 v5, 0 :: v_dual_mov_b32 v2, 0
	v_mov_b32_e32 v1, 0
	s_cmp_lg_u64 s[6:7], 0
	s_mov_b32 s18, 0
	s_cselect_b32 s12, -1, 0
	s_mov_b32 s19, 0x76543210
	s_branch .LBB86_22
.LBB86_21:                              ;   in Loop: Header=BB86_22 Depth=1
	v_cmp_eq_u32_e32 vcc_lo, s18, v0
	s_delay_alu instid0(VALU_DEP_2)
	s_lshl_b32 s3, s16, 2
	s_add_i32 s18, s18, 1
	s_add_i32 s3, s3, 0
	s_cmp_eq_u32 s18, s13
	v_cndmask_b32_e64 v1, v1, s16, vcc_lo
	v_dual_mov_b32 v7, s3 :: v_dual_cndmask_b32 v2, v2, v9
	ds_store_b32 v7, v6
	s_cbranch_scc1 .LBB86_29
.LBB86_22:                              ; =>This Loop Header: Depth=1
                                        ;     Child Loop BB86_24 Depth 2
	v_dual_mov_b32 v7, s18 :: v_dual_mov_b32 v8, 0xff800000
	s_and_saveexec_b32 s16, s2
	s_cbranch_execz .LBB86_26
; %bb.23:                               ;   in Loop: Header=BB86_22 Depth=1
	s_load_b32 s3, s[4:5], 0xc
	v_dual_mov_b32 v7, s18 :: v_dual_mov_b32 v8, 0xff800000
	v_dual_mov_b32 v9, v4 :: v_dual_mov_b32 v10, v3
	v_mov_b32_e32 v11, v0
	s_mov_b32 s21, 0
	s_waitcnt lgkmcnt(0)
	s_and_b32 s17, s3, 0xffff
	s_delay_alu instid0(SALU_CYCLE_1)
	s_lshl_b32 s20, s17, 1
	s_lshl_b32 s22, s17, 3
	.p2align	6
.LBB86_24:                              ;   Parent Loop BB86_22 Depth=1
                                        ; =>  This Inner Loop Header: Depth=2
	ds_load_b64 v[12:13], v9
	v_add_nc_u32_e32 v9, s22, v9
	v_add_nc_u32_e32 v11, s17, v11
	s_delay_alu instid0(VALU_DEP_1) | instskip(NEXT) | instid1(VALU_DEP_1)
	v_cmp_le_i32_e64 s3, s14, v11
	s_or_b32 s21, s3, s21
	s_waitcnt lgkmcnt(0)
	v_cmp_gt_f32_e32 vcc_lo, v12, v8
	v_cndmask_b32_e32 v8, v8, v12, vcc_lo
	v_add_nc_u32_e32 v12, 1, v10
	v_cndmask_b32_e32 v7, v7, v10, vcc_lo
	s_delay_alu instid0(VALU_DEP_3) | instskip(SKIP_1) | instid1(VALU_DEP_3)
	v_cmp_gt_f32_e32 vcc_lo, v13, v8
	v_cndmask_b32_e32 v8, v8, v13, vcc_lo
	v_dual_cndmask_b32 v7, v7, v12 :: v_dual_add_nc_u32 v10, s20, v10
	s_and_not1_b32 exec_lo, exec_lo, s21
	s_cbranch_execnz .LBB86_24
; %bb.25:                               ;   in Loop: Header=BB86_22 Depth=1
	s_or_b32 exec_lo, exec_lo, s21
.LBB86_26:                              ;   in Loop: Header=BB86_22 Depth=1
	s_delay_alu instid0(SALU_CYCLE_1)
	s_or_b32 exec_lo, exec_lo, s16
	;;#ASMSTART
	v_max_f32 v9, v8, v8 quad_perm:[1,0,3,2] row_mask:0xf bank_mask:0xf bound_ctrl:1
	;;#ASMEND
	;;#ASMSTART
	v_max_f32 v10, v9, v9 quad_perm:[2,3,0,1] row_mask:0xf bank_mask:0xf bound_ctrl:1
	;;#ASMEND
	;;#ASMSTART
	v_max_f32 v9, v10, v10 row_half_mirror row_mask:0xf bank_mask:0xf bound_ctrl:1
	;;#ASMEND
	;;#ASMSTART
	v_max_f32 v10, v9, v9 row_mirror row_mask:0xf bank_mask:0xf bound_ctrl:1
	;;#ASMEND
	v_permlanex16_b32 v9, v10, s19, 0xfedcba98 op_sel:[1,1]
	s_delay_alu instid0(VALU_DEP_1) | instskip(NEXT) | instid1(VALU_DEP_1)
	v_dual_max_f32 v10, v10, v10 :: v_dual_max_f32 v9, v9, v9
	v_max_f32_e32 v9, v10, v9
	s_delay_alu instid0(VALU_DEP_1)
	v_cmp_eq_f32_e32 vcc_lo, v8, v9
	s_ctz_i32_b32 s3, vcc_lo
	s_cmp_lg_u32 vcc_lo, 0
	s_cselect_b32 s3, s3, 0
	s_and_b32 vcc_lo, exec_lo, s12
	v_readlane_b32 s16, v7, s3
	s_cbranch_vccz .LBB86_21
; %bb.27:                               ;   in Loop: Header=BB86_22 Depth=1
	s_delay_alu instid0(VALU_DEP_1) | instskip(NEXT) | instid1(SALU_CYCLE_1)
	s_ashr_i32 s17, s16, 31
	s_lshl_b64 s[20:21], s[16:17], 1
	s_delay_alu instid0(SALU_CYCLE_1) | instskip(SKIP_4) | instid1(VALU_DEP_1)
	s_add_u32 s20, s6, s20
	s_addc_u32 s21, s7, s21
	global_load_u16 v7, v5, s[20:21]
	s_waitcnt vmcnt(0)
	v_lshlrev_b32_e32 v7, 16, v7
	v_sub_f32_e32 v9, v9, v7
	s_branch .LBB86_21
.LBB86_28:
	v_dual_mov_b32 v2, 0 :: v_dual_mov_b32 v1, 0
.LBB86_29:
	s_mov_b32 s2, exec_lo
	v_cmpx_gt_i32_e64 s13, v0
	s_cbranch_execz .LBB86_32
; %bb.30:
	s_clause 0x2
	s_load_b32 s4, s[0:1], 0x34
	s_load_b64 s[2:3], s[0:1], 0x20
	s_load_b32 s0, s[0:1], 0x44
	s_ashr_i32 s1, s15, 31
	s_waitcnt lgkmcnt(0)
	v_mul_f32_e32 v2, s4, v2
	s_mul_i32 s3, s15, s3
	s_mul_hi_u32 s4, s15, s2
	s_mul_i32 s5, s1, s2
	s_add_i32 s3, s4, s3
	s_mul_i32 s1, s15, s2
	s_and_b32 s2, s0, 0xffff
	s_add_i32 s3, s3, s5
	s_mov_b32 s4, 0
	.p2align	6
.LBB86_31:                              ; =>This Inner Loop Header: Depth=1
	v_ashrrev_i32_e32 v4, 31, v0
	v_add_co_u32 v3, vcc_lo, s1, v0
	v_add_nc_u32_e32 v0, s2, v0
	s_delay_alu instid0(VALU_DEP_3) | instskip(NEXT) | instid1(VALU_DEP_2)
	v_add_co_ci_u32_e32 v4, vcc_lo, s3, v4, vcc_lo
	v_cmp_le_i32_e32 vcc_lo, s13, v0
	s_delay_alu instid0(VALU_DEP_2) | instskip(SKIP_1) | instid1(VALU_DEP_1)
	v_lshlrev_b64 v[3:4], 2, v[3:4]
	s_or_b32 s4, vcc_lo, s4
	v_add_co_u32 v5, s0, s8, v3
	s_delay_alu instid0(VALU_DEP_1) | instskip(SKIP_1) | instid1(VALU_DEP_1)
	v_add_co_ci_u32_e64 v6, s0, s9, v4, s0
	v_add_co_u32 v3, s0, s10, v3
	v_add_co_ci_u32_e64 v4, s0, s11, v4, s0
	global_store_b32 v[5:6], v2, off
	global_store_b32 v[3:4], v1, off
	s_and_not1_b32 exec_lo, exec_lo, s4
	s_cbranch_execnz .LBB86_31
.LBB86_32:
	s_nop 0
	s_sendmsg sendmsg(MSG_DEALLOC_VGPRS)
	s_endpgm
	.section	.rodata,"a",@progbits
	.p2align	6, 0x0
	.amdhsa_kernel _ZN5aiter20topk_softplus_kernelIf12hip_bfloat16Dv2_fLb0ELi2EEEvPKT_PKT0_PfPimiiif
		.amdhsa_group_segment_fixed_size 0
		.amdhsa_private_segment_fixed_size 0
		.amdhsa_kernarg_size 312
		.amdhsa_user_sgpr_count 15
		.amdhsa_user_sgpr_dispatch_ptr 0
		.amdhsa_user_sgpr_queue_ptr 0
		.amdhsa_user_sgpr_kernarg_segment_ptr 1
		.amdhsa_user_sgpr_dispatch_id 0
		.amdhsa_user_sgpr_private_segment_size 0
		.amdhsa_wavefront_size32 1
		.amdhsa_uses_dynamic_stack 0
		.amdhsa_enable_private_segment 0
		.amdhsa_system_sgpr_workgroup_id_x 1
		.amdhsa_system_sgpr_workgroup_id_y 0
		.amdhsa_system_sgpr_workgroup_id_z 0
		.amdhsa_system_sgpr_workgroup_info 0
		.amdhsa_system_vgpr_workitem_id 0
		.amdhsa_next_free_vgpr 14
		.amdhsa_next_free_sgpr 23
		.amdhsa_reserve_vcc 1
		.amdhsa_float_round_mode_32 0
		.amdhsa_float_round_mode_16_64 0
		.amdhsa_float_denorm_mode_32 3
		.amdhsa_float_denorm_mode_16_64 3
		.amdhsa_dx10_clamp 1
		.amdhsa_ieee_mode 1
		.amdhsa_fp16_overflow 0
		.amdhsa_workgroup_processor_mode 1
		.amdhsa_memory_ordered 1
		.amdhsa_forward_progress 0
		.amdhsa_shared_vgpr_count 0
		.amdhsa_exception_fp_ieee_invalid_op 0
		.amdhsa_exception_fp_denorm_src 0
		.amdhsa_exception_fp_ieee_div_zero 0
		.amdhsa_exception_fp_ieee_overflow 0
		.amdhsa_exception_fp_ieee_underflow 0
		.amdhsa_exception_fp_ieee_inexact 0
		.amdhsa_exception_int_div_zero 0
	.end_amdhsa_kernel
	.section	.text._ZN5aiter20topk_softplus_kernelIf12hip_bfloat16Dv2_fLb0ELi2EEEvPKT_PKT0_PfPimiiif,"axG",@progbits,_ZN5aiter20topk_softplus_kernelIf12hip_bfloat16Dv2_fLb0ELi2EEEvPKT_PKT0_PfPimiiif,comdat
.Lfunc_end86:
	.size	_ZN5aiter20topk_softplus_kernelIf12hip_bfloat16Dv2_fLb0ELi2EEEvPKT_PKT0_PfPimiiif, .Lfunc_end86-_ZN5aiter20topk_softplus_kernelIf12hip_bfloat16Dv2_fLb0ELi2EEEvPKT_PKT0_PfPimiiif
                                        ; -- End function
	.section	.AMDGPU.csdata,"",@progbits
; Kernel info:
; codeLenInByte = 1872
; NumSgprs: 25
; NumVgprs: 14
; ScratchSize: 0
; MemoryBound: 0
; FloatMode: 240
; IeeeMode: 1
; LDSByteSize: 0 bytes/workgroup (compile time only)
; SGPRBlocks: 3
; VGPRBlocks: 1
; NumSGPRsForWavesPerEU: 25
; NumVGPRsForWavesPerEU: 14
; Occupancy: 16
; WaveLimiterHint : 0
; COMPUTE_PGM_RSRC2:SCRATCH_EN: 0
; COMPUTE_PGM_RSRC2:USER_SGPR: 15
; COMPUTE_PGM_RSRC2:TRAP_HANDLER: 0
; COMPUTE_PGM_RSRC2:TGID_X_EN: 1
; COMPUTE_PGM_RSRC2:TGID_Y_EN: 0
; COMPUTE_PGM_RSRC2:TGID_Z_EN: 0
; COMPUTE_PGM_RSRC2:TIDIG_COMP_CNT: 0
	.section	.text._ZN5aiter20topk_softplus_kernelIf12hip_bfloat16Dv1_fLb1ELi2EEEvPKT_PKT0_PfPimiiif,"axG",@progbits,_ZN5aiter20topk_softplus_kernelIf12hip_bfloat16Dv1_fLb1ELi2EEEvPKT_PKT0_PfPimiiif,comdat
	.protected	_ZN5aiter20topk_softplus_kernelIf12hip_bfloat16Dv1_fLb1ELi2EEEvPKT_PKT0_PfPimiiif ; -- Begin function _ZN5aiter20topk_softplus_kernelIf12hip_bfloat16Dv1_fLb1ELi2EEEvPKT_PKT0_PfPimiiif
	.globl	_ZN5aiter20topk_softplus_kernelIf12hip_bfloat16Dv1_fLb1ELi2EEEvPKT_PKT0_PfPimiiif
	.p2align	8
	.type	_ZN5aiter20topk_softplus_kernelIf12hip_bfloat16Dv1_fLb1ELi2EEEvPKT_PKT0_PfPimiiif,@function
_ZN5aiter20topk_softplus_kernelIf12hip_bfloat16Dv1_fLb1ELi2EEEvPKT_PKT0_PfPimiiif: ; @_ZN5aiter20topk_softplus_kernelIf12hip_bfloat16Dv1_fLb1ELi2EEEvPKT_PKT0_PfPimiiif
; %bb.0:
	s_clause 0x1
	s_load_b64 s[12:13], s[0:1], 0x28
	s_load_b256 s[4:11], s[0:1], 0x0
	v_lshl_add_u32 v3, v0, 2, 0
	s_waitcnt lgkmcnt(0)
	s_mul_i32 s16, s15, s12
	v_cmp_gt_i32_e64 s2, s12, v0
	s_ashr_i32 s17, s16, 31
	s_delay_alu instid0(SALU_CYCLE_1) | instskip(NEXT) | instid1(SALU_CYCLE_1)
	s_lshl_b64 s[16:17], s[16:17], 2
	s_add_u32 s3, s4, s16
	s_addc_u32 s4, s5, s17
	s_and_saveexec_b32 s5, s2
	s_cbranch_execz .LBB87_3
; %bb.1:
	s_load_b32 s14, s[0:1], 0x44
	v_lshl_add_u32 v4, v0, 2, 0
	v_mov_b32_e32 v1, v0
	s_mov_b32 s16, 0
	s_waitcnt lgkmcnt(0)
	s_and_b32 s14, s14, 0xffff
	s_delay_alu instid0(SALU_CYCLE_1)
	s_lshl_b32 s17, s14, 2
.LBB87_2:                               ; =>This Inner Loop Header: Depth=1
	v_ashrrev_i32_e32 v2, 31, v1
	s_delay_alu instid0(VALU_DEP_1) | instskip(SKIP_1) | instid1(VALU_DEP_2)
	v_lshlrev_b64 v[5:6], 2, v[1:2]
	v_add_nc_u32_e32 v1, s14, v1
	v_add_co_u32 v5, vcc_lo, s3, v5
	s_delay_alu instid0(VALU_DEP_3) | instskip(NEXT) | instid1(VALU_DEP_3)
	v_add_co_ci_u32_e32 v6, vcc_lo, s4, v6, vcc_lo
	v_cmp_le_i32_e32 vcc_lo, s12, v1
	global_load_b32 v2, v[5:6], off
	s_or_b32 s16, vcc_lo, s16
	s_waitcnt vmcnt(0)
	ds_store_b32 v4, v2
	v_add_nc_u32_e32 v4, s17, v4
	s_and_not1_b32 exec_lo, exec_lo, s16
	s_cbranch_execnz .LBB87_2
.LBB87_3:
	s_or_b32 exec_lo, exec_lo, s5
	v_add_nc_u32_e32 v1, s12, v0
	s_mov_b32 s5, exec_lo
	s_delay_alu instid0(VALU_DEP_1)
	v_cmpx_gt_i32_e64 s12, v1
	s_cbranch_execz .LBB87_6
; %bb.4:
	s_load_b32 s14, s[0:1], 0x44
	v_lshl_add_u32 v4, v1, 2, 0
	s_mov_b32 s16, 0
	s_waitcnt lgkmcnt(0)
	s_and_b32 s14, s14, 0xffff
	s_delay_alu instid0(SALU_CYCLE_1)
	s_lshl_b32 s17, s14, 2
.LBB87_5:                               ; =>This Inner Loop Header: Depth=1
	v_ashrrev_i32_e32 v2, 31, v1
	s_delay_alu instid0(VALU_DEP_1) | instskip(SKIP_1) | instid1(VALU_DEP_2)
	v_lshlrev_b64 v[5:6], 2, v[1:2]
	v_add_nc_u32_e32 v1, s14, v1
	v_add_co_u32 v5, vcc_lo, s3, v5
	s_delay_alu instid0(VALU_DEP_3) | instskip(NEXT) | instid1(VALU_DEP_3)
	v_add_co_ci_u32_e32 v6, vcc_lo, s4, v6, vcc_lo
	v_cmp_le_i32_e32 vcc_lo, s12, v1
	global_load_b32 v2, v[5:6], off
	s_or_b32 s16, vcc_lo, s16
	s_waitcnt vmcnt(0)
	ds_store_b32 v4, v2
	v_add_nc_u32_e32 v4, s17, v4
	s_and_not1_b32 exec_lo, exec_lo, s16
	s_cbranch_execnz .LBB87_5
.LBB87_6:
	s_or_b32 exec_lo, exec_lo, s5
	v_mov_b32_e32 v2, 0xff800000
	s_waitcnt lgkmcnt(0)
	s_barrier
	buffer_gl0_inv
	s_and_saveexec_b32 s3, s2
	s_cbranch_execz .LBB87_10
; %bb.7:
	s_load_b32 s4, s[0:1], 0x44
	v_lshl_add_u32 v1, v0, 2, 0
	v_mov_b32_e32 v2, 0xff800000
	v_mov_b32_e32 v4, v0
	s_waitcnt lgkmcnt(0)
	s_and_b32 s5, s4, 0xffff
	s_mov_b32 s4, 0
	s_lshl_b32 s14, s5, 2
.LBB87_8:                               ; =>This Inner Loop Header: Depth=1
	ds_load_b32 v5, v1
	v_add_nc_u32_e32 v4, s5, v4
	v_dual_max_f32 v2, v2, v2 :: v_dual_add_nc_u32 v1, s14, v1
	s_waitcnt lgkmcnt(0)
	v_max_f32_e32 v5, v5, v5
	s_delay_alu instid0(VALU_DEP_3) | instskip(NEXT) | instid1(VALU_DEP_2)
	v_cmp_le_i32_e32 vcc_lo, s12, v4
	v_max_f32_e32 v2, v2, v5
	s_or_b32 s4, vcc_lo, s4
	s_delay_alu instid0(SALU_CYCLE_1)
	s_and_not1_b32 exec_lo, exec_lo, s4
	s_cbranch_execnz .LBB87_8
; %bb.9:
	s_or_b32 exec_lo, exec_lo, s4
.LBB87_10:
	s_delay_alu instid0(SALU_CYCLE_1)
	s_or_b32 exec_lo, exec_lo, s3
	v_mov_b32_e32 v1, 0
	;;#ASMSTART
	v_max_f32 v4, v2, v2 quad_perm:[1,0,3,2] row_mask:0xf bank_mask:0xf bound_ctrl:1
	;;#ASMEND
	;;#ASMSTART
	v_max_f32 v2, v4, v4 quad_perm:[2,3,0,1] row_mask:0xf bank_mask:0xf bound_ctrl:1
	;;#ASMEND
	;;#ASMSTART
	v_max_f32 v4, v2, v2 row_half_mirror row_mask:0xf bank_mask:0xf bound_ctrl:1
	;;#ASMEND
	;;#ASMSTART
	v_max_f32 v2, v4, v4 row_mirror row_mask:0xf bank_mask:0xf bound_ctrl:1
	;;#ASMEND
	s_and_saveexec_b32 s3, s2
	s_cbranch_execz .LBB87_14
; %bb.11:
	s_load_b32 s4, s[0:1], 0x44
	s_mov_b32 s5, 0x76543210
	v_lshl_add_u32 v4, v0, 2, 0
	v_permlanex16_b32 v1, v2, s5, 0xfedcba98 op_sel:[1,1]
	v_dual_mov_b32 v5, v0 :: v_dual_max_f32 v2, v2, v2
	s_delay_alu instid0(VALU_DEP_2) | instskip(NEXT) | instid1(VALU_DEP_1)
	v_max_f32_e32 v1, v1, v1
	v_dual_max_f32 v2, v2, v1 :: v_dual_mov_b32 v1, 0
	s_waitcnt lgkmcnt(0)
	s_and_b32 s5, s4, 0xffff
	s_mov_b32 s4, 0
	s_lshl_b32 s14, s5, 2
	.p2align	6
.LBB87_12:                              ; =>This Inner Loop Header: Depth=1
	ds_load_b32 v6, v4
	s_waitcnt lgkmcnt(0)
	v_dual_sub_f32 v6, v6, v2 :: v_dual_add_nc_u32 v5, s5, v5
	s_delay_alu instid0(VALU_DEP_1) | instskip(NEXT) | instid1(VALU_DEP_1)
	v_mul_f32_e32 v7, 0x3fb8aa3b, v6
	v_cmp_gt_f32_e32 vcc_lo, 0xc2fc0000, v7
	v_cndmask_b32_e64 v7, 0, 0x42800000, vcc_lo
	s_delay_alu instid0(VALU_DEP_1) | instskip(NEXT) | instid1(VALU_DEP_1)
	v_fmac_f32_e32 v7, 0x3fb8aa3b, v6
	v_exp_f32_e32 v6, v7
	v_cndmask_b32_e64 v7, 1.0, 0x1f800000, vcc_lo
	v_cmp_le_i32_e32 vcc_lo, s12, v5
	s_or_b32 s4, vcc_lo, s4
	s_waitcnt_depctr 0xfff
	v_mul_f32_e32 v8, v6, v7
	v_fmac_f32_e32 v1, v6, v7
	ds_store_b32 v4, v8
	v_add_nc_u32_e32 v4, s14, v4
	s_and_not1_b32 exec_lo, exec_lo, s4
	s_cbranch_execnz .LBB87_12
; %bb.13:
	s_or_b32 exec_lo, exec_lo, s4
.LBB87_14:
	s_delay_alu instid0(SALU_CYCLE_1) | instskip(SKIP_1) | instid1(VALU_DEP_1)
	s_or_b32 exec_lo, exec_lo, s3
	v_mov_b32_dpp v2, v1 quad_perm:[1,0,3,2] row_mask:0xf bank_mask:0xf
	v_add_f32_e32 v1, v1, v2
	s_delay_alu instid0(VALU_DEP_1) | instskip(NEXT) | instid1(VALU_DEP_1)
	v_mov_b32_dpp v2, v1 quad_perm:[2,3,0,1] row_mask:0xf bank_mask:0xf
	v_add_f32_e32 v1, v1, v2
	s_delay_alu instid0(VALU_DEP_1) | instskip(NEXT) | instid1(VALU_DEP_1)
	v_mov_b32_dpp v2, v1 row_xmask:7 row_mask:0xf bank_mask:0xf
	v_add_f32_e32 v1, v1, v2
	s_delay_alu instid0(VALU_DEP_1)
	v_mov_b32_dpp v2, v1 row_xmask:15 row_mask:0xf bank_mask:0xf
	s_and_saveexec_b32 s3, s2
	s_cbranch_execz .LBB87_19
; %bb.15:
	s_delay_alu instid0(VALU_DEP_1)
	v_add_f32_e32 v1, v1, v2
	s_load_b32 s5, s[0:1], 0x44
	s_mov_b32 s4, 0x76543210
	s_cmp_lg_u64 s[6:7], 0
	v_lshl_add_u32 v5, v0, 2, 0
	v_permlanex16_b32 v2, v1, s4, 0xfedcba98 op_sel:[1,1]
	s_cselect_b32 s4, -1, 0
	s_mov_b32 s14, 0
	s_delay_alu instid0(VALU_DEP_1) | instskip(NEXT) | instid1(VALU_DEP_1)
	v_add_f32_e32 v1, v1, v2
	v_rcp_f32_e32 v4, v1
	v_mov_b32_e32 v1, v0
	s_waitcnt lgkmcnt(0)
	s_and_b32 s5, s5, 0xffff
	s_delay_alu instid0(SALU_CYCLE_1)
	s_lshl_b32 s16, s5, 2
	s_set_inst_prefetch_distance 0x1
	s_branch .LBB87_17
	.p2align	6
.LBB87_16:                              ;   in Loop: Header=BB87_17 Depth=1
	v_add_nc_u32_e32 v1, s5, v1
	v_add_nc_u32_e32 v5, s16, v5
	s_delay_alu instid0(VALU_DEP_2) | instskip(SKIP_1) | instid1(SALU_CYCLE_1)
	v_cmp_le_i32_e32 vcc_lo, s12, v1
	s_or_b32 s14, vcc_lo, s14
	s_and_not1_b32 exec_lo, exec_lo, s14
	s_cbranch_execz .LBB87_19
.LBB87_17:                              ; =>This Inner Loop Header: Depth=1
	ds_load_b32 v2, v5
	s_and_not1_b32 vcc_lo, exec_lo, s4
	s_waitcnt lgkmcnt(0)
	v_mul_f32_e32 v6, v4, v2
	ds_store_b32 v5, v6
	s_cbranch_vccnz .LBB87_16
; %bb.18:                               ;   in Loop: Header=BB87_17 Depth=1
	v_ashrrev_i32_e32 v2, 31, v1
	s_delay_alu instid0(VALU_DEP_1) | instskip(NEXT) | instid1(VALU_DEP_1)
	v_lshlrev_b64 v[7:8], 1, v[1:2]
	v_add_co_u32 v7, vcc_lo, s6, v7
	s_delay_alu instid0(VALU_DEP_2) | instskip(SKIP_3) | instid1(VALU_DEP_1)
	v_add_co_ci_u32_e32 v8, vcc_lo, s7, v8, vcc_lo
	global_load_u16 v2, v[7:8], off
	s_waitcnt vmcnt(0)
	v_lshlrev_b32_e32 v2, 16, v2
	v_add_f32_e32 v2, v6, v2
	ds_store_b32 v5, v2
	s_branch .LBB87_16
.LBB87_19:
	s_set_inst_prefetch_distance 0x2
	s_or_b32 exec_lo, exec_lo, s3
	v_mov_b32_e32 v2, 0
	s_cmp_lt_i32 s13, 1
	s_waitcnt lgkmcnt(0)
	s_barrier
	buffer_gl0_inv
	s_cbranch_scc1 .LBB87_28
; %bb.20:
	s_add_u32 s4, s0, 56
	s_addc_u32 s5, s1, 0
	v_dual_mov_b32 v2, 0 :: v_dual_mov_b32 v5, 0
	v_dual_mov_b32 v6, 0xff800000 :: v_dual_mov_b32 v1, 0
	v_mov_b32_e32 v4, 0
	s_cmp_lg_u64 s[6:7], 0
	s_mov_b32 s14, 0
	s_cselect_b32 s3, -1, 0
	s_mov_b32 s18, 0x76543210
	s_branch .LBB87_22
.LBB87_21:                              ;   in Loop: Header=BB87_22 Depth=1
	v_cmp_eq_u32_e32 vcc_lo, s14, v0
	s_delay_alu instid0(VALU_DEP_2) | instskip(NEXT) | instid1(VALU_DEP_2)
	s_lshl_b32 s17, s16, 2
	v_add_f32_e32 v4, v4, v9
	s_add_i32 s17, s17, 0
	s_add_i32 s14, s14, 1
	v_cndmask_b32_e64 v1, v1, s16, vcc_lo
	v_dual_mov_b32 v7, s17 :: v_dual_cndmask_b32 v2, v2, v9
	s_cmp_eq_u32 s14, s13
	ds_store_b32 v7, v6
	s_cbranch_scc1 .LBB87_29
.LBB87_22:                              ; =>This Loop Header: Depth=1
                                        ;     Child Loop BB87_24 Depth 2
	v_dual_mov_b32 v7, s14 :: v_dual_mov_b32 v8, 0xff800000
	s_and_saveexec_b32 s16, s2
	s_cbranch_execz .LBB87_26
; %bb.23:                               ;   in Loop: Header=BB87_22 Depth=1
	s_load_b32 s17, s[4:5], 0xc
	v_dual_mov_b32 v7, s14 :: v_dual_mov_b32 v8, 0xff800000
	v_dual_mov_b32 v9, v3 :: v_dual_mov_b32 v10, v0
	s_mov_b32 s19, 0
	s_waitcnt lgkmcnt(0)
	s_and_b32 s17, s17, 0xffff
	s_delay_alu instid0(SALU_CYCLE_1)
	s_lshl_b32 s20, s17, 2
.LBB87_24:                              ;   Parent Loop BB87_22 Depth=1
                                        ; =>  This Inner Loop Header: Depth=2
	ds_load_b32 v11, v9
	v_add_nc_u32_e32 v9, s20, v9
	s_waitcnt lgkmcnt(0)
	v_cmp_gt_f32_e32 vcc_lo, v11, v8
	v_dual_cndmask_b32 v8, v8, v11 :: v_dual_cndmask_b32 v7, v7, v10
	v_add_nc_u32_e32 v10, s17, v10
	s_delay_alu instid0(VALU_DEP_1) | instskip(SKIP_1) | instid1(SALU_CYCLE_1)
	v_cmp_le_i32_e32 vcc_lo, s12, v10
	s_or_b32 s19, vcc_lo, s19
	s_and_not1_b32 exec_lo, exec_lo, s19
	s_cbranch_execnz .LBB87_24
; %bb.25:                               ;   in Loop: Header=BB87_22 Depth=1
	s_or_b32 exec_lo, exec_lo, s19
.LBB87_26:                              ;   in Loop: Header=BB87_22 Depth=1
	s_delay_alu instid0(SALU_CYCLE_1)
	s_or_b32 exec_lo, exec_lo, s16
	;;#ASMSTART
	v_max_f32 v9, v8, v8 quad_perm:[1,0,3,2] row_mask:0xf bank_mask:0xf bound_ctrl:1
	;;#ASMEND
	;;#ASMSTART
	v_max_f32 v10, v9, v9 quad_perm:[2,3,0,1] row_mask:0xf bank_mask:0xf bound_ctrl:1
	;;#ASMEND
	;;#ASMSTART
	v_max_f32 v9, v10, v10 row_half_mirror row_mask:0xf bank_mask:0xf bound_ctrl:1
	;;#ASMEND
	;;#ASMSTART
	v_max_f32 v10, v9, v9 row_mirror row_mask:0xf bank_mask:0xf bound_ctrl:1
	;;#ASMEND
	v_permlanex16_b32 v9, v10, s18, 0xfedcba98 op_sel:[1,1]
	s_delay_alu instid0(VALU_DEP_1) | instskip(NEXT) | instid1(VALU_DEP_1)
	v_dual_max_f32 v10, v10, v10 :: v_dual_max_f32 v9, v9, v9
	v_max_f32_e32 v9, v10, v9
	s_delay_alu instid0(VALU_DEP_1)
	v_cmp_eq_f32_e32 vcc_lo, v8, v9
	s_ctz_i32_b32 s16, vcc_lo
	s_cmp_lg_u32 vcc_lo, 0
	s_cselect_b32 s16, s16, 0
	s_and_b32 vcc_lo, exec_lo, s3
	v_readlane_b32 s16, v7, s16
	s_cbranch_vccz .LBB87_21
; %bb.27:                               ;   in Loop: Header=BB87_22 Depth=1
	s_delay_alu instid0(VALU_DEP_1) | instskip(NEXT) | instid1(SALU_CYCLE_1)
	s_ashr_i32 s17, s16, 31
	s_lshl_b64 s[20:21], s[16:17], 1
	s_delay_alu instid0(SALU_CYCLE_1) | instskip(SKIP_4) | instid1(VALU_DEP_1)
	s_add_u32 s20, s6, s20
	s_addc_u32 s21, s7, s21
	global_load_u16 v7, v5, s[20:21]
	s_waitcnt vmcnt(0)
	v_lshlrev_b32_e32 v7, 16, v7
	v_sub_f32_e32 v9, v9, v7
	s_branch .LBB87_21
.LBB87_28:
	v_dual_mov_b32 v1, 0 :: v_dual_mov_b32 v4, 0
.LBB87_29:
	s_mov_b32 s2, exec_lo
	v_cmpx_gt_i32_e64 s13, v0
	s_cbranch_execz .LBB87_32
; %bb.30:
	s_clause 0x1
	s_load_b32 s2, s[0:1], 0x34
	s_load_b32 s3, s[0:1], 0x44
	v_max_f32_e32 v3, v4, v4
	s_load_b64 s[0:1], s[0:1], 0x20
	s_ashr_i32 s4, s15, 31
	s_delay_alu instid0(VALU_DEP_1) | instskip(SKIP_1) | instid1(VALU_DEP_1)
	v_max_f32_e32 v3, 0x1e3ce508, v3
	s_waitcnt lgkmcnt(0)
	v_div_scale_f32 v4, null, v3, v3, s2
	v_div_scale_f32 v7, vcc_lo, s2, v3, s2
	s_mul_i32 s1, s15, s1
	s_delay_alu instid0(VALU_DEP_2) | instskip(SKIP_4) | instid1(VALU_DEP_1)
	v_rcp_f32_e32 v5, v4
	s_mul_i32 s4, s4, s0
	s_and_b32 s3, s3, 0xffff
	s_waitcnt_depctr 0xfff
	v_fma_f32 v6, -v4, v5, 1.0
	v_fmac_f32_e32 v5, v6, v5
	s_delay_alu instid0(VALU_DEP_1) | instskip(NEXT) | instid1(VALU_DEP_1)
	v_mul_f32_e32 v6, v7, v5
	v_fma_f32 v8, -v4, v6, v7
	s_delay_alu instid0(VALU_DEP_1) | instskip(NEXT) | instid1(VALU_DEP_1)
	v_fmac_f32_e32 v6, v8, v5
	v_fma_f32 v4, -v4, v6, v7
	s_delay_alu instid0(VALU_DEP_1) | instskip(NEXT) | instid1(VALU_DEP_1)
	v_div_fmas_f32 v4, v4, v5, v6
	v_div_fixup_f32 v3, v4, v3, s2
	s_mul_hi_u32 s2, s15, s0
	s_delay_alu instid0(SALU_CYCLE_1) | instskip(SKIP_1) | instid1(VALU_DEP_1)
	s_add_i32 s1, s2, s1
	s_mul_i32 s2, s15, s0
	v_mul_f32_e32 v2, v2, v3
	s_add_i32 s1, s1, s4
	s_mov_b32 s4, 0
	.p2align	6
.LBB87_31:                              ; =>This Inner Loop Header: Depth=1
	v_ashrrev_i32_e32 v4, 31, v0
	v_add_co_u32 v3, vcc_lo, s2, v0
	v_add_nc_u32_e32 v0, s3, v0
	s_delay_alu instid0(VALU_DEP_3) | instskip(NEXT) | instid1(VALU_DEP_2)
	v_add_co_ci_u32_e32 v4, vcc_lo, s1, v4, vcc_lo
	v_cmp_le_i32_e32 vcc_lo, s13, v0
	s_delay_alu instid0(VALU_DEP_2) | instskip(SKIP_1) | instid1(VALU_DEP_1)
	v_lshlrev_b64 v[3:4], 2, v[3:4]
	s_or_b32 s4, vcc_lo, s4
	v_add_co_u32 v5, s0, s8, v3
	s_delay_alu instid0(VALU_DEP_1) | instskip(SKIP_1) | instid1(VALU_DEP_1)
	v_add_co_ci_u32_e64 v6, s0, s9, v4, s0
	v_add_co_u32 v3, s0, s10, v3
	v_add_co_ci_u32_e64 v4, s0, s11, v4, s0
	global_store_b32 v[5:6], v2, off
	global_store_b32 v[3:4], v1, off
	s_and_not1_b32 exec_lo, exec_lo, s4
	s_cbranch_execnz .LBB87_31
.LBB87_32:
	s_nop 0
	s_sendmsg sendmsg(MSG_DEALLOC_VGPRS)
	s_endpgm
	.section	.rodata,"a",@progbits
	.p2align	6, 0x0
	.amdhsa_kernel _ZN5aiter20topk_softplus_kernelIf12hip_bfloat16Dv1_fLb1ELi2EEEvPKT_PKT0_PfPimiiif
		.amdhsa_group_segment_fixed_size 0
		.amdhsa_private_segment_fixed_size 0
		.amdhsa_kernarg_size 312
		.amdhsa_user_sgpr_count 15
		.amdhsa_user_sgpr_dispatch_ptr 0
		.amdhsa_user_sgpr_queue_ptr 0
		.amdhsa_user_sgpr_kernarg_segment_ptr 1
		.amdhsa_user_sgpr_dispatch_id 0
		.amdhsa_user_sgpr_private_segment_size 0
		.amdhsa_wavefront_size32 1
		.amdhsa_uses_dynamic_stack 0
		.amdhsa_enable_private_segment 0
		.amdhsa_system_sgpr_workgroup_id_x 1
		.amdhsa_system_sgpr_workgroup_id_y 0
		.amdhsa_system_sgpr_workgroup_id_z 0
		.amdhsa_system_sgpr_workgroup_info 0
		.amdhsa_system_vgpr_workitem_id 0
		.amdhsa_next_free_vgpr 12
		.amdhsa_next_free_sgpr 22
		.amdhsa_reserve_vcc 1
		.amdhsa_float_round_mode_32 0
		.amdhsa_float_round_mode_16_64 0
		.amdhsa_float_denorm_mode_32 3
		.amdhsa_float_denorm_mode_16_64 3
		.amdhsa_dx10_clamp 1
		.amdhsa_ieee_mode 1
		.amdhsa_fp16_overflow 0
		.amdhsa_workgroup_processor_mode 1
		.amdhsa_memory_ordered 1
		.amdhsa_forward_progress 0
		.amdhsa_shared_vgpr_count 0
		.amdhsa_exception_fp_ieee_invalid_op 0
		.amdhsa_exception_fp_denorm_src 0
		.amdhsa_exception_fp_ieee_div_zero 0
		.amdhsa_exception_fp_ieee_overflow 0
		.amdhsa_exception_fp_ieee_underflow 0
		.amdhsa_exception_fp_ieee_inexact 0
		.amdhsa_exception_int_div_zero 0
	.end_amdhsa_kernel
	.section	.text._ZN5aiter20topk_softplus_kernelIf12hip_bfloat16Dv1_fLb1ELi2EEEvPKT_PKT0_PfPimiiif,"axG",@progbits,_ZN5aiter20topk_softplus_kernelIf12hip_bfloat16Dv1_fLb1ELi2EEEvPKT_PKT0_PfPimiiif,comdat
.Lfunc_end87:
	.size	_ZN5aiter20topk_softplus_kernelIf12hip_bfloat16Dv1_fLb1ELi2EEEvPKT_PKT0_PfPimiiif, .Lfunc_end87-_ZN5aiter20topk_softplus_kernelIf12hip_bfloat16Dv1_fLb1ELi2EEEvPKT_PKT0_PfPimiiif
                                        ; -- End function
	.section	.AMDGPU.csdata,"",@progbits
; Kernel info:
; codeLenInByte = 1884
; NumSgprs: 24
; NumVgprs: 12
; ScratchSize: 0
; MemoryBound: 0
; FloatMode: 240
; IeeeMode: 1
; LDSByteSize: 0 bytes/workgroup (compile time only)
; SGPRBlocks: 2
; VGPRBlocks: 1
; NumSGPRsForWavesPerEU: 24
; NumVGPRsForWavesPerEU: 12
; Occupancy: 16
; WaveLimiterHint : 0
; COMPUTE_PGM_RSRC2:SCRATCH_EN: 0
; COMPUTE_PGM_RSRC2:USER_SGPR: 15
; COMPUTE_PGM_RSRC2:TRAP_HANDLER: 0
; COMPUTE_PGM_RSRC2:TGID_X_EN: 1
; COMPUTE_PGM_RSRC2:TGID_Y_EN: 0
; COMPUTE_PGM_RSRC2:TGID_Z_EN: 0
; COMPUTE_PGM_RSRC2:TIDIG_COMP_CNT: 0
	.section	.text._ZN5aiter20topk_softplus_kernelIf12hip_bfloat16Dv1_fLb0ELi2EEEvPKT_PKT0_PfPimiiif,"axG",@progbits,_ZN5aiter20topk_softplus_kernelIf12hip_bfloat16Dv1_fLb0ELi2EEEvPKT_PKT0_PfPimiiif,comdat
	.protected	_ZN5aiter20topk_softplus_kernelIf12hip_bfloat16Dv1_fLb0ELi2EEEvPKT_PKT0_PfPimiiif ; -- Begin function _ZN5aiter20topk_softplus_kernelIf12hip_bfloat16Dv1_fLb0ELi2EEEvPKT_PKT0_PfPimiiif
	.globl	_ZN5aiter20topk_softplus_kernelIf12hip_bfloat16Dv1_fLb0ELi2EEEvPKT_PKT0_PfPimiiif
	.p2align	8
	.type	_ZN5aiter20topk_softplus_kernelIf12hip_bfloat16Dv1_fLb0ELi2EEEvPKT_PKT0_PfPimiiif,@function
_ZN5aiter20topk_softplus_kernelIf12hip_bfloat16Dv1_fLb0ELi2EEEvPKT_PKT0_PfPimiiif: ; @_ZN5aiter20topk_softplus_kernelIf12hip_bfloat16Dv1_fLb0ELi2EEEvPKT_PKT0_PfPimiiif
; %bb.0:
	s_clause 0x1
	s_load_b64 s[12:13], s[0:1], 0x28
	s_load_b256 s[4:11], s[0:1], 0x0
	v_lshl_add_u32 v3, v0, 2, 0
	s_waitcnt lgkmcnt(0)
	s_mul_i32 s16, s15, s12
	v_cmp_gt_i32_e64 s2, s12, v0
	s_ashr_i32 s17, s16, 31
	s_delay_alu instid0(SALU_CYCLE_1) | instskip(NEXT) | instid1(SALU_CYCLE_1)
	s_lshl_b64 s[16:17], s[16:17], 2
	s_add_u32 s3, s4, s16
	s_addc_u32 s4, s5, s17
	s_and_saveexec_b32 s5, s2
	s_cbranch_execz .LBB88_3
; %bb.1:
	s_load_b32 s14, s[0:1], 0x44
	v_lshl_add_u32 v4, v0, 2, 0
	v_mov_b32_e32 v1, v0
	s_mov_b32 s16, 0
	s_waitcnt lgkmcnt(0)
	s_and_b32 s14, s14, 0xffff
	s_delay_alu instid0(SALU_CYCLE_1)
	s_lshl_b32 s17, s14, 2
.LBB88_2:                               ; =>This Inner Loop Header: Depth=1
	v_ashrrev_i32_e32 v2, 31, v1
	s_delay_alu instid0(VALU_DEP_1) | instskip(SKIP_1) | instid1(VALU_DEP_2)
	v_lshlrev_b64 v[5:6], 2, v[1:2]
	v_add_nc_u32_e32 v1, s14, v1
	v_add_co_u32 v5, vcc_lo, s3, v5
	s_delay_alu instid0(VALU_DEP_3) | instskip(NEXT) | instid1(VALU_DEP_3)
	v_add_co_ci_u32_e32 v6, vcc_lo, s4, v6, vcc_lo
	v_cmp_le_i32_e32 vcc_lo, s12, v1
	global_load_b32 v2, v[5:6], off
	s_or_b32 s16, vcc_lo, s16
	s_waitcnt vmcnt(0)
	ds_store_b32 v4, v2
	v_add_nc_u32_e32 v4, s17, v4
	s_and_not1_b32 exec_lo, exec_lo, s16
	s_cbranch_execnz .LBB88_2
.LBB88_3:
	s_or_b32 exec_lo, exec_lo, s5
	v_add_nc_u32_e32 v1, s12, v0
	s_mov_b32 s5, exec_lo
	s_delay_alu instid0(VALU_DEP_1)
	v_cmpx_gt_i32_e64 s12, v1
	s_cbranch_execz .LBB88_6
; %bb.4:
	s_load_b32 s14, s[0:1], 0x44
	v_lshl_add_u32 v4, v1, 2, 0
	s_mov_b32 s16, 0
	s_waitcnt lgkmcnt(0)
	s_and_b32 s14, s14, 0xffff
	s_delay_alu instid0(SALU_CYCLE_1)
	s_lshl_b32 s17, s14, 2
.LBB88_5:                               ; =>This Inner Loop Header: Depth=1
	v_ashrrev_i32_e32 v2, 31, v1
	s_delay_alu instid0(VALU_DEP_1) | instskip(SKIP_1) | instid1(VALU_DEP_2)
	v_lshlrev_b64 v[5:6], 2, v[1:2]
	v_add_nc_u32_e32 v1, s14, v1
	v_add_co_u32 v5, vcc_lo, s3, v5
	s_delay_alu instid0(VALU_DEP_3) | instskip(NEXT) | instid1(VALU_DEP_3)
	v_add_co_ci_u32_e32 v6, vcc_lo, s4, v6, vcc_lo
	v_cmp_le_i32_e32 vcc_lo, s12, v1
	global_load_b32 v2, v[5:6], off
	s_or_b32 s16, vcc_lo, s16
	s_waitcnt vmcnt(0)
	ds_store_b32 v4, v2
	v_add_nc_u32_e32 v4, s17, v4
	s_and_not1_b32 exec_lo, exec_lo, s16
	s_cbranch_execnz .LBB88_5
.LBB88_6:
	s_or_b32 exec_lo, exec_lo, s5
	v_mov_b32_e32 v2, 0xff800000
	s_waitcnt lgkmcnt(0)
	s_barrier
	buffer_gl0_inv
	s_and_saveexec_b32 s3, s2
	s_cbranch_execz .LBB88_10
; %bb.7:
	s_load_b32 s4, s[0:1], 0x44
	v_lshl_add_u32 v1, v0, 2, 0
	v_mov_b32_e32 v2, 0xff800000
	v_mov_b32_e32 v4, v0
	s_waitcnt lgkmcnt(0)
	s_and_b32 s5, s4, 0xffff
	s_mov_b32 s4, 0
	s_lshl_b32 s14, s5, 2
.LBB88_8:                               ; =>This Inner Loop Header: Depth=1
	ds_load_b32 v5, v1
	v_add_nc_u32_e32 v4, s5, v4
	v_dual_max_f32 v2, v2, v2 :: v_dual_add_nc_u32 v1, s14, v1
	s_waitcnt lgkmcnt(0)
	v_max_f32_e32 v5, v5, v5
	s_delay_alu instid0(VALU_DEP_3) | instskip(NEXT) | instid1(VALU_DEP_2)
	v_cmp_le_i32_e32 vcc_lo, s12, v4
	v_max_f32_e32 v2, v2, v5
	s_or_b32 s4, vcc_lo, s4
	s_delay_alu instid0(SALU_CYCLE_1)
	s_and_not1_b32 exec_lo, exec_lo, s4
	s_cbranch_execnz .LBB88_8
; %bb.9:
	s_or_b32 exec_lo, exec_lo, s4
.LBB88_10:
	s_delay_alu instid0(SALU_CYCLE_1)
	s_or_b32 exec_lo, exec_lo, s3
	v_mov_b32_e32 v1, 0
	;;#ASMSTART
	v_max_f32 v4, v2, v2 quad_perm:[1,0,3,2] row_mask:0xf bank_mask:0xf bound_ctrl:1
	;;#ASMEND
	;;#ASMSTART
	v_max_f32 v2, v4, v4 quad_perm:[2,3,0,1] row_mask:0xf bank_mask:0xf bound_ctrl:1
	;;#ASMEND
	;;#ASMSTART
	v_max_f32 v4, v2, v2 row_half_mirror row_mask:0xf bank_mask:0xf bound_ctrl:1
	;;#ASMEND
	;;#ASMSTART
	v_max_f32 v2, v4, v4 row_mirror row_mask:0xf bank_mask:0xf bound_ctrl:1
	;;#ASMEND
	s_and_saveexec_b32 s3, s2
	s_cbranch_execz .LBB88_14
; %bb.11:
	s_load_b32 s4, s[0:1], 0x44
	s_mov_b32 s5, 0x76543210
	v_lshl_add_u32 v4, v0, 2, 0
	v_permlanex16_b32 v1, v2, s5, 0xfedcba98 op_sel:[1,1]
	v_dual_mov_b32 v5, v0 :: v_dual_max_f32 v2, v2, v2
	s_delay_alu instid0(VALU_DEP_2) | instskip(NEXT) | instid1(VALU_DEP_1)
	v_max_f32_e32 v1, v1, v1
	v_dual_max_f32 v2, v2, v1 :: v_dual_mov_b32 v1, 0
	s_waitcnt lgkmcnt(0)
	s_and_b32 s5, s4, 0xffff
	s_mov_b32 s4, 0
	s_lshl_b32 s14, s5, 2
	.p2align	6
.LBB88_12:                              ; =>This Inner Loop Header: Depth=1
	ds_load_b32 v6, v4
	s_waitcnt lgkmcnt(0)
	v_dual_sub_f32 v6, v6, v2 :: v_dual_add_nc_u32 v5, s5, v5
	s_delay_alu instid0(VALU_DEP_1) | instskip(NEXT) | instid1(VALU_DEP_1)
	v_mul_f32_e32 v7, 0x3fb8aa3b, v6
	v_cmp_gt_f32_e32 vcc_lo, 0xc2fc0000, v7
	v_cndmask_b32_e64 v7, 0, 0x42800000, vcc_lo
	s_delay_alu instid0(VALU_DEP_1) | instskip(NEXT) | instid1(VALU_DEP_1)
	v_fmac_f32_e32 v7, 0x3fb8aa3b, v6
	v_exp_f32_e32 v6, v7
	v_cndmask_b32_e64 v7, 1.0, 0x1f800000, vcc_lo
	v_cmp_le_i32_e32 vcc_lo, s12, v5
	s_or_b32 s4, vcc_lo, s4
	s_waitcnt_depctr 0xfff
	v_mul_f32_e32 v8, v6, v7
	v_fmac_f32_e32 v1, v6, v7
	ds_store_b32 v4, v8
	v_add_nc_u32_e32 v4, s14, v4
	s_and_not1_b32 exec_lo, exec_lo, s4
	s_cbranch_execnz .LBB88_12
; %bb.13:
	s_or_b32 exec_lo, exec_lo, s4
.LBB88_14:
	s_delay_alu instid0(SALU_CYCLE_1) | instskip(SKIP_1) | instid1(VALU_DEP_1)
	s_or_b32 exec_lo, exec_lo, s3
	v_mov_b32_dpp v2, v1 quad_perm:[1,0,3,2] row_mask:0xf bank_mask:0xf
	v_add_f32_e32 v1, v1, v2
	s_delay_alu instid0(VALU_DEP_1) | instskip(NEXT) | instid1(VALU_DEP_1)
	v_mov_b32_dpp v2, v1 quad_perm:[2,3,0,1] row_mask:0xf bank_mask:0xf
	v_add_f32_e32 v1, v1, v2
	s_delay_alu instid0(VALU_DEP_1) | instskip(NEXT) | instid1(VALU_DEP_1)
	v_mov_b32_dpp v2, v1 row_xmask:7 row_mask:0xf bank_mask:0xf
	v_add_f32_e32 v1, v1, v2
	s_delay_alu instid0(VALU_DEP_1)
	v_mov_b32_dpp v2, v1 row_xmask:15 row_mask:0xf bank_mask:0xf
	s_and_saveexec_b32 s3, s2
	s_cbranch_execz .LBB88_19
; %bb.15:
	s_delay_alu instid0(VALU_DEP_1)
	v_add_f32_e32 v1, v1, v2
	s_load_b32 s5, s[0:1], 0x44
	s_mov_b32 s4, 0x76543210
	s_cmp_lg_u64 s[6:7], 0
	v_lshl_add_u32 v5, v0, 2, 0
	v_permlanex16_b32 v2, v1, s4, 0xfedcba98 op_sel:[1,1]
	s_cselect_b32 s4, -1, 0
	s_mov_b32 s14, 0
	s_delay_alu instid0(VALU_DEP_1) | instskip(NEXT) | instid1(VALU_DEP_1)
	v_add_f32_e32 v1, v1, v2
	v_rcp_f32_e32 v4, v1
	v_mov_b32_e32 v1, v0
	s_waitcnt lgkmcnt(0)
	s_and_b32 s5, s5, 0xffff
	s_delay_alu instid0(SALU_CYCLE_1)
	s_lshl_b32 s16, s5, 2
	s_set_inst_prefetch_distance 0x1
	s_branch .LBB88_17
	.p2align	6
.LBB88_16:                              ;   in Loop: Header=BB88_17 Depth=1
	v_add_nc_u32_e32 v1, s5, v1
	v_add_nc_u32_e32 v5, s16, v5
	s_delay_alu instid0(VALU_DEP_2) | instskip(SKIP_1) | instid1(SALU_CYCLE_1)
	v_cmp_le_i32_e32 vcc_lo, s12, v1
	s_or_b32 s14, vcc_lo, s14
	s_and_not1_b32 exec_lo, exec_lo, s14
	s_cbranch_execz .LBB88_19
.LBB88_17:                              ; =>This Inner Loop Header: Depth=1
	ds_load_b32 v2, v5
	s_and_not1_b32 vcc_lo, exec_lo, s4
	s_waitcnt lgkmcnt(0)
	v_mul_f32_e32 v6, v4, v2
	ds_store_b32 v5, v6
	s_cbranch_vccnz .LBB88_16
; %bb.18:                               ;   in Loop: Header=BB88_17 Depth=1
	v_ashrrev_i32_e32 v2, 31, v1
	s_delay_alu instid0(VALU_DEP_1) | instskip(NEXT) | instid1(VALU_DEP_1)
	v_lshlrev_b64 v[7:8], 1, v[1:2]
	v_add_co_u32 v7, vcc_lo, s6, v7
	s_delay_alu instid0(VALU_DEP_2) | instskip(SKIP_3) | instid1(VALU_DEP_1)
	v_add_co_ci_u32_e32 v8, vcc_lo, s7, v8, vcc_lo
	global_load_u16 v2, v[7:8], off
	s_waitcnt vmcnt(0)
	v_lshlrev_b32_e32 v2, 16, v2
	v_add_f32_e32 v2, v6, v2
	ds_store_b32 v5, v2
	s_branch .LBB88_16
.LBB88_19:
	s_set_inst_prefetch_distance 0x2
	s_or_b32 exec_lo, exec_lo, s3
	s_cmp_lt_i32 s13, 1
	s_waitcnt lgkmcnt(0)
	s_barrier
	buffer_gl0_inv
	s_cbranch_scc1 .LBB88_28
; %bb.20:
	s_add_u32 s4, s0, 56
	s_addc_u32 s5, s1, 0
	v_dual_mov_b32 v4, 0 :: v_dual_mov_b32 v1, 0
	v_dual_mov_b32 v5, 0xff800000 :: v_dual_mov_b32 v2, 0
	s_cmp_lg_u64 s[6:7], 0
	s_mov_b32 s14, 0
	s_cselect_b32 s3, -1, 0
	s_mov_b32 s18, 0x76543210
	s_branch .LBB88_22
.LBB88_21:                              ;   in Loop: Header=BB88_22 Depth=1
	v_cmp_eq_u32_e32 vcc_lo, s14, v0
	s_delay_alu instid0(VALU_DEP_2)
	s_lshl_b32 s17, s16, 2
	s_add_i32 s14, s14, 1
	s_add_i32 s17, s17, 0
	s_cmp_eq_u32 s14, s13
	v_cndmask_b32_e64 v1, v1, s16, vcc_lo
	v_mov_b32_e32 v6, s17
	v_cndmask_b32_e32 v2, v2, v8, vcc_lo
	ds_store_b32 v6, v5
	s_cbranch_scc1 .LBB88_29
.LBB88_22:                              ; =>This Loop Header: Depth=1
                                        ;     Child Loop BB88_24 Depth 2
	v_dual_mov_b32 v6, s14 :: v_dual_mov_b32 v7, 0xff800000
	s_and_saveexec_b32 s16, s2
	s_cbranch_execz .LBB88_26
; %bb.23:                               ;   in Loop: Header=BB88_22 Depth=1
	s_load_b32 s17, s[4:5], 0xc
	v_dual_mov_b32 v6, s14 :: v_dual_mov_b32 v7, 0xff800000
	v_dual_mov_b32 v8, v3 :: v_dual_mov_b32 v9, v0
	s_mov_b32 s19, 0
	s_waitcnt lgkmcnt(0)
	s_and_b32 s17, s17, 0xffff
	s_delay_alu instid0(SALU_CYCLE_1)
	s_lshl_b32 s20, s17, 2
.LBB88_24:                              ;   Parent Loop BB88_22 Depth=1
                                        ; =>  This Inner Loop Header: Depth=2
	ds_load_b32 v10, v8
	v_add_nc_u32_e32 v8, s20, v8
	s_waitcnt lgkmcnt(0)
	v_cmp_gt_f32_e32 vcc_lo, v10, v7
	v_dual_cndmask_b32 v7, v7, v10 :: v_dual_cndmask_b32 v6, v6, v9
	v_add_nc_u32_e32 v9, s17, v9
	s_delay_alu instid0(VALU_DEP_1) | instskip(SKIP_1) | instid1(SALU_CYCLE_1)
	v_cmp_le_i32_e32 vcc_lo, s12, v9
	s_or_b32 s19, vcc_lo, s19
	s_and_not1_b32 exec_lo, exec_lo, s19
	s_cbranch_execnz .LBB88_24
; %bb.25:                               ;   in Loop: Header=BB88_22 Depth=1
	s_or_b32 exec_lo, exec_lo, s19
.LBB88_26:                              ;   in Loop: Header=BB88_22 Depth=1
	s_delay_alu instid0(SALU_CYCLE_1)
	s_or_b32 exec_lo, exec_lo, s16
	;;#ASMSTART
	v_max_f32 v8, v7, v7 quad_perm:[1,0,3,2] row_mask:0xf bank_mask:0xf bound_ctrl:1
	;;#ASMEND
	;;#ASMSTART
	v_max_f32 v9, v8, v8 quad_perm:[2,3,0,1] row_mask:0xf bank_mask:0xf bound_ctrl:1
	;;#ASMEND
	;;#ASMSTART
	v_max_f32 v8, v9, v9 row_half_mirror row_mask:0xf bank_mask:0xf bound_ctrl:1
	;;#ASMEND
	;;#ASMSTART
	v_max_f32 v9, v8, v8 row_mirror row_mask:0xf bank_mask:0xf bound_ctrl:1
	;;#ASMEND
	v_permlanex16_b32 v8, v9, s18, 0xfedcba98 op_sel:[1,1]
	s_delay_alu instid0(VALU_DEP_1) | instskip(NEXT) | instid1(VALU_DEP_1)
	v_dual_max_f32 v9, v9, v9 :: v_dual_max_f32 v8, v8, v8
	v_max_f32_e32 v8, v9, v8
	s_delay_alu instid0(VALU_DEP_1)
	v_cmp_eq_f32_e32 vcc_lo, v7, v8
	s_ctz_i32_b32 s16, vcc_lo
	s_cmp_lg_u32 vcc_lo, 0
	s_cselect_b32 s16, s16, 0
	s_and_b32 vcc_lo, exec_lo, s3
	v_readlane_b32 s16, v6, s16
	s_cbranch_vccz .LBB88_21
; %bb.27:                               ;   in Loop: Header=BB88_22 Depth=1
	s_delay_alu instid0(VALU_DEP_1) | instskip(NEXT) | instid1(SALU_CYCLE_1)
	s_ashr_i32 s17, s16, 31
	s_lshl_b64 s[20:21], s[16:17], 1
	s_delay_alu instid0(SALU_CYCLE_1) | instskip(SKIP_4) | instid1(VALU_DEP_1)
	s_add_u32 s20, s6, s20
	s_addc_u32 s21, s7, s21
	global_load_u16 v6, v4, s[20:21]
	s_waitcnt vmcnt(0)
	v_lshlrev_b32_e32 v6, 16, v6
	v_sub_f32_e32 v8, v8, v6
	s_branch .LBB88_21
.LBB88_28:
	v_dual_mov_b32 v2, 0 :: v_dual_mov_b32 v1, 0
.LBB88_29:
	s_mov_b32 s2, exec_lo
	v_cmpx_gt_i32_e64 s13, v0
	s_cbranch_execz .LBB88_32
; %bb.30:
	s_clause 0x2
	s_load_b32 s4, s[0:1], 0x34
	s_load_b64 s[2:3], s[0:1], 0x20
	s_load_b32 s0, s[0:1], 0x44
	s_ashr_i32 s1, s15, 31
	s_waitcnt lgkmcnt(0)
	v_mul_f32_e32 v2, s4, v2
	s_mul_i32 s3, s15, s3
	s_mul_hi_u32 s4, s15, s2
	s_mul_i32 s5, s1, s2
	s_add_i32 s3, s4, s3
	s_mul_i32 s1, s15, s2
	s_and_b32 s2, s0, 0xffff
	s_add_i32 s3, s3, s5
	s_mov_b32 s4, 0
	.p2align	6
.LBB88_31:                              ; =>This Inner Loop Header: Depth=1
	v_ashrrev_i32_e32 v4, 31, v0
	v_add_co_u32 v3, vcc_lo, s1, v0
	v_add_nc_u32_e32 v0, s2, v0
	s_delay_alu instid0(VALU_DEP_3) | instskip(NEXT) | instid1(VALU_DEP_2)
	v_add_co_ci_u32_e32 v4, vcc_lo, s3, v4, vcc_lo
	v_cmp_le_i32_e32 vcc_lo, s13, v0
	s_delay_alu instid0(VALU_DEP_2) | instskip(SKIP_1) | instid1(VALU_DEP_1)
	v_lshlrev_b64 v[3:4], 2, v[3:4]
	s_or_b32 s4, vcc_lo, s4
	v_add_co_u32 v5, s0, s8, v3
	s_delay_alu instid0(VALU_DEP_1) | instskip(SKIP_1) | instid1(VALU_DEP_1)
	v_add_co_ci_u32_e64 v6, s0, s9, v4, s0
	v_add_co_u32 v3, s0, s10, v3
	v_add_co_ci_u32_e64 v4, s0, s11, v4, s0
	global_store_b32 v[5:6], v2, off
	global_store_b32 v[3:4], v1, off
	s_and_not1_b32 exec_lo, exec_lo, s4
	s_cbranch_execnz .LBB88_31
.LBB88_32:
	s_nop 0
	s_sendmsg sendmsg(MSG_DEALLOC_VGPRS)
	s_endpgm
	.section	.rodata,"a",@progbits
	.p2align	6, 0x0
	.amdhsa_kernel _ZN5aiter20topk_softplus_kernelIf12hip_bfloat16Dv1_fLb0ELi2EEEvPKT_PKT0_PfPimiiif
		.amdhsa_group_segment_fixed_size 0
		.amdhsa_private_segment_fixed_size 0
		.amdhsa_kernarg_size 312
		.amdhsa_user_sgpr_count 15
		.amdhsa_user_sgpr_dispatch_ptr 0
		.amdhsa_user_sgpr_queue_ptr 0
		.amdhsa_user_sgpr_kernarg_segment_ptr 1
		.amdhsa_user_sgpr_dispatch_id 0
		.amdhsa_user_sgpr_private_segment_size 0
		.amdhsa_wavefront_size32 1
		.amdhsa_uses_dynamic_stack 0
		.amdhsa_enable_private_segment 0
		.amdhsa_system_sgpr_workgroup_id_x 1
		.amdhsa_system_sgpr_workgroup_id_y 0
		.amdhsa_system_sgpr_workgroup_id_z 0
		.amdhsa_system_sgpr_workgroup_info 0
		.amdhsa_system_vgpr_workitem_id 0
		.amdhsa_next_free_vgpr 11
		.amdhsa_next_free_sgpr 22
		.amdhsa_reserve_vcc 1
		.amdhsa_float_round_mode_32 0
		.amdhsa_float_round_mode_16_64 0
		.amdhsa_float_denorm_mode_32 3
		.amdhsa_float_denorm_mode_16_64 3
		.amdhsa_dx10_clamp 1
		.amdhsa_ieee_mode 1
		.amdhsa_fp16_overflow 0
		.amdhsa_workgroup_processor_mode 1
		.amdhsa_memory_ordered 1
		.amdhsa_forward_progress 0
		.amdhsa_shared_vgpr_count 0
		.amdhsa_exception_fp_ieee_invalid_op 0
		.amdhsa_exception_fp_denorm_src 0
		.amdhsa_exception_fp_ieee_div_zero 0
		.amdhsa_exception_fp_ieee_overflow 0
		.amdhsa_exception_fp_ieee_underflow 0
		.amdhsa_exception_fp_ieee_inexact 0
		.amdhsa_exception_int_div_zero 0
	.end_amdhsa_kernel
	.section	.text._ZN5aiter20topk_softplus_kernelIf12hip_bfloat16Dv1_fLb0ELi2EEEvPKT_PKT0_PfPimiiif,"axG",@progbits,_ZN5aiter20topk_softplus_kernelIf12hip_bfloat16Dv1_fLb0ELi2EEEvPKT_PKT0_PfPimiiif,comdat
.Lfunc_end88:
	.size	_ZN5aiter20topk_softplus_kernelIf12hip_bfloat16Dv1_fLb0ELi2EEEvPKT_PKT0_PfPimiiif, .Lfunc_end88-_ZN5aiter20topk_softplus_kernelIf12hip_bfloat16Dv1_fLb0ELi2EEEvPKT_PKT0_PfPimiiif
                                        ; -- End function
	.section	.AMDGPU.csdata,"",@progbits
; Kernel info:
; codeLenInByte = 1760
; NumSgprs: 24
; NumVgprs: 11
; ScratchSize: 0
; MemoryBound: 0
; FloatMode: 240
; IeeeMode: 1
; LDSByteSize: 0 bytes/workgroup (compile time only)
; SGPRBlocks: 2
; VGPRBlocks: 1
; NumSGPRsForWavesPerEU: 24
; NumVGPRsForWavesPerEU: 11
; Occupancy: 16
; WaveLimiterHint : 0
; COMPUTE_PGM_RSRC2:SCRATCH_EN: 0
; COMPUTE_PGM_RSRC2:USER_SGPR: 15
; COMPUTE_PGM_RSRC2:TRAP_HANDLER: 0
; COMPUTE_PGM_RSRC2:TGID_X_EN: 1
; COMPUTE_PGM_RSRC2:TGID_Y_EN: 0
; COMPUTE_PGM_RSRC2:TGID_Z_EN: 0
; COMPUTE_PGM_RSRC2:TIDIG_COMP_CNT: 0
	.section	.text._ZN5aiter24topk_softplus_kernel_optIf12hip_bfloat16Li64ELb1ELi0EEEvPKT_PKT0_PfPimiif,"axG",@progbits,_ZN5aiter24topk_softplus_kernel_optIf12hip_bfloat16Li64ELb1ELi0EEEvPKT_PKT0_PfPimiif,comdat
	.protected	_ZN5aiter24topk_softplus_kernel_optIf12hip_bfloat16Li64ELb1ELi0EEEvPKT_PKT0_PfPimiif ; -- Begin function _ZN5aiter24topk_softplus_kernel_optIf12hip_bfloat16Li64ELb1ELi0EEEvPKT_PKT0_PfPimiif
	.globl	_ZN5aiter24topk_softplus_kernel_optIf12hip_bfloat16Li64ELb1ELi0EEEvPKT_PKT0_PfPimiif
	.p2align	8
	.type	_ZN5aiter24topk_softplus_kernel_optIf12hip_bfloat16Li64ELb1ELi0EEEvPKT_PKT0_PfPimiif,@function
_ZN5aiter24topk_softplus_kernel_optIf12hip_bfloat16Li64ELb1ELi0EEEvPKT_PKT0_PfPimiif: ; @_ZN5aiter24topk_softplus_kernel_optIf12hip_bfloat16Li64ELb1ELi0EEEvPKT_PKT0_PfPimiif
; %bb.0:
	s_load_b128 s[4:7], s[0:1], 0x0
	s_lshl_b32 s2, s15, 6
	v_lshlrev_b32_e32 v3, 2, v0
	s_ashr_i32 s3, s2, 31
	s_delay_alu instid0(SALU_CYCLE_1)
	s_lshl_b64 s[2:3], s[2:3], 2
	s_waitcnt lgkmcnt(0)
	s_add_u32 s4, s4, s2
	s_addc_u32 s5, s5, s3
	s_cmp_lg_u64 s[6:7], 0
	global_load_b32 v1, v3, s[4:5]
	s_cselect_b32 s3, -1, 0
	s_waitcnt vmcnt(0)
	v_mul_f32_e32 v2, 0x3fb8aa3b, v1
	s_delay_alu instid0(VALU_DEP_1) | instskip(SKIP_2) | instid1(VALU_DEP_2)
	v_cmp_gt_f32_e32 vcc_lo, 0xc2fc0000, v2
	v_cndmask_b32_e64 v2, 0, 0x42800000, vcc_lo
	v_cndmask_b32_e64 v4, 1.0, 0x1f800000, vcc_lo
	v_fmac_f32_e32 v2, 0x3fb8aa3b, v1
	s_delay_alu instid0(VALU_DEP_1) | instskip(SKIP_2) | instid1(VALU_DEP_1)
	v_exp_f32_e32 v2, v2
	s_waitcnt_depctr 0xfff
	v_fma_f32 v2, v2, v4, 1.0
	v_cmp_gt_f32_e32 vcc_lo, 0x800000, v2
	v_cndmask_b32_e64 v4, 1.0, 0x4f800000, vcc_lo
	s_delay_alu instid0(VALU_DEP_1) | instskip(SKIP_2) | instid1(VALU_DEP_3)
	v_mul_f32_e32 v2, v2, v4
	v_cndmask_b32_e64 v4, 0, 0x42000000, vcc_lo
	v_cmp_lt_f32_e32 vcc_lo, 0x41a00000, v1
	v_log_f32_e32 v2, v2
	s_waitcnt_depctr 0xfff
	v_sub_f32_e32 v2, v2, v4
	s_delay_alu instid0(VALU_DEP_1) | instskip(NEXT) | instid1(VALU_DEP_1)
	v_mul_f32_e32 v2, 0x3f317218, v2
	v_cndmask_b32_e32 v1, v2, v1, vcc_lo
	s_delay_alu instid0(VALU_DEP_1) | instskip(SKIP_1) | instid1(VALU_DEP_2)
	v_mul_f32_e32 v2, 0x4f800000, v1
	v_cmp_gt_f32_e32 vcc_lo, 0xf800000, v1
	v_cndmask_b32_e32 v1, v1, v2, vcc_lo
	s_delay_alu instid0(VALU_DEP_1) | instskip(SKIP_3) | instid1(VALU_DEP_2)
	v_sqrt_f32_e32 v2, v1
	s_waitcnt_depctr 0xfff
	v_add_nc_u32_e32 v4, -1, v2
	v_add_nc_u32_e32 v5, 1, v2
	v_fma_f32 v6, -v4, v2, v1
	s_delay_alu instid0(VALU_DEP_2) | instskip(NEXT) | instid1(VALU_DEP_2)
	v_fma_f32 v7, -v5, v2, v1
	v_cmp_ge_f32_e64 s2, 0, v6
	s_delay_alu instid0(VALU_DEP_1) | instskip(NEXT) | instid1(VALU_DEP_3)
	v_cndmask_b32_e64 v2, v2, v4, s2
	v_cmp_lt_f32_e64 s2, 0, v7
	s_delay_alu instid0(VALU_DEP_1) | instskip(NEXT) | instid1(VALU_DEP_1)
	v_cndmask_b32_e64 v2, v2, v5, s2
	v_dual_mul_f32 v4, 0x37800000, v2 :: v_dual_lshlrev_b32 v5, 1, v0
	s_delay_alu instid0(VALU_DEP_1) | instskip(SKIP_1) | instid1(VALU_DEP_2)
	v_cndmask_b32_e32 v2, v2, v4, vcc_lo
	v_cmp_class_f32_e64 vcc_lo, v1, 0x260
	v_cndmask_b32_e32 v4, v2, v1, vcc_lo
	v_add_co_u32 v1, s2, s4, v3
	s_delay_alu instid0(VALU_DEP_1) | instskip(NEXT) | instid1(VALU_DEP_3)
	v_add_co_ci_u32_e64 v2, null, s5, 0, s2
	v_mov_b32_e32 v6, v4
	s_and_b32 vcc_lo, exec_lo, s3
	s_cbranch_vccz .LBB89_2
; %bb.1:
	global_load_u16 v6, v5, s[6:7]
	s_waitcnt vmcnt(0)
	v_lshlrev_b32_e32 v6, 16, v6
	s_delay_alu instid0(VALU_DEP_1)
	v_add_f32_e32 v6, v4, v6
.LBB89_2:
	global_load_b32 v1, v[1:2], off offset:128
	s_waitcnt vmcnt(0)
	v_mul_f32_e32 v2, 0x3fb8aa3b, v1
	s_delay_alu instid0(VALU_DEP_1) | instskip(SKIP_2) | instid1(VALU_DEP_2)
	v_cmp_gt_f32_e32 vcc_lo, 0xc2fc0000, v2
	v_cndmask_b32_e64 v7, 0, 0x42800000, vcc_lo
	v_cndmask_b32_e64 v2, 1.0, 0x1f800000, vcc_lo
	v_fmac_f32_e32 v7, 0x3fb8aa3b, v1
	s_delay_alu instid0(VALU_DEP_1) | instskip(SKIP_2) | instid1(VALU_DEP_1)
	v_exp_f32_e32 v7, v7
	s_waitcnt_depctr 0xfff
	v_fma_f32 v2, v7, v2, 1.0
	v_cmp_gt_f32_e32 vcc_lo, 0x800000, v2
	v_cndmask_b32_e64 v7, 1.0, 0x4f800000, vcc_lo
	s_delay_alu instid0(VALU_DEP_1) | instskip(SKIP_2) | instid1(VALU_DEP_3)
	v_mul_f32_e32 v2, v2, v7
	v_cndmask_b32_e64 v7, 0, 0x42000000, vcc_lo
	v_cmp_lt_f32_e32 vcc_lo, 0x41a00000, v1
	v_log_f32_e32 v2, v2
	s_waitcnt_depctr 0xfff
	v_sub_f32_e32 v2, v2, v7
	s_delay_alu instid0(VALU_DEP_1) | instskip(NEXT) | instid1(VALU_DEP_1)
	v_mul_f32_e32 v2, 0x3f317218, v2
	v_cndmask_b32_e32 v1, v2, v1, vcc_lo
	s_delay_alu instid0(VALU_DEP_1) | instskip(SKIP_1) | instid1(VALU_DEP_2)
	v_mul_f32_e32 v2, 0x4f800000, v1
	v_cmp_gt_f32_e32 vcc_lo, 0xf800000, v1
	v_cndmask_b32_e32 v1, v1, v2, vcc_lo
	s_delay_alu instid0(VALU_DEP_1) | instskip(SKIP_3) | instid1(VALU_DEP_2)
	v_sqrt_f32_e32 v2, v1
	s_waitcnt_depctr 0xfff
	v_add_nc_u32_e32 v7, -1, v2
	v_add_nc_u32_e32 v8, 1, v2
	v_fma_f32 v9, -v7, v2, v1
	s_delay_alu instid0(VALU_DEP_2) | instskip(NEXT) | instid1(VALU_DEP_2)
	v_fma_f32 v10, -v8, v2, v1
	v_cmp_ge_f32_e64 s2, 0, v9
	s_delay_alu instid0(VALU_DEP_1) | instskip(NEXT) | instid1(VALU_DEP_3)
	v_cndmask_b32_e64 v2, v2, v7, s2
	v_cmp_lt_f32_e64 s2, 0, v10
	s_delay_alu instid0(VALU_DEP_1) | instskip(NEXT) | instid1(VALU_DEP_1)
	v_cndmask_b32_e64 v2, v2, v8, s2
	v_mul_f32_e32 v7, 0x37800000, v2
	s_delay_alu instid0(VALU_DEP_1) | instskip(SKIP_1) | instid1(VALU_DEP_2)
	v_cndmask_b32_e32 v2, v2, v7, vcc_lo
	v_cmp_class_f32_e64 vcc_lo, v1, 0x260
	v_cndmask_b32_e32 v11, v2, v1, vcc_lo
	s_and_not1_b32 vcc_lo, exec_lo, s3
	s_delay_alu instid0(VALU_DEP_1)
	v_mov_b32_e32 v10, v11
	s_cbranch_vccnz .LBB89_4
; %bb.3:
	global_load_u16 v1, v5, s[6:7] offset:64
	s_waitcnt vmcnt(0)
	v_lshlrev_b32_e32 v1, 16, v1
	s_delay_alu instid0(VALU_DEP_1)
	v_add_f32_e32 v10, v11, v1
.LBB89_4:
	s_clause 0x1
	s_load_b32 s8, s[0:1], 0x28
	s_load_b128 s[4:7], s[0:1], 0x10
	v_dual_mov_b32 v5, 0 :: v_dual_mov_b32 v2, 0
	v_mov_b32_e32 v1, 0
	s_waitcnt lgkmcnt(0)
	s_cmp_gt_i32 s8, 0
	s_cbranch_scc0 .LBB89_7
; %bb.5:
	v_cmp_lt_f32_e32 vcc_lo, v6, v10
	v_add_nc_u32_e32 v1, 32, v0
	s_mov_b32 s9, 0x76543210
	s_mov_b32 s10, s8
	v_mov_b32_e32 v5, 0
	v_cndmask_b32_e32 v9, v10, v6, vcc_lo
	v_cndmask_b32_e32 v6, v6, v10, vcc_lo
	;; [unrolled: 1-line block ×3, first 2 shown]
	v_dual_cndmask_b32 v7, v1, v0 :: v_dual_cndmask_b32 v8, v0, v1
	v_dual_cndmask_b32 v4, v4, v11 :: v_dual_mov_b32 v11, 0
	v_dual_mov_b32 v12, v0 :: v_dual_mov_b32 v1, 0
	v_mov_b32_e32 v2, 0
.LBB89_6:                               ; =>This Inner Loop Header: Depth=1
	s_delay_alu instid0(VALU_DEP_3) | instskip(SKIP_2) | instid1(VALU_DEP_1)
	v_cmp_eq_u32_e32 vcc_lo, 1, v11
	v_cmp_gt_u32_e64 s2, 2, v11
	v_dual_cndmask_b32 v13, v6, v9 :: v_dual_cndmask_b32 v14, v8, v7
	v_cndmask_b32_e64 v13, 0xff800000, v13, s2
	;;#ASMSTART
	v_max_f32 v16, v13, v13 quad_perm:[1,0,3,2] row_mask:0xf bank_mask:0xf bound_ctrl:1
	;;#ASMEND
	;;#ASMSTART
	v_max_f32 v17, v16, v16 quad_perm:[2,3,0,1] row_mask:0xf bank_mask:0xf bound_ctrl:1
	;;#ASMEND
	;;#ASMSTART
	v_max_f32 v16, v17, v17 row_half_mirror row_mask:0xf bank_mask:0xf bound_ctrl:1
	;;#ASMEND
	;;#ASMSTART
	v_max_f32 v17, v16, v16 row_mirror row_mask:0xf bank_mask:0xf bound_ctrl:1
	;;#ASMEND
	v_permlanex16_b32 v16, v17, s9, 0xfedcba98 op_sel:[1,1]
	v_max_f32_e32 v17, v17, v17
	v_cndmask_b32_e64 v15, 0, v14, s2
	s_delay_alu instid0(VALU_DEP_3) | instskip(NEXT) | instid1(VALU_DEP_1)
	v_max_f32_e32 v16, v16, v16
	v_max_f32_e32 v16, v17, v16
	s_delay_alu instid0(VALU_DEP_1) | instskip(SKIP_1) | instid1(VALU_DEP_2)
	v_cmp_eq_f32_e64 s3, v13, v16
	v_cndmask_b32_e32 v13, v4, v10, vcc_lo
	s_ctz_i32_b32 s11, s3
	s_cmp_lg_u32 s3, 0
	s_cselect_b32 s3, s11, 0
	s_add_i32 s10, s10, -1
	v_readlane_b32 s3, v15, s3
	s_delay_alu instid0(VALU_DEP_1)
	v_cmp_eq_u32_e32 vcc_lo, s3, v14
	s_and_b32 vcc_lo, s2, vcc_lo
	s_and_b32 s2, s3, 31
	v_cndmask_b32_e32 v13, 0, v13, vcc_lo
	v_add_co_ci_u32_e32 v11, vcc_lo, 0, v11, vcc_lo
	s_cmp_eq_u32 s10, 0
	s_delay_alu instid0(VALU_DEP_2) | instskip(SKIP_1) | instid1(VALU_DEP_2)
	v_readlane_b32 s11, v13, s2
	v_cmp_eq_u32_e64 s2, 0, v12
	v_dual_add_f32 v5, s11, v5 :: v_dual_add_nc_u32 v12, -1, v12
	s_delay_alu instid0(VALU_DEP_2)
	v_cndmask_b32_e64 v2, v2, s11, s2
	v_cndmask_b32_e64 v1, v1, s3, s2
	s_cbranch_scc0 .LBB89_6
.LBB89_7:
	s_mov_b32 s2, exec_lo
	v_cmpx_gt_i32_e64 s8, v0
	s_cbranch_execz .LBB89_9
; %bb.8:
	s_load_b32 s2, s[0:1], 0x30
	v_max_f32_e32 v0, v5, v5
	s_load_b64 s[0:1], s[0:1], 0x20
	s_ashr_i32 s3, s15, 31
	s_delay_alu instid0(VALU_DEP_1) | instskip(SKIP_1) | instid1(VALU_DEP_1)
	v_max_f32_e32 v0, 0x1e3ce508, v0
	s_waitcnt lgkmcnt(0)
	v_div_scale_f32 v4, null, v0, v0, s2
	s_mul_i32 s1, s15, s1
	s_mul_hi_u32 s8, s15, s0
	s_mul_i32 s3, s3, s0
	s_delay_alu instid0(VALU_DEP_1) | instskip(SKIP_3) | instid1(SALU_CYCLE_1)
	v_rcp_f32_e32 v5, v4
	s_add_i32 s1, s8, s1
	s_mul_i32 s0, s15, s0
	s_add_i32 s1, s1, s3
	s_lshl_b64 s[0:1], s[0:1], 2
	s_waitcnt_depctr 0xfff
	v_fma_f32 v6, -v4, v5, 1.0
	s_delay_alu instid0(VALU_DEP_1) | instskip(SKIP_1) | instid1(VALU_DEP_1)
	v_fmac_f32_e32 v5, v6, v5
	v_div_scale_f32 v7, vcc_lo, s2, v0, s2
	v_mul_f32_e32 v6, v7, v5
	s_delay_alu instid0(VALU_DEP_1) | instskip(NEXT) | instid1(VALU_DEP_1)
	v_fma_f32 v8, -v4, v6, v7
	v_fmac_f32_e32 v6, v8, v5
	s_delay_alu instid0(VALU_DEP_1) | instskip(NEXT) | instid1(VALU_DEP_1)
	v_fma_f32 v4, -v4, v6, v7
	v_div_fmas_f32 v4, v4, v5, v6
	s_delay_alu instid0(VALU_DEP_1)
	v_div_fixup_f32 v0, v4, v0, s2
	s_add_u32 s2, s4, s0
	s_addc_u32 s3, s5, s1
	s_add_u32 s0, s6, s0
	s_addc_u32 s1, s7, s1
	v_mul_f32_e32 v0, v2, v0
	s_clause 0x1
	global_store_b32 v3, v0, s[2:3]
	global_store_b32 v3, v1, s[0:1]
.LBB89_9:
	s_nop 0
	s_sendmsg sendmsg(MSG_DEALLOC_VGPRS)
	s_endpgm
	.section	.rodata,"a",@progbits
	.p2align	6, 0x0
	.amdhsa_kernel _ZN5aiter24topk_softplus_kernel_optIf12hip_bfloat16Li64ELb1ELi0EEEvPKT_PKT0_PfPimiif
		.amdhsa_group_segment_fixed_size 0
		.amdhsa_private_segment_fixed_size 0
		.amdhsa_kernarg_size 52
		.amdhsa_user_sgpr_count 15
		.amdhsa_user_sgpr_dispatch_ptr 0
		.amdhsa_user_sgpr_queue_ptr 0
		.amdhsa_user_sgpr_kernarg_segment_ptr 1
		.amdhsa_user_sgpr_dispatch_id 0
		.amdhsa_user_sgpr_private_segment_size 0
		.amdhsa_wavefront_size32 1
		.amdhsa_uses_dynamic_stack 0
		.amdhsa_enable_private_segment 0
		.amdhsa_system_sgpr_workgroup_id_x 1
		.amdhsa_system_sgpr_workgroup_id_y 0
		.amdhsa_system_sgpr_workgroup_id_z 0
		.amdhsa_system_sgpr_workgroup_info 0
		.amdhsa_system_vgpr_workitem_id 0
		.amdhsa_next_free_vgpr 18
		.amdhsa_next_free_sgpr 16
		.amdhsa_reserve_vcc 1
		.amdhsa_float_round_mode_32 0
		.amdhsa_float_round_mode_16_64 0
		.amdhsa_float_denorm_mode_32 3
		.amdhsa_float_denorm_mode_16_64 3
		.amdhsa_dx10_clamp 1
		.amdhsa_ieee_mode 1
		.amdhsa_fp16_overflow 0
		.amdhsa_workgroup_processor_mode 1
		.amdhsa_memory_ordered 1
		.amdhsa_forward_progress 0
		.amdhsa_shared_vgpr_count 0
		.amdhsa_exception_fp_ieee_invalid_op 0
		.amdhsa_exception_fp_denorm_src 0
		.amdhsa_exception_fp_ieee_div_zero 0
		.amdhsa_exception_fp_ieee_overflow 0
		.amdhsa_exception_fp_ieee_underflow 0
		.amdhsa_exception_fp_ieee_inexact 0
		.amdhsa_exception_int_div_zero 0
	.end_amdhsa_kernel
	.section	.text._ZN5aiter24topk_softplus_kernel_optIf12hip_bfloat16Li64ELb1ELi0EEEvPKT_PKT0_PfPimiif,"axG",@progbits,_ZN5aiter24topk_softplus_kernel_optIf12hip_bfloat16Li64ELb1ELi0EEEvPKT_PKT0_PfPimiif,comdat
.Lfunc_end89:
	.size	_ZN5aiter24topk_softplus_kernel_optIf12hip_bfloat16Li64ELb1ELi0EEEvPKT_PKT0_PfPimiif, .Lfunc_end89-_ZN5aiter24topk_softplus_kernel_optIf12hip_bfloat16Li64ELb1ELi0EEEvPKT_PKT0_PfPimiif
                                        ; -- End function
	.section	.AMDGPU.csdata,"",@progbits
; Kernel info:
; codeLenInByte = 1352
; NumSgprs: 18
; NumVgprs: 18
; ScratchSize: 0
; MemoryBound: 0
; FloatMode: 240
; IeeeMode: 1
; LDSByteSize: 0 bytes/workgroup (compile time only)
; SGPRBlocks: 2
; VGPRBlocks: 2
; NumSGPRsForWavesPerEU: 18
; NumVGPRsForWavesPerEU: 18
; Occupancy: 16
; WaveLimiterHint : 0
; COMPUTE_PGM_RSRC2:SCRATCH_EN: 0
; COMPUTE_PGM_RSRC2:USER_SGPR: 15
; COMPUTE_PGM_RSRC2:TRAP_HANDLER: 0
; COMPUTE_PGM_RSRC2:TGID_X_EN: 1
; COMPUTE_PGM_RSRC2:TGID_Y_EN: 0
; COMPUTE_PGM_RSRC2:TGID_Z_EN: 0
; COMPUTE_PGM_RSRC2:TIDIG_COMP_CNT: 0
	.section	.text._ZN5aiter24topk_softplus_kernel_optIf12hip_bfloat16Li64ELb0ELi0EEEvPKT_PKT0_PfPimiif,"axG",@progbits,_ZN5aiter24topk_softplus_kernel_optIf12hip_bfloat16Li64ELb0ELi0EEEvPKT_PKT0_PfPimiif,comdat
	.protected	_ZN5aiter24topk_softplus_kernel_optIf12hip_bfloat16Li64ELb0ELi0EEEvPKT_PKT0_PfPimiif ; -- Begin function _ZN5aiter24topk_softplus_kernel_optIf12hip_bfloat16Li64ELb0ELi0EEEvPKT_PKT0_PfPimiif
	.globl	_ZN5aiter24topk_softplus_kernel_optIf12hip_bfloat16Li64ELb0ELi0EEEvPKT_PKT0_PfPimiif
	.p2align	8
	.type	_ZN5aiter24topk_softplus_kernel_optIf12hip_bfloat16Li64ELb0ELi0EEEvPKT_PKT0_PfPimiif,@function
_ZN5aiter24topk_softplus_kernel_optIf12hip_bfloat16Li64ELb0ELi0EEEvPKT_PKT0_PfPimiif: ; @_ZN5aiter24topk_softplus_kernel_optIf12hip_bfloat16Li64ELb0ELi0EEEvPKT_PKT0_PfPimiif
; %bb.0:
	s_load_b128 s[4:7], s[0:1], 0x0
	s_lshl_b32 s2, s15, 6
	v_lshlrev_b32_e32 v3, 2, v0
	s_ashr_i32 s3, s2, 31
	s_delay_alu instid0(SALU_CYCLE_1)
	s_lshl_b64 s[2:3], s[2:3], 2
	s_waitcnt lgkmcnt(0)
	s_add_u32 s4, s4, s2
	s_addc_u32 s5, s5, s3
	s_cmp_lg_u64 s[6:7], 0
	global_load_b32 v1, v3, s[4:5]
	s_cselect_b32 s3, -1, 0
	s_waitcnt vmcnt(0)
	v_mul_f32_e32 v2, 0x3fb8aa3b, v1
	s_delay_alu instid0(VALU_DEP_1) | instskip(SKIP_2) | instid1(VALU_DEP_2)
	v_cmp_gt_f32_e32 vcc_lo, 0xc2fc0000, v2
	v_cndmask_b32_e64 v2, 0, 0x42800000, vcc_lo
	v_cndmask_b32_e64 v4, 1.0, 0x1f800000, vcc_lo
	v_fmac_f32_e32 v2, 0x3fb8aa3b, v1
	s_delay_alu instid0(VALU_DEP_1) | instskip(SKIP_2) | instid1(VALU_DEP_1)
	v_exp_f32_e32 v2, v2
	s_waitcnt_depctr 0xfff
	v_fma_f32 v2, v2, v4, 1.0
	v_cmp_gt_f32_e32 vcc_lo, 0x800000, v2
	v_cndmask_b32_e64 v4, 1.0, 0x4f800000, vcc_lo
	s_delay_alu instid0(VALU_DEP_1) | instskip(SKIP_2) | instid1(VALU_DEP_3)
	v_mul_f32_e32 v2, v2, v4
	v_cndmask_b32_e64 v4, 0, 0x42000000, vcc_lo
	v_cmp_lt_f32_e32 vcc_lo, 0x41a00000, v1
	v_log_f32_e32 v2, v2
	s_waitcnt_depctr 0xfff
	v_sub_f32_e32 v2, v2, v4
	s_delay_alu instid0(VALU_DEP_1) | instskip(NEXT) | instid1(VALU_DEP_1)
	v_mul_f32_e32 v2, 0x3f317218, v2
	v_cndmask_b32_e32 v1, v2, v1, vcc_lo
	s_delay_alu instid0(VALU_DEP_1) | instskip(SKIP_1) | instid1(VALU_DEP_2)
	v_mul_f32_e32 v2, 0x4f800000, v1
	v_cmp_gt_f32_e32 vcc_lo, 0xf800000, v1
	v_cndmask_b32_e32 v1, v1, v2, vcc_lo
	s_delay_alu instid0(VALU_DEP_1) | instskip(SKIP_3) | instid1(VALU_DEP_2)
	v_sqrt_f32_e32 v2, v1
	s_waitcnt_depctr 0xfff
	v_add_nc_u32_e32 v4, -1, v2
	v_add_nc_u32_e32 v5, 1, v2
	v_fma_f32 v6, -v4, v2, v1
	s_delay_alu instid0(VALU_DEP_2) | instskip(NEXT) | instid1(VALU_DEP_2)
	v_fma_f32 v7, -v5, v2, v1
	v_cmp_ge_f32_e64 s2, 0, v6
	v_lshlrev_b32_e32 v6, 1, v0
	s_delay_alu instid0(VALU_DEP_2) | instskip(NEXT) | instid1(VALU_DEP_4)
	v_cndmask_b32_e64 v2, v2, v4, s2
	v_cmp_lt_f32_e64 s2, 0, v7
	s_delay_alu instid0(VALU_DEP_1) | instskip(NEXT) | instid1(VALU_DEP_1)
	v_cndmask_b32_e64 v2, v2, v5, s2
	v_mul_f32_e32 v4, 0x37800000, v2
	s_delay_alu instid0(VALU_DEP_1) | instskip(SKIP_1) | instid1(VALU_DEP_2)
	v_cndmask_b32_e32 v2, v2, v4, vcc_lo
	v_cmp_class_f32_e64 vcc_lo, v1, 0x260
	v_cndmask_b32_e32 v4, v2, v1, vcc_lo
	v_add_co_u32 v1, s2, s4, v3
	s_delay_alu instid0(VALU_DEP_1) | instskip(NEXT) | instid1(VALU_DEP_3)
	v_add_co_ci_u32_e64 v2, null, s5, 0, s2
	v_mov_b32_e32 v5, v4
	s_and_b32 vcc_lo, exec_lo, s3
	s_cbranch_vccz .LBB90_2
; %bb.1:
	global_load_u16 v5, v6, s[6:7]
	s_waitcnt vmcnt(0)
	v_lshlrev_b32_e32 v5, 16, v5
	s_delay_alu instid0(VALU_DEP_1)
	v_add_f32_e32 v5, v4, v5
.LBB90_2:
	global_load_b32 v1, v[1:2], off offset:128
	s_waitcnt vmcnt(0)
	v_mul_f32_e32 v2, 0x3fb8aa3b, v1
	s_delay_alu instid0(VALU_DEP_1) | instskip(SKIP_2) | instid1(VALU_DEP_2)
	v_cmp_gt_f32_e32 vcc_lo, 0xc2fc0000, v2
	v_cndmask_b32_e64 v7, 0, 0x42800000, vcc_lo
	v_cndmask_b32_e64 v2, 1.0, 0x1f800000, vcc_lo
	v_fmac_f32_e32 v7, 0x3fb8aa3b, v1
	s_delay_alu instid0(VALU_DEP_1) | instskip(SKIP_2) | instid1(VALU_DEP_1)
	v_exp_f32_e32 v7, v7
	s_waitcnt_depctr 0xfff
	v_fma_f32 v2, v7, v2, 1.0
	v_cmp_gt_f32_e32 vcc_lo, 0x800000, v2
	v_cndmask_b32_e64 v7, 1.0, 0x4f800000, vcc_lo
	s_delay_alu instid0(VALU_DEP_1) | instskip(SKIP_2) | instid1(VALU_DEP_3)
	v_mul_f32_e32 v2, v2, v7
	v_cndmask_b32_e64 v7, 0, 0x42000000, vcc_lo
	v_cmp_lt_f32_e32 vcc_lo, 0x41a00000, v1
	v_log_f32_e32 v2, v2
	s_waitcnt_depctr 0xfff
	v_sub_f32_e32 v2, v2, v7
	s_delay_alu instid0(VALU_DEP_1) | instskip(NEXT) | instid1(VALU_DEP_1)
	v_mul_f32_e32 v2, 0x3f317218, v2
	v_cndmask_b32_e32 v1, v2, v1, vcc_lo
	s_delay_alu instid0(VALU_DEP_1) | instskip(SKIP_1) | instid1(VALU_DEP_2)
	v_mul_f32_e32 v2, 0x4f800000, v1
	v_cmp_gt_f32_e32 vcc_lo, 0xf800000, v1
	v_cndmask_b32_e32 v1, v1, v2, vcc_lo
	s_delay_alu instid0(VALU_DEP_1) | instskip(SKIP_3) | instid1(VALU_DEP_2)
	v_sqrt_f32_e32 v2, v1
	s_waitcnt_depctr 0xfff
	v_add_nc_u32_e32 v7, -1, v2
	v_add_nc_u32_e32 v8, 1, v2
	v_fma_f32 v9, -v7, v2, v1
	s_delay_alu instid0(VALU_DEP_2) | instskip(NEXT) | instid1(VALU_DEP_2)
	v_fma_f32 v10, -v8, v2, v1
	v_cmp_ge_f32_e64 s2, 0, v9
	s_delay_alu instid0(VALU_DEP_1) | instskip(NEXT) | instid1(VALU_DEP_3)
	v_cndmask_b32_e64 v2, v2, v7, s2
	v_cmp_lt_f32_e64 s2, 0, v10
	s_delay_alu instid0(VALU_DEP_1) | instskip(NEXT) | instid1(VALU_DEP_1)
	v_cndmask_b32_e64 v2, v2, v8, s2
	v_mul_f32_e32 v7, 0x37800000, v2
	s_delay_alu instid0(VALU_DEP_1) | instskip(SKIP_1) | instid1(VALU_DEP_2)
	v_cndmask_b32_e32 v2, v2, v7, vcc_lo
	v_cmp_class_f32_e64 vcc_lo, v1, 0x260
	v_cndmask_b32_e32 v2, v2, v1, vcc_lo
	s_and_not1_b32 vcc_lo, exec_lo, s3
	s_delay_alu instid0(VALU_DEP_1)
	v_mov_b32_e32 v9, v2
	s_cbranch_vccnz .LBB90_4
; %bb.3:
	global_load_u16 v1, v6, s[6:7] offset:64
	s_waitcnt vmcnt(0)
	v_lshlrev_b32_e32 v1, 16, v1
	s_delay_alu instid0(VALU_DEP_1)
	v_add_f32_e32 v9, v2, v1
.LBB90_4:
	s_clause 0x1
	s_load_b32 s8, s[0:1], 0x28
	s_load_b128 s[4:7], s[0:1], 0x10
	v_mov_b32_e32 v1, 0
	s_waitcnt lgkmcnt(0)
	s_cmp_gt_i32 s8, 0
	s_cbranch_scc0 .LBB90_10
; %bb.5:
	v_cmp_lt_f32_e32 vcc_lo, v5, v9
	v_add_nc_u32_e32 v1, 32, v0
	s_mov_b32 s9, 0x76543210
	s_mov_b32 s10, s8
	v_mov_b32_e32 v10, 0
	v_cndmask_b32_e32 v8, v9, v5, vcc_lo
	v_dual_cndmask_b32 v6, v1, v0 :: v_dual_cndmask_b32 v7, v0, v1
	v_cndmask_b32_e32 v5, v5, v9, vcc_lo
	v_dual_cndmask_b32 v9, v2, v4 :: v_dual_cndmask_b32 v4, v4, v2
	v_dual_mov_b32 v2, 0 :: v_dual_mov_b32 v11, v0
	v_mov_b32_e32 v1, 0
.LBB90_6:                               ; =>This Inner Loop Header: Depth=1
	v_cmp_eq_u32_e32 vcc_lo, 1, v10
	v_cmp_gt_u32_e64 s2, 2, v10
	v_cndmask_b32_e32 v12, v5, v8, vcc_lo
	s_delay_alu instid0(VALU_DEP_1)
	v_cndmask_b32_e64 v12, 0xff800000, v12, s2
	;;#ASMSTART
	v_max_f32 v13, v12, v12 quad_perm:[1,0,3,2] row_mask:0xf bank_mask:0xf bound_ctrl:1
	;;#ASMEND
	;;#ASMSTART
	v_max_f32 v14, v13, v13 quad_perm:[2,3,0,1] row_mask:0xf bank_mask:0xf bound_ctrl:1
	;;#ASMEND
	;;#ASMSTART
	v_max_f32 v13, v14, v14 row_half_mirror row_mask:0xf bank_mask:0xf bound_ctrl:1
	;;#ASMEND
	;;#ASMSTART
	v_max_f32 v14, v13, v13 row_mirror row_mask:0xf bank_mask:0xf bound_ctrl:1
	;;#ASMEND
	v_permlanex16_b32 v13, v14, s9, 0xfedcba98 op_sel:[1,1]
	s_delay_alu instid0(VALU_DEP_1) | instskip(NEXT) | instid1(VALU_DEP_1)
	v_dual_max_f32 v14, v14, v14 :: v_dual_max_f32 v13, v13, v13
	v_dual_max_f32 v13, v14, v13 :: v_dual_cndmask_b32 v14, v7, v6
	s_delay_alu instid0(VALU_DEP_1) | instskip(NEXT) | instid1(VALU_DEP_2)
	v_cmp_eq_f32_e64 s3, v12, v13
	v_cndmask_b32_e64 v12, 0, v14, s2
	s_delay_alu instid0(VALU_DEP_2)
	s_ctz_i32_b32 s11, s3
	s_cmp_lg_u32 s3, 0
	s_cselect_b32 s3, s11, 0
	s_add_i32 s10, s10, -1
	v_readlane_b32 s3, v12, s3
	v_cndmask_b32_e32 v12, v4, v9, vcc_lo
	s_delay_alu instid0(VALU_DEP_2) | instskip(SKIP_2) | instid1(VALU_DEP_2)
	v_cmp_eq_u32_e32 vcc_lo, s3, v14
	s_and_b32 vcc_lo, s2, vcc_lo
	s_and_b32 s2, s3, 31
	v_cndmask_b32_e32 v12, 0, v12, vcc_lo
	v_add_co_ci_u32_e32 v10, vcc_lo, 0, v10, vcc_lo
	s_cmp_eq_u32 s10, 0
	s_delay_alu instid0(VALU_DEP_2) | instskip(SKIP_2) | instid1(VALU_DEP_2)
	v_readlane_b32 s11, v12, s2
	v_cmp_eq_u32_e64 s2, 0, v11
	v_add_nc_u32_e32 v11, -1, v11
	v_cndmask_b32_e64 v2, v2, s11, s2
	v_cndmask_b32_e64 v1, v1, s3, s2
	s_cbranch_scc0 .LBB90_6
; %bb.7:
	s_mov_b32 s2, exec_lo
	v_cmpx_gt_i32_e64 s8, v0
	s_cbranch_execz .LBB90_9
.LBB90_8:
	s_clause 0x1
	s_load_b64 s[2:3], s[0:1], 0x20
	s_load_b32 s8, s[0:1], 0x30
	s_ashr_i32 s0, s15, 31
	s_waitcnt lgkmcnt(0)
	s_mul_i32 s1, s15, s3
	s_mul_hi_u32 s3, s15, s2
	s_mul_i32 s0, s0, s2
	s_add_i32 s1, s3, s1
	v_mul_f32_e32 v0, s8, v2
	s_add_i32 s1, s1, s0
	s_mul_i32 s0, s15, s2
	s_delay_alu instid0(SALU_CYCLE_1) | instskip(NEXT) | instid1(SALU_CYCLE_1)
	s_lshl_b64 s[0:1], s[0:1], 2
	s_add_u32 s2, s4, s0
	s_addc_u32 s3, s5, s1
	s_add_u32 s0, s6, s0
	s_addc_u32 s1, s7, s1
	s_clause 0x1
	global_store_b32 v3, v0, s[2:3]
	global_store_b32 v3, v1, s[0:1]
.LBB90_9:
	s_nop 0
	s_sendmsg sendmsg(MSG_DEALLOC_VGPRS)
	s_endpgm
.LBB90_10:
	v_mov_b32_e32 v2, 0
	s_mov_b32 s2, exec_lo
	v_cmpx_gt_i32_e64 s8, v0
	s_cbranch_execnz .LBB90_8
	s_branch .LBB90_9
	.section	.rodata,"a",@progbits
	.p2align	6, 0x0
	.amdhsa_kernel _ZN5aiter24topk_softplus_kernel_optIf12hip_bfloat16Li64ELb0ELi0EEEvPKT_PKT0_PfPimiif
		.amdhsa_group_segment_fixed_size 0
		.amdhsa_private_segment_fixed_size 0
		.amdhsa_kernarg_size 52
		.amdhsa_user_sgpr_count 15
		.amdhsa_user_sgpr_dispatch_ptr 0
		.amdhsa_user_sgpr_queue_ptr 0
		.amdhsa_user_sgpr_kernarg_segment_ptr 1
		.amdhsa_user_sgpr_dispatch_id 0
		.amdhsa_user_sgpr_private_segment_size 0
		.amdhsa_wavefront_size32 1
		.amdhsa_uses_dynamic_stack 0
		.amdhsa_enable_private_segment 0
		.amdhsa_system_sgpr_workgroup_id_x 1
		.amdhsa_system_sgpr_workgroup_id_y 0
		.amdhsa_system_sgpr_workgroup_id_z 0
		.amdhsa_system_sgpr_workgroup_info 0
		.amdhsa_system_vgpr_workitem_id 0
		.amdhsa_next_free_vgpr 15
		.amdhsa_next_free_sgpr 16
		.amdhsa_reserve_vcc 1
		.amdhsa_float_round_mode_32 0
		.amdhsa_float_round_mode_16_64 0
		.amdhsa_float_denorm_mode_32 3
		.amdhsa_float_denorm_mode_16_64 3
		.amdhsa_dx10_clamp 1
		.amdhsa_ieee_mode 1
		.amdhsa_fp16_overflow 0
		.amdhsa_workgroup_processor_mode 1
		.amdhsa_memory_ordered 1
		.amdhsa_forward_progress 0
		.amdhsa_shared_vgpr_count 0
		.amdhsa_exception_fp_ieee_invalid_op 0
		.amdhsa_exception_fp_denorm_src 0
		.amdhsa_exception_fp_ieee_div_zero 0
		.amdhsa_exception_fp_ieee_overflow 0
		.amdhsa_exception_fp_ieee_underflow 0
		.amdhsa_exception_fp_ieee_inexact 0
		.amdhsa_exception_int_div_zero 0
	.end_amdhsa_kernel
	.section	.text._ZN5aiter24topk_softplus_kernel_optIf12hip_bfloat16Li64ELb0ELi0EEEvPKT_PKT0_PfPimiif,"axG",@progbits,_ZN5aiter24topk_softplus_kernel_optIf12hip_bfloat16Li64ELb0ELi0EEEvPKT_PKT0_PfPimiif,comdat
.Lfunc_end90:
	.size	_ZN5aiter24topk_softplus_kernel_optIf12hip_bfloat16Li64ELb0ELi0EEEvPKT_PKT0_PfPimiif, .Lfunc_end90-_ZN5aiter24topk_softplus_kernel_optIf12hip_bfloat16Li64ELb0ELi0EEEvPKT_PKT0_PfPimiif
                                        ; -- End function
	.section	.AMDGPU.csdata,"",@progbits
; Kernel info:
; codeLenInByte = 1256
; NumSgprs: 18
; NumVgprs: 15
; ScratchSize: 0
; MemoryBound: 0
; FloatMode: 240
; IeeeMode: 1
; LDSByteSize: 0 bytes/workgroup (compile time only)
; SGPRBlocks: 2
; VGPRBlocks: 1
; NumSGPRsForWavesPerEU: 18
; NumVGPRsForWavesPerEU: 15
; Occupancy: 16
; WaveLimiterHint : 0
; COMPUTE_PGM_RSRC2:SCRATCH_EN: 0
; COMPUTE_PGM_RSRC2:USER_SGPR: 15
; COMPUTE_PGM_RSRC2:TRAP_HANDLER: 0
; COMPUTE_PGM_RSRC2:TGID_X_EN: 1
; COMPUTE_PGM_RSRC2:TGID_Y_EN: 0
; COMPUTE_PGM_RSRC2:TGID_Z_EN: 0
; COMPUTE_PGM_RSRC2:TIDIG_COMP_CNT: 0
	.section	.text._ZN5aiter24topk_softplus_kernel_optIf12hip_bfloat16Li128ELb1ELi0EEEvPKT_PKT0_PfPimiif,"axG",@progbits,_ZN5aiter24topk_softplus_kernel_optIf12hip_bfloat16Li128ELb1ELi0EEEvPKT_PKT0_PfPimiif,comdat
	.protected	_ZN5aiter24topk_softplus_kernel_optIf12hip_bfloat16Li128ELb1ELi0EEEvPKT_PKT0_PfPimiif ; -- Begin function _ZN5aiter24topk_softplus_kernel_optIf12hip_bfloat16Li128ELb1ELi0EEEvPKT_PKT0_PfPimiif
	.globl	_ZN5aiter24topk_softplus_kernel_optIf12hip_bfloat16Li128ELb1ELi0EEEvPKT_PKT0_PfPimiif
	.p2align	8
	.type	_ZN5aiter24topk_softplus_kernel_optIf12hip_bfloat16Li128ELb1ELi0EEEvPKT_PKT0_PfPimiif,@function
_ZN5aiter24topk_softplus_kernel_optIf12hip_bfloat16Li128ELb1ELi0EEEvPKT_PKT0_PfPimiif: ; @_ZN5aiter24topk_softplus_kernel_optIf12hip_bfloat16Li128ELb1ELi0EEEvPKT_PKT0_PfPimiif
; %bb.0:
	s_load_b128 s[4:7], s[0:1], 0x0
	s_lshl_b32 s2, s15, 7
	v_lshlrev_b32_e32 v3, 2, v0
	s_ashr_i32 s3, s2, 31
	s_delay_alu instid0(SALU_CYCLE_1)
	s_lshl_b64 s[2:3], s[2:3], 2
	s_waitcnt lgkmcnt(0)
	s_add_u32 s4, s4, s2
	s_addc_u32 s5, s5, s3
	s_cmp_lg_u64 s[6:7], 0
	global_load_b32 v1, v3, s[4:5]
	s_cselect_b32 s3, -1, 0
	s_waitcnt vmcnt(0)
	v_mul_f32_e32 v2, 0x3fb8aa3b, v1
	s_delay_alu instid0(VALU_DEP_1) | instskip(SKIP_2) | instid1(VALU_DEP_2)
	v_cmp_gt_f32_e32 vcc_lo, 0xc2fc0000, v2
	v_cndmask_b32_e64 v2, 0, 0x42800000, vcc_lo
	v_cndmask_b32_e64 v4, 1.0, 0x1f800000, vcc_lo
	v_fmac_f32_e32 v2, 0x3fb8aa3b, v1
	s_delay_alu instid0(VALU_DEP_1) | instskip(SKIP_2) | instid1(VALU_DEP_1)
	v_exp_f32_e32 v2, v2
	s_waitcnt_depctr 0xfff
	v_fma_f32 v2, v2, v4, 1.0
	v_cmp_gt_f32_e32 vcc_lo, 0x800000, v2
	v_cndmask_b32_e64 v4, 1.0, 0x4f800000, vcc_lo
	s_delay_alu instid0(VALU_DEP_1) | instskip(SKIP_2) | instid1(VALU_DEP_3)
	v_mul_f32_e32 v2, v2, v4
	v_cndmask_b32_e64 v4, 0, 0x42000000, vcc_lo
	v_cmp_lt_f32_e32 vcc_lo, 0x41a00000, v1
	v_log_f32_e32 v2, v2
	s_waitcnt_depctr 0xfff
	v_sub_f32_e32 v2, v2, v4
	s_delay_alu instid0(VALU_DEP_1) | instskip(NEXT) | instid1(VALU_DEP_1)
	v_mul_f32_e32 v2, 0x3f317218, v2
	v_cndmask_b32_e32 v1, v2, v1, vcc_lo
	s_delay_alu instid0(VALU_DEP_1) | instskip(SKIP_1) | instid1(VALU_DEP_2)
	v_mul_f32_e32 v2, 0x4f800000, v1
	v_cmp_gt_f32_e32 vcc_lo, 0xf800000, v1
	v_cndmask_b32_e32 v1, v1, v2, vcc_lo
	s_delay_alu instid0(VALU_DEP_1) | instskip(SKIP_3) | instid1(VALU_DEP_2)
	v_sqrt_f32_e32 v2, v1
	s_waitcnt_depctr 0xfff
	v_add_nc_u32_e32 v4, -1, v2
	v_add_nc_u32_e32 v5, 1, v2
	v_fma_f32 v6, -v4, v2, v1
	s_delay_alu instid0(VALU_DEP_2) | instskip(NEXT) | instid1(VALU_DEP_2)
	v_fma_f32 v7, -v5, v2, v1
	v_cmp_ge_f32_e64 s2, 0, v6
	s_delay_alu instid0(VALU_DEP_1) | instskip(NEXT) | instid1(VALU_DEP_3)
	v_cndmask_b32_e64 v2, v2, v4, s2
	v_cmp_lt_f32_e64 s2, 0, v7
	s_delay_alu instid0(VALU_DEP_1) | instskip(NEXT) | instid1(VALU_DEP_1)
	v_cndmask_b32_e64 v2, v2, v5, s2
	v_mul_f32_e32 v4, 0x37800000, v2
	s_delay_alu instid0(VALU_DEP_1) | instskip(SKIP_1) | instid1(VALU_DEP_2)
	v_cndmask_b32_e32 v2, v2, v4, vcc_lo
	v_cmp_class_f32_e64 vcc_lo, v1, 0x260
	v_dual_cndmask_b32 v5, v2, v1 :: v_dual_lshlrev_b32 v4, 1, v0
	v_add_co_u32 v1, s2, s4, v3
	s_delay_alu instid0(VALU_DEP_1) | instskip(NEXT) | instid1(VALU_DEP_3)
	v_add_co_ci_u32_e64 v2, null, s5, 0, s2
	v_mov_b32_e32 v6, v5
	s_and_b32 vcc_lo, exec_lo, s3
	s_cbranch_vccz .LBB91_2
; %bb.1:
	global_load_u16 v6, v4, s[6:7]
	s_waitcnt vmcnt(0)
	v_lshlrev_b32_e32 v6, 16, v6
	s_delay_alu instid0(VALU_DEP_1)
	v_add_f32_e32 v6, v5, v6
.LBB91_2:
	global_load_b32 v7, v[1:2], off offset:128
	s_waitcnt vmcnt(0)
	v_mul_f32_e32 v8, 0x3fb8aa3b, v7
	s_delay_alu instid0(VALU_DEP_1) | instskip(SKIP_2) | instid1(VALU_DEP_2)
	v_cmp_gt_f32_e32 vcc_lo, 0xc2fc0000, v8
	v_cndmask_b32_e64 v9, 0, 0x42800000, vcc_lo
	v_cndmask_b32_e64 v8, 1.0, 0x1f800000, vcc_lo
	v_fmac_f32_e32 v9, 0x3fb8aa3b, v7
	s_delay_alu instid0(VALU_DEP_1) | instskip(SKIP_2) | instid1(VALU_DEP_1)
	v_exp_f32_e32 v9, v9
	s_waitcnt_depctr 0xfff
	v_fma_f32 v8, v9, v8, 1.0
	v_cmp_gt_f32_e32 vcc_lo, 0x800000, v8
	v_cndmask_b32_e64 v9, 1.0, 0x4f800000, vcc_lo
	s_delay_alu instid0(VALU_DEP_1) | instskip(SKIP_2) | instid1(VALU_DEP_3)
	v_mul_f32_e32 v8, v8, v9
	v_cndmask_b32_e64 v9, 0, 0x42000000, vcc_lo
	v_cmp_lt_f32_e32 vcc_lo, 0x41a00000, v7
	v_log_f32_e32 v8, v8
	s_waitcnt_depctr 0xfff
	v_sub_f32_e32 v8, v8, v9
	s_delay_alu instid0(VALU_DEP_1) | instskip(NEXT) | instid1(VALU_DEP_1)
	v_mul_f32_e32 v8, 0x3f317218, v8
	v_cndmask_b32_e32 v7, v8, v7, vcc_lo
	s_delay_alu instid0(VALU_DEP_1) | instskip(SKIP_1) | instid1(VALU_DEP_2)
	v_mul_f32_e32 v8, 0x4f800000, v7
	v_cmp_gt_f32_e32 vcc_lo, 0xf800000, v7
	v_cndmask_b32_e32 v7, v7, v8, vcc_lo
	s_delay_alu instid0(VALU_DEP_1) | instskip(SKIP_3) | instid1(VALU_DEP_2)
	v_sqrt_f32_e32 v8, v7
	s_waitcnt_depctr 0xfff
	v_add_nc_u32_e32 v9, -1, v8
	v_add_nc_u32_e32 v10, 1, v8
	v_fma_f32 v11, -v9, v8, v7
	s_delay_alu instid0(VALU_DEP_2) | instskip(NEXT) | instid1(VALU_DEP_2)
	v_fma_f32 v12, -v10, v8, v7
	v_cmp_ge_f32_e64 s2, 0, v11
	s_delay_alu instid0(VALU_DEP_1) | instskip(NEXT) | instid1(VALU_DEP_3)
	v_cndmask_b32_e64 v8, v8, v9, s2
	v_cmp_lt_f32_e64 s2, 0, v12
	s_delay_alu instid0(VALU_DEP_1) | instskip(NEXT) | instid1(VALU_DEP_1)
	v_cndmask_b32_e64 v8, v8, v10, s2
	v_mul_f32_e32 v9, 0x37800000, v8
	s_delay_alu instid0(VALU_DEP_1) | instskip(SKIP_2) | instid1(VALU_DEP_3)
	v_cndmask_b32_e32 v9, v8, v9, vcc_lo
	v_cmp_class_f32_e64 vcc_lo, v7, 0x260
	v_cndmask_b32_e64 v8, 0, 1, s3
	v_cndmask_b32_e32 v9, v9, v7, vcc_lo
	s_and_not1_b32 vcc_lo, exec_lo, s3
	s_delay_alu instid0(VALU_DEP_1)
	v_mov_b32_e32 v10, v9
	s_cbranch_vccnz .LBB91_4
; %bb.3:
	global_load_u16 v7, v4, s[6:7] offset:64
	s_waitcnt vmcnt(0)
	v_lshlrev_b32_e32 v7, 16, v7
	s_delay_alu instid0(VALU_DEP_1)
	v_add_f32_e32 v10, v9, v7
.LBB91_4:
	global_load_b32 v7, v[1:2], off offset:256
	s_waitcnt vmcnt(0)
	v_mul_f32_e32 v11, 0x3fb8aa3b, v7
	s_delay_alu instid0(VALU_DEP_1) | instskip(SKIP_2) | instid1(VALU_DEP_2)
	v_cmp_gt_f32_e32 vcc_lo, 0xc2fc0000, v11
	v_cndmask_b32_e64 v12, 0, 0x42800000, vcc_lo
	v_cndmask_b32_e64 v11, 1.0, 0x1f800000, vcc_lo
	v_fmac_f32_e32 v12, 0x3fb8aa3b, v7
	s_delay_alu instid0(VALU_DEP_1) | instskip(SKIP_2) | instid1(VALU_DEP_1)
	v_exp_f32_e32 v12, v12
	s_waitcnt_depctr 0xfff
	v_fma_f32 v11, v12, v11, 1.0
	v_cmp_gt_f32_e32 vcc_lo, 0x800000, v11
	v_cndmask_b32_e64 v12, 1.0, 0x4f800000, vcc_lo
	s_delay_alu instid0(VALU_DEP_1) | instskip(SKIP_2) | instid1(VALU_DEP_3)
	v_mul_f32_e32 v11, v11, v12
	v_cndmask_b32_e64 v12, 0, 0x42000000, vcc_lo
	v_cmp_lt_f32_e32 vcc_lo, 0x41a00000, v7
	v_log_f32_e32 v11, v11
	s_waitcnt_depctr 0xfff
	v_sub_f32_e32 v11, v11, v12
	s_delay_alu instid0(VALU_DEP_1) | instskip(NEXT) | instid1(VALU_DEP_1)
	v_mul_f32_e32 v11, 0x3f317218, v11
	v_cndmask_b32_e32 v7, v11, v7, vcc_lo
	s_delay_alu instid0(VALU_DEP_1) | instskip(SKIP_1) | instid1(VALU_DEP_2)
	v_mul_f32_e32 v11, 0x4f800000, v7
	v_cmp_gt_f32_e32 vcc_lo, 0xf800000, v7
	v_cndmask_b32_e32 v7, v7, v11, vcc_lo
	s_delay_alu instid0(VALU_DEP_1) | instskip(SKIP_3) | instid1(VALU_DEP_2)
	v_sqrt_f32_e32 v11, v7
	s_waitcnt_depctr 0xfff
	v_add_nc_u32_e32 v12, -1, v11
	v_add_nc_u32_e32 v13, 1, v11
	v_fma_f32 v14, -v12, v11, v7
	s_delay_alu instid0(VALU_DEP_2) | instskip(NEXT) | instid1(VALU_DEP_2)
	v_fma_f32 v15, -v13, v11, v7
	v_cmp_ge_f32_e64 s2, 0, v14
	s_delay_alu instid0(VALU_DEP_1) | instskip(NEXT) | instid1(VALU_DEP_3)
	v_cndmask_b32_e64 v11, v11, v12, s2
	v_cmp_lt_f32_e64 s2, 0, v15
	s_delay_alu instid0(VALU_DEP_1) | instskip(NEXT) | instid1(VALU_DEP_1)
	v_cndmask_b32_e64 v11, v11, v13, s2
	v_mul_f32_e32 v12, 0x37800000, v11
	s_delay_alu instid0(VALU_DEP_1) | instskip(SKIP_1) | instid1(VALU_DEP_2)
	v_cndmask_b32_e32 v11, v11, v12, vcc_lo
	v_cmp_class_f32_e64 vcc_lo, v7, 0x260
	v_cndmask_b32_e32 v12, v11, v7, vcc_lo
	v_cmp_ne_u32_e32 vcc_lo, 1, v8
	s_delay_alu instid0(VALU_DEP_2)
	v_mov_b32_e32 v7, v12
	s_cbranch_vccnz .LBB91_6
; %bb.5:
	global_load_u16 v7, v4, s[6:7] offset:128
	s_waitcnt vmcnt(0)
	v_lshlrev_b32_e32 v7, 16, v7
	s_delay_alu instid0(VALU_DEP_1)
	v_add_f32_e32 v7, v12, v7
.LBB91_6:
	global_load_b32 v1, v[1:2], off offset:384
	s_waitcnt vmcnt(0)
	v_mul_f32_e32 v2, 0x3fb8aa3b, v1
	s_delay_alu instid0(VALU_DEP_1) | instskip(SKIP_2) | instid1(VALU_DEP_2)
	v_cmp_gt_f32_e32 vcc_lo, 0xc2fc0000, v2
	v_cndmask_b32_e64 v11, 0, 0x42800000, vcc_lo
	v_cndmask_b32_e64 v2, 1.0, 0x1f800000, vcc_lo
	v_fmac_f32_e32 v11, 0x3fb8aa3b, v1
	s_delay_alu instid0(VALU_DEP_1) | instskip(SKIP_2) | instid1(VALU_DEP_1)
	v_exp_f32_e32 v11, v11
	s_waitcnt_depctr 0xfff
	v_fma_f32 v2, v11, v2, 1.0
	v_cmp_gt_f32_e32 vcc_lo, 0x800000, v2
	v_cndmask_b32_e64 v11, 1.0, 0x4f800000, vcc_lo
	s_delay_alu instid0(VALU_DEP_1) | instskip(SKIP_2) | instid1(VALU_DEP_3)
	v_mul_f32_e32 v2, v2, v11
	v_cndmask_b32_e64 v11, 0, 0x42000000, vcc_lo
	v_cmp_lt_f32_e32 vcc_lo, 0x41a00000, v1
	v_log_f32_e32 v2, v2
	s_waitcnt_depctr 0xfff
	v_sub_f32_e32 v2, v2, v11
	s_delay_alu instid0(VALU_DEP_1) | instskip(NEXT) | instid1(VALU_DEP_1)
	v_mul_f32_e32 v2, 0x3f317218, v2
	v_cndmask_b32_e32 v1, v2, v1, vcc_lo
	s_delay_alu instid0(VALU_DEP_1) | instskip(SKIP_1) | instid1(VALU_DEP_2)
	v_mul_f32_e32 v2, 0x4f800000, v1
	v_cmp_gt_f32_e32 vcc_lo, 0xf800000, v1
	v_cndmask_b32_e32 v1, v1, v2, vcc_lo
	s_delay_alu instid0(VALU_DEP_1) | instskip(SKIP_3) | instid1(VALU_DEP_2)
	v_sqrt_f32_e32 v2, v1
	s_waitcnt_depctr 0xfff
	v_add_nc_u32_e32 v11, -1, v2
	v_add_nc_u32_e32 v13, 1, v2
	v_fma_f32 v14, -v11, v2, v1
	s_delay_alu instid0(VALU_DEP_2) | instskip(NEXT) | instid1(VALU_DEP_2)
	v_fma_f32 v15, -v13, v2, v1
	v_cmp_ge_f32_e64 s2, 0, v14
	s_delay_alu instid0(VALU_DEP_1) | instskip(NEXT) | instid1(VALU_DEP_3)
	v_cndmask_b32_e64 v2, v2, v11, s2
	v_cmp_lt_f32_e64 s2, 0, v15
	s_delay_alu instid0(VALU_DEP_1) | instskip(NEXT) | instid1(VALU_DEP_1)
	v_cndmask_b32_e64 v2, v2, v13, s2
	v_mul_f32_e32 v11, 0x37800000, v2
	s_delay_alu instid0(VALU_DEP_1) | instskip(SKIP_1) | instid1(VALU_DEP_2)
	v_cndmask_b32_e32 v2, v2, v11, vcc_lo
	v_cmp_class_f32_e64 vcc_lo, v1, 0x260
	v_cndmask_b32_e32 v1, v2, v1, vcc_lo
	v_cmp_ne_u32_e32 vcc_lo, 1, v8
	s_delay_alu instid0(VALU_DEP_2)
	v_mov_b32_e32 v2, v1
	s_cbranch_vccnz .LBB91_8
; %bb.7:
	global_load_u16 v2, v4, s[6:7] offset:192
	s_waitcnt vmcnt(0)
	v_lshlrev_b32_e32 v2, 16, v2
	s_delay_alu instid0(VALU_DEP_1)
	v_add_f32_e32 v2, v1, v2
.LBB91_8:
	v_cmp_lt_f32_e32 vcc_lo, v6, v10
	v_add_nc_u32_e32 v13, 32, v0
	v_dual_mov_b32 v17, v7 :: v_dual_add_nc_u32 v4, 0x60, v0
	s_mov_b32 s2, exec_lo
	v_cndmask_b32_e32 v8, v9, v5, vcc_lo
	v_cndmask_b32_e32 v5, v5, v9, vcc_lo
	v_dual_cndmask_b32 v14, v0, v13 :: v_dual_add_nc_u32 v15, 64, v0
	v_cndmask_b32_e32 v11, v13, v0, vcc_lo
	v_cndmask_b32_e32 v9, v10, v6, vcc_lo
	;; [unrolled: 1-line block ×3, first 2 shown]
	v_cmpx_lt_f32_e32 v7, v2
	s_xor_b32 s2, exec_lo, s2
; %bb.9:
	v_dual_mov_b32 v16, v7 :: v_dual_mov_b32 v7, v2
	v_dual_mov_b32 v6, v12 :: v_dual_mov_b32 v13, v15
	v_swap_b32 v12, v1
	v_swap_b32 v15, v4
	s_delay_alu instid0(VALU_DEP_4)
	v_dual_mov_b32 v17, v2 :: v_dual_mov_b32 v2, v16
; %bb.10:
	s_or_b32 exec_lo, exec_lo, s2
	v_cmp_lt_f32_e32 vcc_lo, v10, v7
	s_mov_b32 s2, exec_lo
	v_dual_cndmask_b32 v16, v12, v5 :: v_dual_cndmask_b32 v5, v5, v12
	v_dual_cndmask_b32 v13, v15, v14 :: v_dual_cndmask_b32 v6, v14, v15
	;; [unrolled: 1-line block ×3, first 2 shown]
	v_mov_b32_e32 v15, v9
	v_cmpx_lt_f32_e32 v9, v2
; %bb.11:
	v_dual_mov_b32 v10, v8 :: v_dual_mov_b32 v17, v9
	v_dual_mov_b32 v12, v11 :: v_dual_mov_b32 v9, v2
	v_swap_b32 v8, v1
	v_swap_b32 v11, v4
	s_delay_alu instid0(VALU_DEP_4)
	v_dual_mov_b32 v15, v2 :: v_dual_mov_b32 v2, v17
; %bb.12:
	s_or_b32 exec_lo, exec_lo, s2
	s_clause 0x1
	s_load_b32 s8, s[0:1], 0x28
	s_load_b128 s[4:7], s[0:1], 0x10
	v_mov_b32_e32 v10, 0
	s_waitcnt lgkmcnt(0)
	s_cmp_lt_i32 s8, 1
	s_cbranch_scc1 .LBB91_18
; %bb.13:
	v_cmp_lt_f32_e32 vcc_lo, v9, v14
	v_mov_b32_e32 v18, v0
	s_mov_b32 s9, 0x76543210
	s_mov_b32 s10, s8
	v_mov_b32_e32 v10, 0
	v_dual_cndmask_b32 v12, v13, v11 :: v_dual_cndmask_b32 v11, v11, v13
	v_dual_cndmask_b32 v13, v14, v9 :: v_dual_cndmask_b32 v14, v15, v14
	v_cndmask_b32_e32 v15, v16, v8, vcc_lo
	v_dual_cndmask_b32 v16, v8, v16 :: v_dual_mov_b32 v17, 0
	v_dual_mov_b32 v8, 0 :: v_dual_mov_b32 v9, 0
.LBB91_14:                              ; =>This Inner Loop Header: Depth=1
	s_delay_alu instid0(VALU_DEP_2) | instskip(SKIP_4) | instid1(VALU_DEP_3)
	v_cmp_eq_u32_e32 vcc_lo, 1, v17
	v_cmp_eq_u32_e64 s2, 2, v17
	v_dual_cndmask_b32 v19, v7, v14 :: v_dual_cndmask_b32 v20, v6, v11
	v_cndmask_b32_e32 v21, v5, v16, vcc_lo
	v_cmp_eq_u32_e32 vcc_lo, 3, v17
	v_cndmask_b32_e64 v19, v19, v13, s2
	s_delay_alu instid0(VALU_DEP_4) | instskip(NEXT) | instid1(VALU_DEP_4)
	v_cndmask_b32_e64 v20, v20, v12, s2
	v_cndmask_b32_e64 v21, v21, v15, s2
	v_cmp_gt_u32_e64 s2, 4, v17
	s_delay_alu instid0(VALU_DEP_3) | instskip(NEXT) | instid1(VALU_DEP_1)
	v_dual_cndmask_b32 v19, v19, v2 :: v_dual_cndmask_b32 v20, v20, v4
	v_cndmask_b32_e64 v19, 0xff800000, v19, s2
	;;#ASMSTART
	v_max_f32 v23, v19, v19 quad_perm:[1,0,3,2] row_mask:0xf bank_mask:0xf bound_ctrl:1
	;;#ASMEND
	;;#ASMSTART
	v_max_f32 v24, v23, v23 quad_perm:[2,3,0,1] row_mask:0xf bank_mask:0xf bound_ctrl:1
	;;#ASMEND
	;;#ASMSTART
	v_max_f32 v23, v24, v24 row_half_mirror row_mask:0xf bank_mask:0xf bound_ctrl:1
	;;#ASMEND
	;;#ASMSTART
	v_max_f32 v24, v23, v23 row_mirror row_mask:0xf bank_mask:0xf bound_ctrl:1
	;;#ASMEND
	v_permlanex16_b32 v23, v24, s9, 0xfedcba98 op_sel:[1,1]
	v_max_f32_e32 v24, v24, v24
	v_cndmask_b32_e64 v22, 0, v20, s2
	s_delay_alu instid0(VALU_DEP_3) | instskip(NEXT) | instid1(VALU_DEP_1)
	v_max_f32_e32 v23, v23, v23
	v_max_f32_e32 v23, v24, v23
	s_delay_alu instid0(VALU_DEP_1) | instskip(SKIP_1) | instid1(VALU_DEP_2)
	v_cmp_eq_f32_e64 s3, v19, v23
	v_cndmask_b32_e32 v19, v21, v1, vcc_lo
	s_ctz_i32_b32 s11, s3
	s_cmp_lg_u32 s3, 0
	s_cselect_b32 s3, s11, 0
	s_add_i32 s10, s10, -1
	v_readlane_b32 s3, v22, s3
	s_delay_alu instid0(VALU_DEP_1)
	v_cmp_eq_u32_e32 vcc_lo, s3, v20
	s_and_b32 vcc_lo, s2, vcc_lo
	s_and_b32 s2, s3, 31
	v_cndmask_b32_e32 v19, 0, v19, vcc_lo
	v_add_co_ci_u32_e32 v17, vcc_lo, 0, v17, vcc_lo
	s_cmp_eq_u32 s10, 0
	s_delay_alu instid0(VALU_DEP_2) | instskip(SKIP_2) | instid1(VALU_DEP_3)
	v_readlane_b32 s11, v19, s2
	v_cmp_eq_u32_e64 s2, 0, v18
	v_add_nc_u32_e32 v18, -1, v18
	v_add_f32_e32 v10, s11, v10
	s_delay_alu instid0(VALU_DEP_3)
	v_cndmask_b32_e64 v9, v9, s11, s2
	v_cndmask_b32_e64 v8, v8, s3, s2
	s_cbranch_scc0 .LBB91_14
; %bb.15:
	s_mov_b32 s2, exec_lo
	v_cmpx_gt_i32_e64 s8, v0
	s_cbranch_execz .LBB91_17
.LBB91_16:
	s_load_b32 s2, s[0:1], 0x30
	v_max_f32_e32 v0, v10, v10
	s_load_b64 s[0:1], s[0:1], 0x20
	s_ashr_i32 s3, s15, 31
	s_delay_alu instid0(VALU_DEP_1) | instskip(SKIP_1) | instid1(VALU_DEP_1)
	v_max_f32_e32 v0, 0x1e3ce508, v0
	s_waitcnt lgkmcnt(0)
	v_div_scale_f32 v1, null, v0, v0, s2
	v_div_scale_f32 v5, vcc_lo, s2, v0, s2
	s_mul_i32 s1, s15, s1
	s_delay_alu instid0(VALU_DEP_2)
	v_rcp_f32_e32 v2, v1
	s_mul_hi_u32 s8, s15, s0
	s_mul_i32 s3, s3, s0
	s_add_i32 s1, s8, s1
	s_mul_i32 s0, s15, s0
	s_add_i32 s1, s1, s3
	s_delay_alu instid0(SALU_CYCLE_1) | instskip(SKIP_2) | instid1(VALU_DEP_1)
	s_lshl_b64 s[0:1], s[0:1], 2
	s_waitcnt_depctr 0xfff
	v_fma_f32 v4, -v1, v2, 1.0
	v_fmac_f32_e32 v2, v4, v2
	s_delay_alu instid0(VALU_DEP_1) | instskip(NEXT) | instid1(VALU_DEP_1)
	v_mul_f32_e32 v4, v5, v2
	v_fma_f32 v6, -v1, v4, v5
	s_delay_alu instid0(VALU_DEP_1) | instskip(NEXT) | instid1(VALU_DEP_1)
	v_fmac_f32_e32 v4, v6, v2
	v_fma_f32 v1, -v1, v4, v5
	s_delay_alu instid0(VALU_DEP_1) | instskip(NEXT) | instid1(VALU_DEP_1)
	v_div_fmas_f32 v1, v1, v2, v4
	v_div_fixup_f32 v0, v1, v0, s2
	s_add_u32 s2, s4, s0
	s_addc_u32 s3, s5, s1
	s_add_u32 s0, s6, s0
	s_addc_u32 s1, s7, s1
	v_mul_f32_e32 v0, v9, v0
	s_clause 0x1
	global_store_b32 v3, v0, s[2:3]
	global_store_b32 v3, v8, s[0:1]
.LBB91_17:
	s_nop 0
	s_sendmsg sendmsg(MSG_DEALLOC_VGPRS)
	s_endpgm
.LBB91_18:
	v_dual_mov_b32 v8, 0 :: v_dual_mov_b32 v9, 0
	s_mov_b32 s2, exec_lo
	v_cmpx_gt_i32_e64 s8, v0
	s_cbranch_execnz .LBB91_16
	s_branch .LBB91_17
	.section	.rodata,"a",@progbits
	.p2align	6, 0x0
	.amdhsa_kernel _ZN5aiter24topk_softplus_kernel_optIf12hip_bfloat16Li128ELb1ELi0EEEvPKT_PKT0_PfPimiif
		.amdhsa_group_segment_fixed_size 0
		.amdhsa_private_segment_fixed_size 0
		.amdhsa_kernarg_size 52
		.amdhsa_user_sgpr_count 15
		.amdhsa_user_sgpr_dispatch_ptr 0
		.amdhsa_user_sgpr_queue_ptr 0
		.amdhsa_user_sgpr_kernarg_segment_ptr 1
		.amdhsa_user_sgpr_dispatch_id 0
		.amdhsa_user_sgpr_private_segment_size 0
		.amdhsa_wavefront_size32 1
		.amdhsa_uses_dynamic_stack 0
		.amdhsa_enable_private_segment 0
		.amdhsa_system_sgpr_workgroup_id_x 1
		.amdhsa_system_sgpr_workgroup_id_y 0
		.amdhsa_system_sgpr_workgroup_id_z 0
		.amdhsa_system_sgpr_workgroup_info 0
		.amdhsa_system_vgpr_workitem_id 0
		.amdhsa_next_free_vgpr 25
		.amdhsa_next_free_sgpr 16
		.amdhsa_reserve_vcc 1
		.amdhsa_float_round_mode_32 0
		.amdhsa_float_round_mode_16_64 0
		.amdhsa_float_denorm_mode_32 3
		.amdhsa_float_denorm_mode_16_64 3
		.amdhsa_dx10_clamp 1
		.amdhsa_ieee_mode 1
		.amdhsa_fp16_overflow 0
		.amdhsa_workgroup_processor_mode 1
		.amdhsa_memory_ordered 1
		.amdhsa_forward_progress 0
		.amdhsa_shared_vgpr_count 0
		.amdhsa_exception_fp_ieee_invalid_op 0
		.amdhsa_exception_fp_denorm_src 0
		.amdhsa_exception_fp_ieee_div_zero 0
		.amdhsa_exception_fp_ieee_overflow 0
		.amdhsa_exception_fp_ieee_underflow 0
		.amdhsa_exception_fp_ieee_inexact 0
		.amdhsa_exception_int_div_zero 0
	.end_amdhsa_kernel
	.section	.text._ZN5aiter24topk_softplus_kernel_optIf12hip_bfloat16Li128ELb1ELi0EEEvPKT_PKT0_PfPimiif,"axG",@progbits,_ZN5aiter24topk_softplus_kernel_optIf12hip_bfloat16Li128ELb1ELi0EEEvPKT_PKT0_PfPimiif,comdat
.Lfunc_end91:
	.size	_ZN5aiter24topk_softplus_kernel_optIf12hip_bfloat16Li128ELb1ELi0EEEvPKT_PKT0_PfPimiif, .Lfunc_end91-_ZN5aiter24topk_softplus_kernel_optIf12hip_bfloat16Li128ELb1ELi0EEEvPKT_PKT0_PfPimiif
                                        ; -- End function
	.section	.AMDGPU.csdata,"",@progbits
; Kernel info:
; codeLenInByte = 2284
; NumSgprs: 18
; NumVgprs: 25
; ScratchSize: 0
; MemoryBound: 0
; FloatMode: 240
; IeeeMode: 1
; LDSByteSize: 0 bytes/workgroup (compile time only)
; SGPRBlocks: 2
; VGPRBlocks: 3
; NumSGPRsForWavesPerEU: 18
; NumVGPRsForWavesPerEU: 25
; Occupancy: 16
; WaveLimiterHint : 0
; COMPUTE_PGM_RSRC2:SCRATCH_EN: 0
; COMPUTE_PGM_RSRC2:USER_SGPR: 15
; COMPUTE_PGM_RSRC2:TRAP_HANDLER: 0
; COMPUTE_PGM_RSRC2:TGID_X_EN: 1
; COMPUTE_PGM_RSRC2:TGID_Y_EN: 0
; COMPUTE_PGM_RSRC2:TGID_Z_EN: 0
; COMPUTE_PGM_RSRC2:TIDIG_COMP_CNT: 0
	.section	.text._ZN5aiter24topk_softplus_kernel_optIf12hip_bfloat16Li128ELb0ELi0EEEvPKT_PKT0_PfPimiif,"axG",@progbits,_ZN5aiter24topk_softplus_kernel_optIf12hip_bfloat16Li128ELb0ELi0EEEvPKT_PKT0_PfPimiif,comdat
	.protected	_ZN5aiter24topk_softplus_kernel_optIf12hip_bfloat16Li128ELb0ELi0EEEvPKT_PKT0_PfPimiif ; -- Begin function _ZN5aiter24topk_softplus_kernel_optIf12hip_bfloat16Li128ELb0ELi0EEEvPKT_PKT0_PfPimiif
	.globl	_ZN5aiter24topk_softplus_kernel_optIf12hip_bfloat16Li128ELb0ELi0EEEvPKT_PKT0_PfPimiif
	.p2align	8
	.type	_ZN5aiter24topk_softplus_kernel_optIf12hip_bfloat16Li128ELb0ELi0EEEvPKT_PKT0_PfPimiif,@function
_ZN5aiter24topk_softplus_kernel_optIf12hip_bfloat16Li128ELb0ELi0EEEvPKT_PKT0_PfPimiif: ; @_ZN5aiter24topk_softplus_kernel_optIf12hip_bfloat16Li128ELb0ELi0EEEvPKT_PKT0_PfPimiif
; %bb.0:
	s_load_b128 s[4:7], s[0:1], 0x0
	s_lshl_b32 s2, s15, 7
	v_lshlrev_b32_e32 v3, 2, v0
	s_ashr_i32 s3, s2, 31
	s_delay_alu instid0(SALU_CYCLE_1)
	s_lshl_b64 s[2:3], s[2:3], 2
	s_waitcnt lgkmcnt(0)
	s_add_u32 s4, s4, s2
	s_addc_u32 s5, s5, s3
	s_cmp_lg_u64 s[6:7], 0
	global_load_b32 v1, v3, s[4:5]
	s_cselect_b32 s3, -1, 0
	s_waitcnt vmcnt(0)
	v_mul_f32_e32 v2, 0x3fb8aa3b, v1
	s_delay_alu instid0(VALU_DEP_1) | instskip(SKIP_2) | instid1(VALU_DEP_2)
	v_cmp_gt_f32_e32 vcc_lo, 0xc2fc0000, v2
	v_cndmask_b32_e64 v2, 0, 0x42800000, vcc_lo
	v_cndmask_b32_e64 v4, 1.0, 0x1f800000, vcc_lo
	v_fmac_f32_e32 v2, 0x3fb8aa3b, v1
	s_delay_alu instid0(VALU_DEP_1) | instskip(SKIP_2) | instid1(VALU_DEP_1)
	v_exp_f32_e32 v2, v2
	s_waitcnt_depctr 0xfff
	v_fma_f32 v2, v2, v4, 1.0
	v_cmp_gt_f32_e32 vcc_lo, 0x800000, v2
	v_cndmask_b32_e64 v4, 1.0, 0x4f800000, vcc_lo
	s_delay_alu instid0(VALU_DEP_1) | instskip(SKIP_2) | instid1(VALU_DEP_3)
	v_mul_f32_e32 v2, v2, v4
	v_cndmask_b32_e64 v4, 0, 0x42000000, vcc_lo
	v_cmp_lt_f32_e32 vcc_lo, 0x41a00000, v1
	v_log_f32_e32 v2, v2
	s_waitcnt_depctr 0xfff
	v_sub_f32_e32 v2, v2, v4
	s_delay_alu instid0(VALU_DEP_1) | instskip(NEXT) | instid1(VALU_DEP_1)
	v_mul_f32_e32 v2, 0x3f317218, v2
	v_cndmask_b32_e32 v1, v2, v1, vcc_lo
	s_delay_alu instid0(VALU_DEP_1) | instskip(SKIP_1) | instid1(VALU_DEP_2)
	v_mul_f32_e32 v2, 0x4f800000, v1
	v_cmp_gt_f32_e32 vcc_lo, 0xf800000, v1
	v_cndmask_b32_e32 v1, v1, v2, vcc_lo
	s_delay_alu instid0(VALU_DEP_1) | instskip(SKIP_3) | instid1(VALU_DEP_2)
	v_sqrt_f32_e32 v2, v1
	s_waitcnt_depctr 0xfff
	v_add_nc_u32_e32 v4, -1, v2
	v_add_nc_u32_e32 v5, 1, v2
	v_fma_f32 v6, -v4, v2, v1
	s_delay_alu instid0(VALU_DEP_2) | instskip(NEXT) | instid1(VALU_DEP_2)
	v_fma_f32 v7, -v5, v2, v1
	v_cmp_ge_f32_e64 s2, 0, v6
	s_delay_alu instid0(VALU_DEP_1) | instskip(NEXT) | instid1(VALU_DEP_3)
	v_cndmask_b32_e64 v2, v2, v4, s2
	v_cmp_lt_f32_e64 s2, 0, v7
	s_delay_alu instid0(VALU_DEP_1) | instskip(NEXT) | instid1(VALU_DEP_1)
	v_cndmask_b32_e64 v2, v2, v5, s2
	v_mul_f32_e32 v4, 0x37800000, v2
	s_delay_alu instid0(VALU_DEP_1) | instskip(SKIP_1) | instid1(VALU_DEP_2)
	v_cndmask_b32_e32 v2, v2, v4, vcc_lo
	v_cmp_class_f32_e64 vcc_lo, v1, 0x260
	v_dual_cndmask_b32 v5, v2, v1 :: v_dual_lshlrev_b32 v4, 1, v0
	v_add_co_u32 v1, s2, s4, v3
	s_delay_alu instid0(VALU_DEP_1) | instskip(NEXT) | instid1(VALU_DEP_3)
	v_add_co_ci_u32_e64 v2, null, s5, 0, s2
	v_mov_b32_e32 v6, v5
	s_and_b32 vcc_lo, exec_lo, s3
	s_cbranch_vccz .LBB92_2
; %bb.1:
	global_load_u16 v6, v4, s[6:7]
	s_waitcnt vmcnt(0)
	v_lshlrev_b32_e32 v6, 16, v6
	s_delay_alu instid0(VALU_DEP_1)
	v_add_f32_e32 v6, v5, v6
.LBB92_2:
	global_load_b32 v7, v[1:2], off offset:128
	s_waitcnt vmcnt(0)
	v_mul_f32_e32 v8, 0x3fb8aa3b, v7
	s_delay_alu instid0(VALU_DEP_1) | instskip(SKIP_2) | instid1(VALU_DEP_2)
	v_cmp_gt_f32_e32 vcc_lo, 0xc2fc0000, v8
	v_cndmask_b32_e64 v9, 0, 0x42800000, vcc_lo
	v_cndmask_b32_e64 v8, 1.0, 0x1f800000, vcc_lo
	v_fmac_f32_e32 v9, 0x3fb8aa3b, v7
	s_delay_alu instid0(VALU_DEP_1) | instskip(SKIP_2) | instid1(VALU_DEP_1)
	v_exp_f32_e32 v9, v9
	s_waitcnt_depctr 0xfff
	v_fma_f32 v8, v9, v8, 1.0
	v_cmp_gt_f32_e32 vcc_lo, 0x800000, v8
	v_cndmask_b32_e64 v9, 1.0, 0x4f800000, vcc_lo
	s_delay_alu instid0(VALU_DEP_1) | instskip(SKIP_2) | instid1(VALU_DEP_3)
	v_mul_f32_e32 v8, v8, v9
	v_cndmask_b32_e64 v9, 0, 0x42000000, vcc_lo
	v_cmp_lt_f32_e32 vcc_lo, 0x41a00000, v7
	v_log_f32_e32 v8, v8
	s_waitcnt_depctr 0xfff
	v_sub_f32_e32 v8, v8, v9
	s_delay_alu instid0(VALU_DEP_1) | instskip(NEXT) | instid1(VALU_DEP_1)
	v_mul_f32_e32 v8, 0x3f317218, v8
	v_cndmask_b32_e32 v7, v8, v7, vcc_lo
	s_delay_alu instid0(VALU_DEP_1) | instskip(SKIP_1) | instid1(VALU_DEP_2)
	v_mul_f32_e32 v8, 0x4f800000, v7
	v_cmp_gt_f32_e32 vcc_lo, 0xf800000, v7
	v_cndmask_b32_e32 v7, v7, v8, vcc_lo
	s_delay_alu instid0(VALU_DEP_1) | instskip(SKIP_3) | instid1(VALU_DEP_2)
	v_sqrt_f32_e32 v8, v7
	s_waitcnt_depctr 0xfff
	v_add_nc_u32_e32 v9, -1, v8
	v_add_nc_u32_e32 v10, 1, v8
	v_fma_f32 v11, -v9, v8, v7
	s_delay_alu instid0(VALU_DEP_2) | instskip(NEXT) | instid1(VALU_DEP_2)
	v_fma_f32 v12, -v10, v8, v7
	v_cmp_ge_f32_e64 s2, 0, v11
	s_delay_alu instid0(VALU_DEP_1) | instskip(NEXT) | instid1(VALU_DEP_3)
	v_cndmask_b32_e64 v8, v8, v9, s2
	v_cmp_lt_f32_e64 s2, 0, v12
	s_delay_alu instid0(VALU_DEP_1) | instskip(NEXT) | instid1(VALU_DEP_1)
	v_cndmask_b32_e64 v8, v8, v10, s2
	v_mul_f32_e32 v9, 0x37800000, v8
	s_delay_alu instid0(VALU_DEP_1) | instskip(SKIP_2) | instid1(VALU_DEP_3)
	v_cndmask_b32_e32 v9, v8, v9, vcc_lo
	v_cmp_class_f32_e64 vcc_lo, v7, 0x260
	v_cndmask_b32_e64 v8, 0, 1, s3
	v_cndmask_b32_e32 v9, v9, v7, vcc_lo
	s_and_not1_b32 vcc_lo, exec_lo, s3
	s_delay_alu instid0(VALU_DEP_1)
	v_mov_b32_e32 v10, v9
	s_cbranch_vccnz .LBB92_4
; %bb.3:
	global_load_u16 v7, v4, s[6:7] offset:64
	s_waitcnt vmcnt(0)
	v_lshlrev_b32_e32 v7, 16, v7
	s_delay_alu instid0(VALU_DEP_1)
	v_add_f32_e32 v10, v9, v7
.LBB92_4:
	global_load_b32 v7, v[1:2], off offset:256
	s_waitcnt vmcnt(0)
	v_mul_f32_e32 v11, 0x3fb8aa3b, v7
	s_delay_alu instid0(VALU_DEP_1) | instskip(SKIP_2) | instid1(VALU_DEP_2)
	v_cmp_gt_f32_e32 vcc_lo, 0xc2fc0000, v11
	v_cndmask_b32_e64 v12, 0, 0x42800000, vcc_lo
	v_cndmask_b32_e64 v11, 1.0, 0x1f800000, vcc_lo
	v_fmac_f32_e32 v12, 0x3fb8aa3b, v7
	s_delay_alu instid0(VALU_DEP_1) | instskip(SKIP_2) | instid1(VALU_DEP_1)
	v_exp_f32_e32 v12, v12
	s_waitcnt_depctr 0xfff
	v_fma_f32 v11, v12, v11, 1.0
	v_cmp_gt_f32_e32 vcc_lo, 0x800000, v11
	v_cndmask_b32_e64 v12, 1.0, 0x4f800000, vcc_lo
	s_delay_alu instid0(VALU_DEP_1) | instskip(SKIP_2) | instid1(VALU_DEP_3)
	v_mul_f32_e32 v11, v11, v12
	v_cndmask_b32_e64 v12, 0, 0x42000000, vcc_lo
	v_cmp_lt_f32_e32 vcc_lo, 0x41a00000, v7
	v_log_f32_e32 v11, v11
	s_waitcnt_depctr 0xfff
	v_sub_f32_e32 v11, v11, v12
	s_delay_alu instid0(VALU_DEP_1) | instskip(NEXT) | instid1(VALU_DEP_1)
	v_mul_f32_e32 v11, 0x3f317218, v11
	v_cndmask_b32_e32 v7, v11, v7, vcc_lo
	s_delay_alu instid0(VALU_DEP_1) | instskip(SKIP_1) | instid1(VALU_DEP_2)
	v_mul_f32_e32 v11, 0x4f800000, v7
	v_cmp_gt_f32_e32 vcc_lo, 0xf800000, v7
	v_cndmask_b32_e32 v7, v7, v11, vcc_lo
	s_delay_alu instid0(VALU_DEP_1) | instskip(SKIP_3) | instid1(VALU_DEP_2)
	v_sqrt_f32_e32 v11, v7
	s_waitcnt_depctr 0xfff
	v_add_nc_u32_e32 v12, -1, v11
	v_add_nc_u32_e32 v13, 1, v11
	v_fma_f32 v14, -v12, v11, v7
	s_delay_alu instid0(VALU_DEP_2) | instskip(NEXT) | instid1(VALU_DEP_2)
	v_fma_f32 v15, -v13, v11, v7
	v_cmp_ge_f32_e64 s2, 0, v14
	s_delay_alu instid0(VALU_DEP_1) | instskip(NEXT) | instid1(VALU_DEP_3)
	v_cndmask_b32_e64 v11, v11, v12, s2
	v_cmp_lt_f32_e64 s2, 0, v15
	s_delay_alu instid0(VALU_DEP_1) | instskip(NEXT) | instid1(VALU_DEP_1)
	v_cndmask_b32_e64 v11, v11, v13, s2
	v_mul_f32_e32 v12, 0x37800000, v11
	s_delay_alu instid0(VALU_DEP_1) | instskip(SKIP_1) | instid1(VALU_DEP_2)
	v_cndmask_b32_e32 v11, v11, v12, vcc_lo
	v_cmp_class_f32_e64 vcc_lo, v7, 0x260
	v_cndmask_b32_e32 v11, v11, v7, vcc_lo
	v_cmp_ne_u32_e32 vcc_lo, 1, v8
	s_delay_alu instid0(VALU_DEP_2)
	v_mov_b32_e32 v7, v11
	s_cbranch_vccnz .LBB92_6
; %bb.5:
	global_load_u16 v7, v4, s[6:7] offset:128
	s_waitcnt vmcnt(0)
	v_lshlrev_b32_e32 v7, 16, v7
	s_delay_alu instid0(VALU_DEP_1)
	v_add_f32_e32 v7, v11, v7
.LBB92_6:
	global_load_b32 v1, v[1:2], off offset:384
	s_waitcnt vmcnt(0)
	v_mul_f32_e32 v2, 0x3fb8aa3b, v1
	s_delay_alu instid0(VALU_DEP_1) | instskip(SKIP_2) | instid1(VALU_DEP_2)
	v_cmp_gt_f32_e32 vcc_lo, 0xc2fc0000, v2
	v_cndmask_b32_e64 v12, 0, 0x42800000, vcc_lo
	v_cndmask_b32_e64 v2, 1.0, 0x1f800000, vcc_lo
	v_fmac_f32_e32 v12, 0x3fb8aa3b, v1
	s_delay_alu instid0(VALU_DEP_1) | instskip(SKIP_2) | instid1(VALU_DEP_1)
	v_exp_f32_e32 v12, v12
	s_waitcnt_depctr 0xfff
	v_fma_f32 v2, v12, v2, 1.0
	v_cmp_gt_f32_e32 vcc_lo, 0x800000, v2
	v_cndmask_b32_e64 v12, 1.0, 0x4f800000, vcc_lo
	s_delay_alu instid0(VALU_DEP_1) | instskip(SKIP_2) | instid1(VALU_DEP_3)
	v_mul_f32_e32 v2, v2, v12
	v_cndmask_b32_e64 v12, 0, 0x42000000, vcc_lo
	v_cmp_lt_f32_e32 vcc_lo, 0x41a00000, v1
	v_log_f32_e32 v2, v2
	s_waitcnt_depctr 0xfff
	v_sub_f32_e32 v2, v2, v12
	s_delay_alu instid0(VALU_DEP_1) | instskip(NEXT) | instid1(VALU_DEP_1)
	v_mul_f32_e32 v2, 0x3f317218, v2
	v_cndmask_b32_e32 v1, v2, v1, vcc_lo
	s_delay_alu instid0(VALU_DEP_1) | instskip(SKIP_1) | instid1(VALU_DEP_2)
	v_mul_f32_e32 v2, 0x4f800000, v1
	v_cmp_gt_f32_e32 vcc_lo, 0xf800000, v1
	v_cndmask_b32_e32 v1, v1, v2, vcc_lo
	s_delay_alu instid0(VALU_DEP_1) | instskip(SKIP_3) | instid1(VALU_DEP_2)
	v_sqrt_f32_e32 v2, v1
	s_waitcnt_depctr 0xfff
	v_add_nc_u32_e32 v12, -1, v2
	v_add_nc_u32_e32 v13, 1, v2
	v_fma_f32 v14, -v12, v2, v1
	s_delay_alu instid0(VALU_DEP_2) | instskip(NEXT) | instid1(VALU_DEP_2)
	v_fma_f32 v15, -v13, v2, v1
	v_cmp_ge_f32_e64 s2, 0, v14
	s_delay_alu instid0(VALU_DEP_1) | instskip(NEXT) | instid1(VALU_DEP_3)
	v_cndmask_b32_e64 v2, v2, v12, s2
	v_cmp_lt_f32_e64 s2, 0, v15
	s_delay_alu instid0(VALU_DEP_1) | instskip(NEXT) | instid1(VALU_DEP_1)
	v_cndmask_b32_e64 v2, v2, v13, s2
	v_mul_f32_e32 v12, 0x37800000, v2
	s_delay_alu instid0(VALU_DEP_1) | instskip(SKIP_1) | instid1(VALU_DEP_2)
	v_cndmask_b32_e32 v2, v2, v12, vcc_lo
	v_cmp_class_f32_e64 vcc_lo, v1, 0x260
	v_cndmask_b32_e32 v1, v2, v1, vcc_lo
	v_cmp_ne_u32_e32 vcc_lo, 1, v8
	s_delay_alu instid0(VALU_DEP_2)
	v_mov_b32_e32 v2, v1
	s_cbranch_vccnz .LBB92_8
; %bb.7:
	global_load_u16 v2, v4, s[6:7] offset:192
	s_waitcnt vmcnt(0)
	v_lshlrev_b32_e32 v2, 16, v2
	s_delay_alu instid0(VALU_DEP_1)
	v_add_f32_e32 v2, v1, v2
.LBB92_8:
	v_cmp_lt_f32_e32 vcc_lo, v6, v10
	v_add_nc_u32_e32 v13, 32, v0
	v_add_nc_u32_e32 v14, 64, v0
	v_mov_b32_e32 v16, v7
	s_mov_b32 s2, exec_lo
	v_cndmask_b32_e32 v8, v9, v5, vcc_lo
	v_dual_cndmask_b32 v5, v5, v9 :: v_dual_add_nc_u32 v4, 0x60, v0
	v_dual_cndmask_b32 v12, v13, v0 :: v_dual_cndmask_b32 v9, v10, v6
	v_dual_cndmask_b32 v13, v0, v13 :: v_dual_cndmask_b32 v10, v6, v10
	v_cmpx_lt_f32_e32 v7, v2
	s_xor_b32 s2, exec_lo, s2
; %bb.9:
	v_dual_mov_b32 v17, v7 :: v_dual_mov_b32 v16, v2
	v_dual_mov_b32 v6, v11 :: v_dual_mov_b32 v15, v14
	v_swap_b32 v11, v1
	v_swap_b32 v14, v4
	s_delay_alu instid0(VALU_DEP_4)
	v_dual_mov_b32 v7, v2 :: v_dual_mov_b32 v2, v17
; %bb.10:
	s_or_b32 exec_lo, exec_lo, s2
	s_delay_alu instid0(VALU_DEP_1) | instskip(SKIP_1) | instid1(VALU_DEP_3)
	v_cmp_lt_f32_e32 vcc_lo, v10, v7
	s_mov_b32 s2, exec_lo
	v_dual_cndmask_b32 v15, v11, v5 :: v_dual_cndmask_b32 v6, v13, v14
	v_cndmask_b32_e32 v5, v5, v11, vcc_lo
	v_dual_cndmask_b32 v11, v14, v13 :: v_dual_mov_b32 v14, v9
	v_cndmask_b32_e32 v13, v16, v10, vcc_lo
	v_cndmask_b32_e32 v7, v10, v7, vcc_lo
	v_cmpx_lt_f32_e32 v9, v2
; %bb.11:
	v_mov_b32_e32 v16, v9
	v_dual_mov_b32 v10, v8 :: v_dual_mov_b32 v9, v2
	v_mov_b32_e32 v14, v12
	v_swap_b32 v8, v1
	v_swap_b32 v12, v4
	v_mov_b32_e32 v14, v2
	v_mov_b32_e32 v2, v16
; %bb.12:
	s_or_b32 exec_lo, exec_lo, s2
	s_clause 0x1
	s_load_b32 s8, s[0:1], 0x28
	s_load_b128 s[4:7], s[0:1], 0x10
	s_waitcnt lgkmcnt(0)
	s_cmp_lt_i32 s8, 1
	s_cbranch_scc1 .LBB92_18
; %bb.13:
	v_cmp_lt_f32_e32 vcc_lo, v9, v13
	v_dual_mov_b32 v16, 0 :: v_dual_mov_b32 v17, v0
	s_mov_b32 s9, 0x76543210
	s_mov_b32 s10, s8
	v_dual_cndmask_b32 v10, v11, v12 :: v_dual_cndmask_b32 v11, v12, v11
	v_cndmask_b32_e32 v12, v13, v9, vcc_lo
	v_dual_cndmask_b32 v13, v14, v13 :: v_dual_cndmask_b32 v14, v15, v8
	v_cndmask_b32_e32 v15, v8, v15, vcc_lo
	v_dual_mov_b32 v9, 0 :: v_dual_mov_b32 v8, 0
.LBB92_14:                              ; =>This Inner Loop Header: Depth=1
	v_cmp_eq_u32_e32 vcc_lo, 1, v16
	v_cmp_eq_u32_e64 s2, 2, v16
	v_cmp_gt_u32_e64 s3, 4, v16
	v_dual_cndmask_b32 v18, v7, v13 :: v_dual_cndmask_b32 v19, v6, v11
	v_cndmask_b32_e32 v20, v5, v15, vcc_lo
	v_cmp_eq_u32_e32 vcc_lo, 3, v16
	s_delay_alu instid0(VALU_DEP_3) | instskip(NEXT) | instid1(VALU_DEP_4)
	v_cndmask_b32_e64 v18, v18, v12, s2
	v_cndmask_b32_e64 v19, v19, v10, s2
	s_delay_alu instid0(VALU_DEP_1) | instskip(NEXT) | instid1(VALU_DEP_1)
	v_dual_cndmask_b32 v18, v18, v2 :: v_dual_cndmask_b32 v19, v19, v4
	v_cndmask_b32_e64 v18, 0xff800000, v18, s3
	;;#ASMSTART
	v_max_f32 v21, v18, v18 quad_perm:[1,0,3,2] row_mask:0xf bank_mask:0xf bound_ctrl:1
	;;#ASMEND
	;;#ASMSTART
	v_max_f32 v22, v21, v21 quad_perm:[2,3,0,1] row_mask:0xf bank_mask:0xf bound_ctrl:1
	;;#ASMEND
	;;#ASMSTART
	v_max_f32 v21, v22, v22 row_half_mirror row_mask:0xf bank_mask:0xf bound_ctrl:1
	;;#ASMEND
	;;#ASMSTART
	v_max_f32 v22, v21, v21 row_mirror row_mask:0xf bank_mask:0xf bound_ctrl:1
	;;#ASMEND
	v_permlanex16_b32 v21, v22, s9, 0xfedcba98 op_sel:[1,1]
	s_delay_alu instid0(VALU_DEP_1) | instskip(NEXT) | instid1(VALU_DEP_1)
	v_dual_max_f32 v22, v22, v22 :: v_dual_max_f32 v21, v21, v21
	v_max_f32_e32 v21, v22, v21
	v_cndmask_b32_e64 v20, v20, v14, s2
	s_delay_alu instid0(VALU_DEP_2) | instskip(SKIP_1) | instid1(VALU_DEP_2)
	v_cmp_eq_f32_e64 s2, v18, v21
	v_cndmask_b32_e64 v18, 0, v19, s3
	s_ctz_i32_b32 s11, s2
	s_cmp_lg_u32 s2, 0
	s_cselect_b32 s2, s11, 0
	s_add_i32 s10, s10, -1
	v_readlane_b32 s11, v18, s2
	v_cndmask_b32_e32 v18, v20, v1, vcc_lo
	s_delay_alu instid0(VALU_DEP_2)
	v_cmp_eq_u32_e32 vcc_lo, s11, v19
	s_and_b32 s2, s11, 31
	s_and_b32 vcc_lo, s3, vcc_lo
	s_cmp_eq_u32 s10, 0
	v_cndmask_b32_e32 v18, 0, v18, vcc_lo
	v_add_co_ci_u32_e32 v16, vcc_lo, 0, v16, vcc_lo
	s_delay_alu instid0(VALU_DEP_2) | instskip(SKIP_2) | instid1(VALU_DEP_2)
	v_readlane_b32 s3, v18, s2
	v_cmp_eq_u32_e64 s2, 0, v17
	v_add_nc_u32_e32 v17, -1, v17
	v_cndmask_b32_e64 v9, v9, s3, s2
	v_cndmask_b32_e64 v8, v8, s11, s2
	s_cbranch_scc0 .LBB92_14
; %bb.15:
	s_mov_b32 s2, exec_lo
	v_cmpx_gt_i32_e64 s8, v0
	s_cbranch_execz .LBB92_17
.LBB92_16:
	s_clause 0x1
	s_load_b64 s[2:3], s[0:1], 0x20
	s_load_b32 s8, s[0:1], 0x30
	s_ashr_i32 s0, s15, 31
	s_waitcnt lgkmcnt(0)
	s_mul_i32 s1, s15, s3
	s_mul_hi_u32 s3, s15, s2
	s_mul_i32 s0, s0, s2
	s_add_i32 s1, s3, s1
	v_mul_f32_e32 v0, s8, v9
	s_add_i32 s1, s1, s0
	s_mul_i32 s0, s15, s2
	s_delay_alu instid0(SALU_CYCLE_1) | instskip(NEXT) | instid1(SALU_CYCLE_1)
	s_lshl_b64 s[0:1], s[0:1], 2
	s_add_u32 s2, s4, s0
	s_addc_u32 s3, s5, s1
	s_add_u32 s0, s6, s0
	s_addc_u32 s1, s7, s1
	s_clause 0x1
	global_store_b32 v3, v0, s[2:3]
	global_store_b32 v3, v8, s[0:1]
.LBB92_17:
	s_nop 0
	s_sendmsg sendmsg(MSG_DEALLOC_VGPRS)
	s_endpgm
.LBB92_18:
	v_dual_mov_b32 v8, 0 :: v_dual_mov_b32 v9, 0
	s_mov_b32 s2, exec_lo
	v_cmpx_gt_i32_e64 s8, v0
	s_cbranch_execnz .LBB92_16
	s_branch .LBB92_17
	.section	.rodata,"a",@progbits
	.p2align	6, 0x0
	.amdhsa_kernel _ZN5aiter24topk_softplus_kernel_optIf12hip_bfloat16Li128ELb0ELi0EEEvPKT_PKT0_PfPimiif
		.amdhsa_group_segment_fixed_size 0
		.amdhsa_private_segment_fixed_size 0
		.amdhsa_kernarg_size 52
		.amdhsa_user_sgpr_count 15
		.amdhsa_user_sgpr_dispatch_ptr 0
		.amdhsa_user_sgpr_queue_ptr 0
		.amdhsa_user_sgpr_kernarg_segment_ptr 1
		.amdhsa_user_sgpr_dispatch_id 0
		.amdhsa_user_sgpr_private_segment_size 0
		.amdhsa_wavefront_size32 1
		.amdhsa_uses_dynamic_stack 0
		.amdhsa_enable_private_segment 0
		.amdhsa_system_sgpr_workgroup_id_x 1
		.amdhsa_system_sgpr_workgroup_id_y 0
		.amdhsa_system_sgpr_workgroup_id_z 0
		.amdhsa_system_sgpr_workgroup_info 0
		.amdhsa_system_vgpr_workitem_id 0
		.amdhsa_next_free_vgpr 23
		.amdhsa_next_free_sgpr 16
		.amdhsa_reserve_vcc 1
		.amdhsa_float_round_mode_32 0
		.amdhsa_float_round_mode_16_64 0
		.amdhsa_float_denorm_mode_32 3
		.amdhsa_float_denorm_mode_16_64 3
		.amdhsa_dx10_clamp 1
		.amdhsa_ieee_mode 1
		.amdhsa_fp16_overflow 0
		.amdhsa_workgroup_processor_mode 1
		.amdhsa_memory_ordered 1
		.amdhsa_forward_progress 0
		.amdhsa_shared_vgpr_count 0
		.amdhsa_exception_fp_ieee_invalid_op 0
		.amdhsa_exception_fp_denorm_src 0
		.amdhsa_exception_fp_ieee_div_zero 0
		.amdhsa_exception_fp_ieee_overflow 0
		.amdhsa_exception_fp_ieee_underflow 0
		.amdhsa_exception_fp_ieee_inexact 0
		.amdhsa_exception_int_div_zero 0
	.end_amdhsa_kernel
	.section	.text._ZN5aiter24topk_softplus_kernel_optIf12hip_bfloat16Li128ELb0ELi0EEEvPKT_PKT0_PfPimiif,"axG",@progbits,_ZN5aiter24topk_softplus_kernel_optIf12hip_bfloat16Li128ELb0ELi0EEEvPKT_PKT0_PfPimiif,comdat
.Lfunc_end92:
	.size	_ZN5aiter24topk_softplus_kernel_optIf12hip_bfloat16Li128ELb0ELi0EEEvPKT_PKT0_PfPimiif, .Lfunc_end92-_ZN5aiter24topk_softplus_kernel_optIf12hip_bfloat16Li128ELb0ELi0EEEvPKT_PKT0_PfPimiif
                                        ; -- End function
	.section	.AMDGPU.csdata,"",@progbits
; Kernel info:
; codeLenInByte = 2160
; NumSgprs: 18
; NumVgprs: 23
; ScratchSize: 0
; MemoryBound: 0
; FloatMode: 240
; IeeeMode: 1
; LDSByteSize: 0 bytes/workgroup (compile time only)
; SGPRBlocks: 2
; VGPRBlocks: 2
; NumSGPRsForWavesPerEU: 18
; NumVGPRsForWavesPerEU: 23
; Occupancy: 16
; WaveLimiterHint : 0
; COMPUTE_PGM_RSRC2:SCRATCH_EN: 0
; COMPUTE_PGM_RSRC2:USER_SGPR: 15
; COMPUTE_PGM_RSRC2:TRAP_HANDLER: 0
; COMPUTE_PGM_RSRC2:TGID_X_EN: 1
; COMPUTE_PGM_RSRC2:TGID_Y_EN: 0
; COMPUTE_PGM_RSRC2:TGID_Z_EN: 0
; COMPUTE_PGM_RSRC2:TIDIG_COMP_CNT: 0
	.section	.text._ZN5aiter24topk_softplus_kernel_optIf12hip_bfloat16Li256ELb1ELi0EEEvPKT_PKT0_PfPimiif,"axG",@progbits,_ZN5aiter24topk_softplus_kernel_optIf12hip_bfloat16Li256ELb1ELi0EEEvPKT_PKT0_PfPimiif,comdat
	.protected	_ZN5aiter24topk_softplus_kernel_optIf12hip_bfloat16Li256ELb1ELi0EEEvPKT_PKT0_PfPimiif ; -- Begin function _ZN5aiter24topk_softplus_kernel_optIf12hip_bfloat16Li256ELb1ELi0EEEvPKT_PKT0_PfPimiif
	.globl	_ZN5aiter24topk_softplus_kernel_optIf12hip_bfloat16Li256ELb1ELi0EEEvPKT_PKT0_PfPimiif
	.p2align	8
	.type	_ZN5aiter24topk_softplus_kernel_optIf12hip_bfloat16Li256ELb1ELi0EEEvPKT_PKT0_PfPimiif,@function
_ZN5aiter24topk_softplus_kernel_optIf12hip_bfloat16Li256ELb1ELi0EEEvPKT_PKT0_PfPimiif: ; @_ZN5aiter24topk_softplus_kernel_optIf12hip_bfloat16Li256ELb1ELi0EEEvPKT_PKT0_PfPimiif
; %bb.0:
	s_load_b128 s[4:7], s[0:1], 0x0
	s_lshl_b32 s2, s15, 8
	v_lshlrev_b32_e32 v96, 2, v0
	s_ashr_i32 s3, s2, 31
	s_delay_alu instid0(SALU_CYCLE_1)
	s_lshl_b64 s[2:3], s[2:3], 2
	s_waitcnt lgkmcnt(0)
	s_add_u32 s4, s4, s2
	s_addc_u32 s5, s5, s3
	s_cmp_lg_u64 s[6:7], 0
	global_load_b32 v1, v96, s[4:5]
	s_cselect_b32 s3, -1, 0
	s_waitcnt vmcnt(0)
	v_mul_f32_e32 v2, 0x3fb8aa3b, v1
	s_delay_alu instid0(VALU_DEP_1) | instskip(SKIP_2) | instid1(VALU_DEP_2)
	v_cmp_gt_f32_e32 vcc_lo, 0xc2fc0000, v2
	v_cndmask_b32_e64 v2, 0, 0x42800000, vcc_lo
	v_cndmask_b32_e64 v3, 1.0, 0x1f800000, vcc_lo
	v_fmac_f32_e32 v2, 0x3fb8aa3b, v1
	s_delay_alu instid0(VALU_DEP_1) | instskip(SKIP_2) | instid1(VALU_DEP_1)
	v_exp_f32_e32 v2, v2
	s_waitcnt_depctr 0xfff
	v_fma_f32 v2, v2, v3, 1.0
	v_cmp_gt_f32_e32 vcc_lo, 0x800000, v2
	v_cndmask_b32_e64 v3, 1.0, 0x4f800000, vcc_lo
	s_delay_alu instid0(VALU_DEP_1) | instskip(SKIP_2) | instid1(VALU_DEP_3)
	v_mul_f32_e32 v2, v2, v3
	v_cndmask_b32_e64 v3, 0, 0x42000000, vcc_lo
	v_cmp_lt_f32_e32 vcc_lo, 0x41a00000, v1
	v_log_f32_e32 v2, v2
	s_waitcnt_depctr 0xfff
	v_sub_f32_e32 v2, v2, v3
	s_delay_alu instid0(VALU_DEP_1) | instskip(NEXT) | instid1(VALU_DEP_1)
	v_mul_f32_e32 v2, 0x3f317218, v2
	v_cndmask_b32_e32 v1, v2, v1, vcc_lo
	s_delay_alu instid0(VALU_DEP_1) | instskip(SKIP_1) | instid1(VALU_DEP_2)
	v_mul_f32_e32 v2, 0x4f800000, v1
	v_cmp_gt_f32_e32 vcc_lo, 0xf800000, v1
	v_cndmask_b32_e32 v1, v1, v2, vcc_lo
	s_delay_alu instid0(VALU_DEP_1) | instskip(SKIP_3) | instid1(VALU_DEP_2)
	v_sqrt_f32_e32 v2, v1
	s_waitcnt_depctr 0xfff
	v_add_nc_u32_e32 v3, -1, v2
	v_add_nc_u32_e32 v4, 1, v2
	v_fma_f32 v5, -v3, v2, v1
	s_delay_alu instid0(VALU_DEP_2) | instskip(NEXT) | instid1(VALU_DEP_2)
	v_fma_f32 v6, -v4, v2, v1
	v_cmp_ge_f32_e64 s2, 0, v5
	s_delay_alu instid0(VALU_DEP_1) | instskip(NEXT) | instid1(VALU_DEP_3)
	v_cndmask_b32_e64 v2, v2, v3, s2
	v_cmp_lt_f32_e64 s2, 0, v6
	s_delay_alu instid0(VALU_DEP_1) | instskip(NEXT) | instid1(VALU_DEP_1)
	v_cndmask_b32_e64 v2, v2, v4, s2
	v_mul_f32_e32 v3, 0x37800000, v2
	s_delay_alu instid0(VALU_DEP_1) | instskip(SKIP_1) | instid1(VALU_DEP_2)
	v_cndmask_b32_e32 v2, v2, v3, vcc_lo
	v_cmp_class_f32_e64 vcc_lo, v1, 0x260
	v_dual_cndmask_b32 v56, v2, v1 :: v_dual_lshlrev_b32 v3, 1, v0
	v_add_co_u32 v1, s2, s4, v96
	s_delay_alu instid0(VALU_DEP_1) | instskip(NEXT) | instid1(VALU_DEP_3)
	v_add_co_ci_u32_e64 v2, null, s5, 0, s2
	v_mov_b32_e32 v24, v56
	s_and_b32 vcc_lo, exec_lo, s3
	s_cbranch_vccz .LBB93_2
; %bb.1:
	global_load_u16 v4, v3, s[6:7]
	s_waitcnt vmcnt(0)
	v_lshlrev_b32_e32 v4, 16, v4
	s_delay_alu instid0(VALU_DEP_1)
	v_add_f32_e32 v24, v56, v4
.LBB93_2:
	global_load_b32 v4, v[1:2], off offset:128
	s_waitcnt vmcnt(0)
	v_mul_f32_e32 v5, 0x3fb8aa3b, v4
	s_delay_alu instid0(VALU_DEP_1) | instskip(SKIP_2) | instid1(VALU_DEP_2)
	v_cmp_gt_f32_e32 vcc_lo, 0xc2fc0000, v5
	v_cndmask_b32_e64 v6, 0, 0x42800000, vcc_lo
	v_cndmask_b32_e64 v5, 1.0, 0x1f800000, vcc_lo
	v_fmac_f32_e32 v6, 0x3fb8aa3b, v4
	s_delay_alu instid0(VALU_DEP_1) | instskip(SKIP_2) | instid1(VALU_DEP_1)
	v_exp_f32_e32 v6, v6
	s_waitcnt_depctr 0xfff
	v_fma_f32 v5, v6, v5, 1.0
	v_cmp_gt_f32_e32 vcc_lo, 0x800000, v5
	v_cndmask_b32_e64 v6, 1.0, 0x4f800000, vcc_lo
	s_delay_alu instid0(VALU_DEP_1) | instskip(SKIP_2) | instid1(VALU_DEP_3)
	v_mul_f32_e32 v5, v5, v6
	v_cndmask_b32_e64 v6, 0, 0x42000000, vcc_lo
	v_cmp_lt_f32_e32 vcc_lo, 0x41a00000, v4
	v_log_f32_e32 v5, v5
	s_waitcnt_depctr 0xfff
	v_sub_f32_e32 v5, v5, v6
	s_delay_alu instid0(VALU_DEP_1) | instskip(NEXT) | instid1(VALU_DEP_1)
	v_mul_f32_e32 v5, 0x3f317218, v5
	v_cndmask_b32_e32 v4, v5, v4, vcc_lo
	s_delay_alu instid0(VALU_DEP_1) | instskip(SKIP_1) | instid1(VALU_DEP_2)
	v_mul_f32_e32 v5, 0x4f800000, v4
	v_cmp_gt_f32_e32 vcc_lo, 0xf800000, v4
	v_cndmask_b32_e32 v5, v4, v5, vcc_lo
	s_delay_alu instid0(VALU_DEP_1) | instskip(SKIP_3) | instid1(VALU_DEP_2)
	v_sqrt_f32_e32 v4, v5
	s_waitcnt_depctr 0xfff
	v_add_nc_u32_e32 v6, -1, v4
	v_add_nc_u32_e32 v7, 1, v4
	v_fma_f32 v8, -v6, v4, v5
	s_delay_alu instid0(VALU_DEP_2) | instskip(NEXT) | instid1(VALU_DEP_2)
	v_fma_f32 v9, -v7, v4, v5
	v_cmp_ge_f32_e64 s2, 0, v8
	s_delay_alu instid0(VALU_DEP_1) | instskip(NEXT) | instid1(VALU_DEP_3)
	v_cndmask_b32_e64 v4, v4, v6, s2
	v_cmp_lt_f32_e64 s2, 0, v9
	s_delay_alu instid0(VALU_DEP_1) | instskip(NEXT) | instid1(VALU_DEP_1)
	v_cndmask_b32_e64 v4, v4, v7, s2
	v_mul_f32_e32 v6, 0x37800000, v4
	s_delay_alu instid0(VALU_DEP_1) | instskip(SKIP_2) | instid1(VALU_DEP_3)
	v_cndmask_b32_e32 v6, v4, v6, vcc_lo
	v_cmp_class_f32_e64 vcc_lo, v5, 0x260
	v_cndmask_b32_e64 v4, 0, 1, s3
	v_cndmask_b32_e32 v9, v6, v5, vcc_lo
	s_and_not1_b32 vcc_lo, exec_lo, s3
	s_delay_alu instid0(VALU_DEP_1)
	v_mov_b32_e32 v25, v9
	s_cbranch_vccnz .LBB93_4
; %bb.3:
	global_load_u16 v5, v3, s[6:7] offset:64
	s_waitcnt vmcnt(0)
	v_lshlrev_b32_e32 v5, 16, v5
	s_delay_alu instid0(VALU_DEP_1)
	v_add_f32_e32 v25, v9, v5
.LBB93_4:
	global_load_b32 v5, v[1:2], off offset:256
	s_waitcnt vmcnt(0)
	v_mul_f32_e32 v6, 0x3fb8aa3b, v5
	s_delay_alu instid0(VALU_DEP_1) | instskip(SKIP_2) | instid1(VALU_DEP_2)
	v_cmp_gt_f32_e32 vcc_lo, 0xc2fc0000, v6
	v_cndmask_b32_e64 v7, 0, 0x42800000, vcc_lo
	v_cndmask_b32_e64 v6, 1.0, 0x1f800000, vcc_lo
	v_fmac_f32_e32 v7, 0x3fb8aa3b, v5
	s_delay_alu instid0(VALU_DEP_1) | instskip(SKIP_2) | instid1(VALU_DEP_1)
	v_exp_f32_e32 v7, v7
	s_waitcnt_depctr 0xfff
	v_fma_f32 v6, v7, v6, 1.0
	v_cmp_gt_f32_e32 vcc_lo, 0x800000, v6
	v_cndmask_b32_e64 v7, 1.0, 0x4f800000, vcc_lo
	s_delay_alu instid0(VALU_DEP_1) | instskip(SKIP_2) | instid1(VALU_DEP_3)
	v_mul_f32_e32 v6, v6, v7
	v_cndmask_b32_e64 v7, 0, 0x42000000, vcc_lo
	v_cmp_lt_f32_e32 vcc_lo, 0x41a00000, v5
	v_log_f32_e32 v6, v6
	s_waitcnt_depctr 0xfff
	v_sub_f32_e32 v6, v6, v7
	s_delay_alu instid0(VALU_DEP_1) | instskip(NEXT) | instid1(VALU_DEP_1)
	v_mul_f32_e32 v6, 0x3f317218, v6
	v_cndmask_b32_e32 v5, v6, v5, vcc_lo
	s_delay_alu instid0(VALU_DEP_1) | instskip(SKIP_1) | instid1(VALU_DEP_2)
	v_mul_f32_e32 v6, 0x4f800000, v5
	v_cmp_gt_f32_e32 vcc_lo, 0xf800000, v5
	v_cndmask_b32_e32 v5, v5, v6, vcc_lo
	s_delay_alu instid0(VALU_DEP_1) | instskip(SKIP_3) | instid1(VALU_DEP_2)
	v_sqrt_f32_e32 v6, v5
	s_waitcnt_depctr 0xfff
	v_add_nc_u32_e32 v7, -1, v6
	v_add_nc_u32_e32 v8, 1, v6
	v_fma_f32 v10, -v7, v6, v5
	s_delay_alu instid0(VALU_DEP_2) | instskip(NEXT) | instid1(VALU_DEP_2)
	v_fma_f32 v11, -v8, v6, v5
	v_cmp_ge_f32_e64 s2, 0, v10
	s_delay_alu instid0(VALU_DEP_1) | instskip(NEXT) | instid1(VALU_DEP_3)
	v_cndmask_b32_e64 v6, v6, v7, s2
	v_cmp_lt_f32_e64 s2, 0, v11
	s_delay_alu instid0(VALU_DEP_1) | instskip(NEXT) | instid1(VALU_DEP_1)
	v_cndmask_b32_e64 v6, v6, v8, s2
	v_mul_f32_e32 v7, 0x37800000, v6
	s_delay_alu instid0(VALU_DEP_1) | instskip(SKIP_1) | instid1(VALU_DEP_2)
	v_cndmask_b32_e32 v6, v6, v7, vcc_lo
	v_cmp_class_f32_e64 vcc_lo, v5, 0x260
	v_cndmask_b32_e32 v10, v6, v5, vcc_lo
	v_cmp_ne_u32_e32 vcc_lo, 1, v4
	s_delay_alu instid0(VALU_DEP_2)
	v_mov_b32_e32 v26, v10
	s_cbranch_vccnz .LBB93_6
; %bb.5:
	global_load_u16 v5, v3, s[6:7] offset:128
	s_waitcnt vmcnt(0)
	v_lshlrev_b32_e32 v5, 16, v5
	s_delay_alu instid0(VALU_DEP_1)
	v_add_f32_e32 v26, v10, v5
.LBB93_6:
	global_load_b32 v5, v[1:2], off offset:384
	s_waitcnt vmcnt(0)
	v_mul_f32_e32 v6, 0x3fb8aa3b, v5
	s_delay_alu instid0(VALU_DEP_1) | instskip(SKIP_2) | instid1(VALU_DEP_2)
	v_cmp_gt_f32_e32 vcc_lo, 0xc2fc0000, v6
	v_cndmask_b32_e64 v7, 0, 0x42800000, vcc_lo
	v_cndmask_b32_e64 v6, 1.0, 0x1f800000, vcc_lo
	v_fmac_f32_e32 v7, 0x3fb8aa3b, v5
	s_delay_alu instid0(VALU_DEP_1) | instskip(SKIP_2) | instid1(VALU_DEP_1)
	v_exp_f32_e32 v7, v7
	s_waitcnt_depctr 0xfff
	v_fma_f32 v6, v7, v6, 1.0
	v_cmp_gt_f32_e32 vcc_lo, 0x800000, v6
	v_cndmask_b32_e64 v7, 1.0, 0x4f800000, vcc_lo
	s_delay_alu instid0(VALU_DEP_1) | instskip(SKIP_2) | instid1(VALU_DEP_3)
	v_mul_f32_e32 v6, v6, v7
	v_cndmask_b32_e64 v7, 0, 0x42000000, vcc_lo
	v_cmp_lt_f32_e32 vcc_lo, 0x41a00000, v5
	v_log_f32_e32 v6, v6
	s_waitcnt_depctr 0xfff
	v_sub_f32_e32 v6, v6, v7
	s_delay_alu instid0(VALU_DEP_1) | instskip(NEXT) | instid1(VALU_DEP_1)
	v_mul_f32_e32 v6, 0x3f317218, v6
	v_cndmask_b32_e32 v5, v6, v5, vcc_lo
	s_delay_alu instid0(VALU_DEP_1) | instskip(SKIP_1) | instid1(VALU_DEP_2)
	v_mul_f32_e32 v6, 0x4f800000, v5
	v_cmp_gt_f32_e32 vcc_lo, 0xf800000, v5
	v_cndmask_b32_e32 v5, v5, v6, vcc_lo
	s_delay_alu instid0(VALU_DEP_1) | instskip(SKIP_3) | instid1(VALU_DEP_2)
	v_sqrt_f32_e32 v6, v5
	s_waitcnt_depctr 0xfff
	v_add_nc_u32_e32 v7, -1, v6
	v_add_nc_u32_e32 v8, 1, v6
	v_fma_f32 v11, -v7, v6, v5
	s_delay_alu instid0(VALU_DEP_2) | instskip(NEXT) | instid1(VALU_DEP_2)
	v_fma_f32 v12, -v8, v6, v5
	v_cmp_ge_f32_e64 s2, 0, v11
	s_delay_alu instid0(VALU_DEP_1) | instskip(NEXT) | instid1(VALU_DEP_3)
	v_cndmask_b32_e64 v6, v6, v7, s2
	v_cmp_lt_f32_e64 s2, 0, v12
	s_delay_alu instid0(VALU_DEP_1) | instskip(NEXT) | instid1(VALU_DEP_1)
	v_cndmask_b32_e64 v6, v6, v8, s2
	v_mul_f32_e32 v7, 0x37800000, v6
	s_delay_alu instid0(VALU_DEP_1) | instskip(SKIP_1) | instid1(VALU_DEP_2)
	v_cndmask_b32_e32 v6, v6, v7, vcc_lo
	v_cmp_class_f32_e64 vcc_lo, v5, 0x260
	v_cndmask_b32_e32 v11, v6, v5, vcc_lo
	v_cmp_ne_u32_e32 vcc_lo, 1, v4
	s_delay_alu instid0(VALU_DEP_2)
	v_mov_b32_e32 v27, v11
	s_cbranch_vccnz .LBB93_8
; %bb.7:
	global_load_u16 v5, v3, s[6:7] offset:192
	s_waitcnt vmcnt(0)
	v_lshlrev_b32_e32 v5, 16, v5
	s_delay_alu instid0(VALU_DEP_1)
	v_add_f32_e32 v27, v11, v5
.LBB93_8:
	global_load_b32 v5, v[1:2], off offset:512
	s_waitcnt vmcnt(0)
	v_mul_f32_e32 v6, 0x3fb8aa3b, v5
	s_delay_alu instid0(VALU_DEP_1) | instskip(SKIP_2) | instid1(VALU_DEP_2)
	v_cmp_gt_f32_e32 vcc_lo, 0xc2fc0000, v6
	v_cndmask_b32_e64 v7, 0, 0x42800000, vcc_lo
	v_cndmask_b32_e64 v6, 1.0, 0x1f800000, vcc_lo
	v_fmac_f32_e32 v7, 0x3fb8aa3b, v5
	s_delay_alu instid0(VALU_DEP_1) | instskip(SKIP_2) | instid1(VALU_DEP_1)
	v_exp_f32_e32 v7, v7
	s_waitcnt_depctr 0xfff
	v_fma_f32 v6, v7, v6, 1.0
	v_cmp_gt_f32_e32 vcc_lo, 0x800000, v6
	v_cndmask_b32_e64 v7, 1.0, 0x4f800000, vcc_lo
	s_delay_alu instid0(VALU_DEP_1) | instskip(SKIP_2) | instid1(VALU_DEP_3)
	v_mul_f32_e32 v6, v6, v7
	v_cndmask_b32_e64 v7, 0, 0x42000000, vcc_lo
	v_cmp_lt_f32_e32 vcc_lo, 0x41a00000, v5
	v_log_f32_e32 v6, v6
	s_waitcnt_depctr 0xfff
	v_sub_f32_e32 v6, v6, v7
	s_delay_alu instid0(VALU_DEP_1) | instskip(NEXT) | instid1(VALU_DEP_1)
	v_mul_f32_e32 v6, 0x3f317218, v6
	v_cndmask_b32_e32 v5, v6, v5, vcc_lo
	s_delay_alu instid0(VALU_DEP_1) | instskip(SKIP_1) | instid1(VALU_DEP_2)
	v_mul_f32_e32 v6, 0x4f800000, v5
	v_cmp_gt_f32_e32 vcc_lo, 0xf800000, v5
	v_cndmask_b32_e32 v5, v5, v6, vcc_lo
	s_delay_alu instid0(VALU_DEP_1) | instskip(SKIP_3) | instid1(VALU_DEP_2)
	v_sqrt_f32_e32 v6, v5
	s_waitcnt_depctr 0xfff
	v_add_nc_u32_e32 v7, -1, v6
	v_add_nc_u32_e32 v8, 1, v6
	v_fma_f32 v12, -v7, v6, v5
	s_delay_alu instid0(VALU_DEP_2) | instskip(NEXT) | instid1(VALU_DEP_2)
	v_fma_f32 v13, -v8, v6, v5
	v_cmp_ge_f32_e64 s2, 0, v12
	s_delay_alu instid0(VALU_DEP_1) | instskip(NEXT) | instid1(VALU_DEP_3)
	v_cndmask_b32_e64 v6, v6, v7, s2
	v_cmp_lt_f32_e64 s2, 0, v13
	s_delay_alu instid0(VALU_DEP_1) | instskip(NEXT) | instid1(VALU_DEP_1)
	v_cndmask_b32_e64 v6, v6, v8, s2
	v_mul_f32_e32 v7, 0x37800000, v6
	s_delay_alu instid0(VALU_DEP_1) | instskip(SKIP_1) | instid1(VALU_DEP_2)
	v_cndmask_b32_e32 v6, v6, v7, vcc_lo
	v_cmp_class_f32_e64 vcc_lo, v5, 0x260
	v_cndmask_b32_e32 v12, v6, v5, vcc_lo
	v_cmp_ne_u32_e32 vcc_lo, 1, v4
	s_delay_alu instid0(VALU_DEP_2)
	v_mov_b32_e32 v28, v12
	s_cbranch_vccnz .LBB93_10
; %bb.9:
	global_load_u16 v5, v3, s[6:7] offset:256
	s_waitcnt vmcnt(0)
	v_lshlrev_b32_e32 v5, 16, v5
	s_delay_alu instid0(VALU_DEP_1)
	v_add_f32_e32 v28, v12, v5
.LBB93_10:
	global_load_b32 v5, v[1:2], off offset:640
	s_waitcnt vmcnt(0)
	v_mul_f32_e32 v6, 0x3fb8aa3b, v5
	s_delay_alu instid0(VALU_DEP_1) | instskip(SKIP_2) | instid1(VALU_DEP_2)
	v_cmp_gt_f32_e32 vcc_lo, 0xc2fc0000, v6
	v_cndmask_b32_e64 v7, 0, 0x42800000, vcc_lo
	v_cndmask_b32_e64 v6, 1.0, 0x1f800000, vcc_lo
	v_fmac_f32_e32 v7, 0x3fb8aa3b, v5
	s_delay_alu instid0(VALU_DEP_1) | instskip(SKIP_2) | instid1(VALU_DEP_1)
	v_exp_f32_e32 v7, v7
	s_waitcnt_depctr 0xfff
	v_fma_f32 v6, v7, v6, 1.0
	v_cmp_gt_f32_e32 vcc_lo, 0x800000, v6
	v_cndmask_b32_e64 v7, 1.0, 0x4f800000, vcc_lo
	s_delay_alu instid0(VALU_DEP_1) | instskip(SKIP_2) | instid1(VALU_DEP_3)
	v_mul_f32_e32 v6, v6, v7
	v_cndmask_b32_e64 v7, 0, 0x42000000, vcc_lo
	v_cmp_lt_f32_e32 vcc_lo, 0x41a00000, v5
	v_log_f32_e32 v6, v6
	s_waitcnt_depctr 0xfff
	v_sub_f32_e32 v6, v6, v7
	s_delay_alu instid0(VALU_DEP_1) | instskip(NEXT) | instid1(VALU_DEP_1)
	v_mul_f32_e32 v6, 0x3f317218, v6
	v_cndmask_b32_e32 v5, v6, v5, vcc_lo
	s_delay_alu instid0(VALU_DEP_1) | instskip(SKIP_1) | instid1(VALU_DEP_2)
	v_mul_f32_e32 v6, 0x4f800000, v5
	v_cmp_gt_f32_e32 vcc_lo, 0xf800000, v5
	v_cndmask_b32_e32 v5, v5, v6, vcc_lo
	s_delay_alu instid0(VALU_DEP_1) | instskip(SKIP_3) | instid1(VALU_DEP_2)
	v_sqrt_f32_e32 v6, v5
	s_waitcnt_depctr 0xfff
	v_add_nc_u32_e32 v7, -1, v6
	v_add_nc_u32_e32 v8, 1, v6
	v_fma_f32 v13, -v7, v6, v5
	s_delay_alu instid0(VALU_DEP_2) | instskip(NEXT) | instid1(VALU_DEP_2)
	v_fma_f32 v14, -v8, v6, v5
	v_cmp_ge_f32_e64 s2, 0, v13
	s_delay_alu instid0(VALU_DEP_1) | instskip(NEXT) | instid1(VALU_DEP_3)
	v_cndmask_b32_e64 v6, v6, v7, s2
	v_cmp_lt_f32_e64 s2, 0, v14
	s_delay_alu instid0(VALU_DEP_1) | instskip(NEXT) | instid1(VALU_DEP_1)
	v_cndmask_b32_e64 v6, v6, v8, s2
	v_mul_f32_e32 v7, 0x37800000, v6
	s_delay_alu instid0(VALU_DEP_1) | instskip(SKIP_1) | instid1(VALU_DEP_2)
	v_cndmask_b32_e32 v6, v6, v7, vcc_lo
	v_cmp_class_f32_e64 vcc_lo, v5, 0x260
	v_cndmask_b32_e32 v13, v6, v5, vcc_lo
	v_cmp_ne_u32_e32 vcc_lo, 1, v4
	s_delay_alu instid0(VALU_DEP_2)
	v_mov_b32_e32 v29, v13
	s_cbranch_vccnz .LBB93_12
; %bb.11:
	global_load_u16 v5, v3, s[6:7] offset:320
	s_waitcnt vmcnt(0)
	v_lshlrev_b32_e32 v5, 16, v5
	s_delay_alu instid0(VALU_DEP_1)
	v_add_f32_e32 v29, v13, v5
.LBB93_12:
	global_load_b32 v5, v[1:2], off offset:768
	s_waitcnt vmcnt(0)
	v_mul_f32_e32 v6, 0x3fb8aa3b, v5
	s_delay_alu instid0(VALU_DEP_1) | instskip(SKIP_2) | instid1(VALU_DEP_2)
	v_cmp_gt_f32_e32 vcc_lo, 0xc2fc0000, v6
	v_cndmask_b32_e64 v7, 0, 0x42800000, vcc_lo
	v_cndmask_b32_e64 v6, 1.0, 0x1f800000, vcc_lo
	v_fmac_f32_e32 v7, 0x3fb8aa3b, v5
	s_delay_alu instid0(VALU_DEP_1) | instskip(SKIP_2) | instid1(VALU_DEP_1)
	v_exp_f32_e32 v7, v7
	s_waitcnt_depctr 0xfff
	v_fma_f32 v6, v7, v6, 1.0
	v_cmp_gt_f32_e32 vcc_lo, 0x800000, v6
	v_cndmask_b32_e64 v7, 1.0, 0x4f800000, vcc_lo
	s_delay_alu instid0(VALU_DEP_1) | instskip(SKIP_2) | instid1(VALU_DEP_3)
	v_mul_f32_e32 v6, v6, v7
	v_cndmask_b32_e64 v7, 0, 0x42000000, vcc_lo
	v_cmp_lt_f32_e32 vcc_lo, 0x41a00000, v5
	v_log_f32_e32 v6, v6
	s_waitcnt_depctr 0xfff
	v_sub_f32_e32 v6, v6, v7
	s_delay_alu instid0(VALU_DEP_1) | instskip(NEXT) | instid1(VALU_DEP_1)
	v_mul_f32_e32 v6, 0x3f317218, v6
	v_cndmask_b32_e32 v5, v6, v5, vcc_lo
	s_delay_alu instid0(VALU_DEP_1) | instskip(SKIP_1) | instid1(VALU_DEP_2)
	v_mul_f32_e32 v6, 0x4f800000, v5
	v_cmp_gt_f32_e32 vcc_lo, 0xf800000, v5
	v_cndmask_b32_e32 v5, v5, v6, vcc_lo
	s_delay_alu instid0(VALU_DEP_1) | instskip(SKIP_3) | instid1(VALU_DEP_2)
	v_sqrt_f32_e32 v6, v5
	s_waitcnt_depctr 0xfff
	v_add_nc_u32_e32 v7, -1, v6
	v_add_nc_u32_e32 v8, 1, v6
	v_fma_f32 v14, -v7, v6, v5
	s_delay_alu instid0(VALU_DEP_2) | instskip(NEXT) | instid1(VALU_DEP_2)
	v_fma_f32 v15, -v8, v6, v5
	v_cmp_ge_f32_e64 s2, 0, v14
	s_delay_alu instid0(VALU_DEP_1) | instskip(NEXT) | instid1(VALU_DEP_3)
	v_cndmask_b32_e64 v6, v6, v7, s2
	v_cmp_lt_f32_e64 s2, 0, v15
	s_delay_alu instid0(VALU_DEP_1) | instskip(NEXT) | instid1(VALU_DEP_1)
	v_cndmask_b32_e64 v6, v6, v8, s2
	v_mul_f32_e32 v7, 0x37800000, v6
	s_delay_alu instid0(VALU_DEP_1) | instskip(SKIP_1) | instid1(VALU_DEP_2)
	v_cndmask_b32_e32 v6, v6, v7, vcc_lo
	v_cmp_class_f32_e64 vcc_lo, v5, 0x260
	v_cndmask_b32_e32 v14, v6, v5, vcc_lo
	v_cmp_ne_u32_e32 vcc_lo, 1, v4
	s_delay_alu instid0(VALU_DEP_2)
	v_mov_b32_e32 v30, v14
	s_cbranch_vccnz .LBB93_14
; %bb.13:
	global_load_u16 v5, v3, s[6:7] offset:384
	s_waitcnt vmcnt(0)
	v_lshlrev_b32_e32 v5, 16, v5
	s_delay_alu instid0(VALU_DEP_1)
	v_add_f32_e32 v30, v14, v5
.LBB93_14:
	global_load_b32 v1, v[1:2], off offset:896
	s_waitcnt vmcnt(0)
	v_mul_f32_e32 v2, 0x3fb8aa3b, v1
	s_delay_alu instid0(VALU_DEP_1) | instskip(SKIP_2) | instid1(VALU_DEP_2)
	v_cmp_gt_f32_e32 vcc_lo, 0xc2fc0000, v2
	v_cndmask_b32_e64 v5, 0, 0x42800000, vcc_lo
	v_cndmask_b32_e64 v2, 1.0, 0x1f800000, vcc_lo
	v_fmac_f32_e32 v5, 0x3fb8aa3b, v1
	s_delay_alu instid0(VALU_DEP_1) | instskip(SKIP_2) | instid1(VALU_DEP_1)
	v_exp_f32_e32 v5, v5
	s_waitcnt_depctr 0xfff
	v_fma_f32 v2, v5, v2, 1.0
	v_cmp_gt_f32_e32 vcc_lo, 0x800000, v2
	v_cndmask_b32_e64 v5, 1.0, 0x4f800000, vcc_lo
	s_delay_alu instid0(VALU_DEP_1) | instskip(SKIP_2) | instid1(VALU_DEP_3)
	v_mul_f32_e32 v2, v2, v5
	v_cndmask_b32_e64 v5, 0, 0x42000000, vcc_lo
	v_cmp_lt_f32_e32 vcc_lo, 0x41a00000, v1
	v_log_f32_e32 v2, v2
	s_waitcnt_depctr 0xfff
	v_sub_f32_e32 v2, v2, v5
	s_delay_alu instid0(VALU_DEP_1) | instskip(NEXT) | instid1(VALU_DEP_1)
	v_mul_f32_e32 v2, 0x3f317218, v2
	v_cndmask_b32_e32 v1, v2, v1, vcc_lo
	s_delay_alu instid0(VALU_DEP_1) | instskip(SKIP_1) | instid1(VALU_DEP_2)
	v_mul_f32_e32 v2, 0x4f800000, v1
	v_cmp_gt_f32_e32 vcc_lo, 0xf800000, v1
	v_cndmask_b32_e32 v1, v1, v2, vcc_lo
	s_delay_alu instid0(VALU_DEP_1) | instskip(SKIP_3) | instid1(VALU_DEP_2)
	v_sqrt_f32_e32 v2, v1
	s_waitcnt_depctr 0xfff
	v_add_nc_u32_e32 v5, -1, v2
	v_add_nc_u32_e32 v6, 1, v2
	v_fma_f32 v7, -v5, v2, v1
	s_delay_alu instid0(VALU_DEP_2) | instskip(NEXT) | instid1(VALU_DEP_2)
	v_fma_f32 v8, -v6, v2, v1
	v_cmp_ge_f32_e64 s2, 0, v7
	s_delay_alu instid0(VALU_DEP_1) | instskip(NEXT) | instid1(VALU_DEP_3)
	v_cndmask_b32_e64 v2, v2, v5, s2
	v_cmp_lt_f32_e64 s2, 0, v8
	s_delay_alu instid0(VALU_DEP_1) | instskip(NEXT) | instid1(VALU_DEP_1)
	v_cndmask_b32_e64 v2, v2, v6, s2
	v_mul_f32_e32 v5, 0x37800000, v2
	s_delay_alu instid0(VALU_DEP_1) | instskip(SKIP_1) | instid1(VALU_DEP_2)
	v_cndmask_b32_e32 v2, v2, v5, vcc_lo
	v_cmp_class_f32_e64 vcc_lo, v1, 0x260
	v_cndmask_b32_e32 v15, v2, v1, vcc_lo
	v_cmp_ne_u32_e32 vcc_lo, 1, v4
	s_cbranch_vccnz .LBB93_16
; %bb.15:
	global_load_u16 v1, v3, s[6:7] offset:448
	s_waitcnt vmcnt(0)
	v_lshlrev_b32_e32 v1, 16, v1
	s_delay_alu instid0(VALU_DEP_1)
	v_add_f32_e32 v31, v15, v1
	s_branch .LBB93_17
.LBB93_16:
	s_delay_alu instid0(VALU_DEP_2)
	v_mov_b32_e32 v31, v15
.LBB93_17:
	v_add_nc_u32_e32 v7, 0xe0, v0
	v_dual_mov_b32 v16, v24 :: v_dual_add_nc_u32 v1, 32, v0
	v_dual_mov_b32 v17, v25 :: v_dual_add_nc_u32 v2, 64, v0
	;; [unrolled: 1-line block ×6, first 2 shown]
	v_dual_mov_b32 v22, v30 :: v_dual_mov_b32 v39, v7
	s_delay_alu instid0(VALU_DEP_2)
	v_dual_mov_b32 v47, v7 :: v_dual_mov_b32 v46, v6
	v_dual_mov_b32 v71, v7 :: v_dual_mov_b32 v70, v6
	;; [unrolled: 1-line block ×16, first 2 shown]
	v_mov_b32_e32 v8, v56
	s_mov_b32 s2, exec_lo
	v_cmpx_lt_f32_e32 v24, v25
	s_xor_b32 s2, exec_lo, s2
	s_cbranch_execz .LBB93_19
; %bb.18:
	v_dual_mov_b32 v38, v6 :: v_dual_mov_b32 v39, v7
	v_dual_mov_b32 v32, v1 :: v_dual_mov_b32 v33, v0
	;; [unrolled: 1-line block ×4, first 2 shown]
	s_delay_alu instid0(VALU_DEP_4)
	v_dual_mov_b32 v47, v39 :: v_dual_mov_b32 v46, v38
	v_dual_mov_b32 v71, v39 :: v_dual_mov_b32 v70, v38
	;; [unrolled: 1-line block ×17, first 2 shown]
	v_mov_b32_e32 v9, v56
	v_mov_b32_e32 v1, v0
.LBB93_19:
	s_or_b32 exec_lo, exec_lo, s2
	v_dual_mov_b32 v63, v15 :: v_dual_mov_b32 v62, v14
	v_dual_mov_b32 v79, v15 :: v_dual_mov_b32 v78, v14
	;; [unrolled: 1-line block ×16, first 2 shown]
	v_mov_b32_e32 v24, v18
	s_mov_b32 s2, exec_lo
	v_cmpx_lt_f32_e32 v25, v18
	s_cbranch_execz .LBB93_21
; %bb.20:
	v_dual_mov_b32 v55, v39 :: v_dual_mov_b32 v54, v38
	v_dual_mov_b32 v51, v35 :: v_dual_mov_b32 v50, v34
	;; [unrolled: 1-line block ×16, first 2 shown]
	v_mov_b32_e32 v83, v11
	v_dual_mov_b32 v85, v93 :: v_dual_mov_b32 v86, v94
	v_dual_mov_b32 v87, v95 :: v_dual_mov_b32 v40, v64
	;; [unrolled: 1-line block ×3, first 2 shown]
	v_mov_b32_e32 v42, v66
	v_dual_mov_b32 v17, v18 :: v_dual_mov_b32 v72, v80
	v_dual_mov_b32 v41, v65 :: v_dual_mov_b32 v44, v68
	;; [unrolled: 1-line block ×10, first 2 shown]
	s_delay_alu instid0(VALU_DEP_2)
	v_dual_mov_b32 v56, v72 :: v_dual_mov_b32 v57, v73
	v_dual_mov_b32 v36, v44 :: v_dual_mov_b32 v37, v45
	;; [unrolled: 1-line block ×11, first 2 shown]
	v_mov_b32_e32 v2, v1
.LBB93_21:
	s_or_b32 exec_lo, exec_lo, s2
	v_mov_b32_e32 v1, v19
	s_mov_b32 s2, exec_lo
	v_cmpx_lt_f32_e32 v24, v19
	s_cbranch_execz .LBB93_23
; %bb.22:
	v_mov_b32_e32 v90, v11
	v_mov_b32_e32 v50, v3
	v_dual_mov_b32 v80, v88 :: v_dual_mov_b32 v81, v89
	v_dual_mov_b32 v71, v55 :: v_dual_mov_b32 v70, v54
	;; [unrolled: 1-line block ×3, first 2 shown]
	s_delay_alu instid0(VALU_DEP_4)
	v_dual_mov_b32 v83, v91 :: v_dual_mov_b32 v66, v50
	v_dual_mov_b32 v65, v49 :: v_dual_mov_b32 v68, v52
	v_dual_mov_b32 v67, v51 :: v_dual_mov_b32 v84, v92
	v_mov_b32_e32 v67, v2
	v_dual_mov_b32 v82, v90 :: v_dual_mov_b32 v87, v95
	v_dual_mov_b32 v85, v93 :: v_dual_mov_b32 v86, v94
	;; [unrolled: 1-line block ×11, first 2 shown]
	v_mov_b32_e32 v44, v4
	v_dual_mov_b32 v56, v72 :: v_dual_mov_b32 v57, v73
	v_dual_mov_b32 v32, v40 :: v_dual_mov_b32 v35, v43
	;; [unrolled: 1-line block ×3, first 2 shown]
	s_delay_alu instid0(VALU_DEP_4)
	v_dual_mov_b32 v37, v45 :: v_dual_mov_b32 v36, v44
	v_dual_mov_b32 v39, v47 :: v_dual_mov_b32 v38, v46
	;; [unrolled: 1-line block ×3, first 2 shown]
	v_mov_b32_e32 v63, v79
	v_dual_mov_b32 v61, v77 :: v_dual_mov_b32 v62, v78
	v_mov_b32_e32 v39, v7
	v_dual_mov_b32 v18, v19 :: v_dual_mov_b32 v19, v24
	v_dual_mov_b32 v60, v76 :: v_dual_mov_b32 v37, v5
	;; [unrolled: 1-line block ×4, first 2 shown]
	v_mov_b32_e32 v1, v24
	v_mov_b32_e32 v11, v10
	;; [unrolled: 1-line block ×3, first 2 shown]
.LBB93_23:
	s_or_b32 exec_lo, exec_lo, s2
	v_mov_b32_e32 v2, v20
	s_mov_b32 s2, exec_lo
	v_cmpx_lt_f32_e32 v1, v20
	s_cbranch_execz .LBB93_25
; %bb.24:
	v_mov_b32_e32 v91, v12
	v_mov_b32_e32 v51, v4
	;; [unrolled: 1-line block ×4, first 2 shown]
	v_dual_mov_b32 v40, v48 :: v_dual_mov_b32 v41, v49
	v_dual_mov_b32 v42, v50 :: v_dual_mov_b32 v47, v55
	;; [unrolled: 1-line block ×4, first 2 shown]
	v_mov_b32_e32 v44, v3
	v_dual_mov_b32 v76, v11 :: v_dual_mov_b32 v19, v20
	v_dual_mov_b32 v45, v53 :: v_dual_mov_b32 v46, v54
	;; [unrolled: 1-line block ×4, first 2 shown]
	v_mov_b32_e32 v73, v89
	v_mov_b32_e32 v56, v72
	v_dual_mov_b32 v32, v40 :: v_dual_mov_b32 v33, v41
	v_dual_mov_b32 v60, v76 :: v_dual_mov_b32 v61, v77
	;; [unrolled: 1-line block ×9, first 2 shown]
	v_mov_b32_e32 v59, v75
	v_dual_mov_b32 v37, v5 :: v_dual_mov_b32 v38, v6
	v_dual_mov_b32 v39, v7 :: v_dual_mov_b32 v62, v14
	;; [unrolled: 1-line block ×10, first 2 shown]
	v_mov_b32_e32 v4, v3
.LBB93_25:
	s_or_b32 exec_lo, exec_lo, s2
	v_mov_b32_e32 v1, v21
	s_mov_b32 s2, exec_lo
	v_cmpx_lt_f32_e32 v2, v21
	s_cbranch_execz .LBB93_27
; %bb.26:
	v_mov_b32_e32 v68, v5
	v_dual_mov_b32 v20, v21 :: v_dual_mov_b32 v21, v2
	v_mov_b32_e32 v84, v13
	v_dual_mov_b32 v32, v64 :: v_dual_mov_b32 v33, v65
	v_dual_mov_b32 v39, v71 :: v_dual_mov_b32 v56, v80
	;; [unrolled: 1-line block ×7, first 2 shown]
	v_mov_b32_e32 v61, v12
	v_dual_mov_b32 v72, v80 :: v_dual_mov_b32 v73, v81
	v_dual_mov_b32 v40, v64 :: v_dual_mov_b32 v41, v65
	;; [unrolled: 1-line block ×9, first 2 shown]
	v_mov_b32_e32 v45, v69
	v_mov_b32_e32 v1, v2
	;; [unrolled: 1-line block ×3, first 2 shown]
	v_dual_mov_b32 v5, v4 :: v_dual_mov_b32 v78, v86
	v_dual_mov_b32 v79, v87 :: v_dual_mov_b32 v46, v70
	v_mov_b32_e32 v47, v71
.LBB93_27:
	s_or_b32 exec_lo, exec_lo, s2
	v_mov_b32_e32 v2, v22
	s_mov_b32 s2, exec_lo
	v_cmpx_lt_f32_e32 v1, v22
	s_cbranch_execz .LBB93_29
; %bb.28:
	v_dual_mov_b32 v77, v14 :: v_dual_mov_b32 v78, v13
	v_dual_mov_b32 v45, v6 :: v_dual_mov_b32 v46, v5
	v_mov_b32_e32 v79, v15
	v_dual_mov_b32 v21, v22 :: v_dual_mov_b32 v22, v1
	v_dual_mov_b32 v47, v7 :: v_dual_mov_b32 v56, v72
	;; [unrolled: 1-line block ×10, first 2 shown]
.LBB93_29:
	s_or_b32 exec_lo, exec_lo, s2
	s_delay_alu instid0(VALU_DEP_1)
	v_cmp_lt_f32_e32 vcc_lo, v2, v23
	v_mov_b32_e32 v43, v59
	v_cmp_lt_f32_e64 s2, v16, v17
	v_dual_mov_b32 v41, v57 :: v_dual_mov_b32 v42, v58
	v_dual_cndmask_b32 v9, v23, v2 :: v_dual_mov_b32 v44, v60
	v_dual_cndmask_b32 v22, v22, v23 :: v_dual_cndmask_b32 v47, v63, v62
	s_delay_alu instid0(VALU_DEP_2)
	v_dual_mov_b32 v40, v56 :: v_dual_mov_b32 v23, v9
	v_dual_cndmask_b32 v46, v62, v63 :: v_dual_mov_b32 v1, v16
	v_dual_mov_b32 v4, v19 :: v_dual_mov_b32 v45, v61
	v_dual_cndmask_b32 v54, v38, v39 :: v_dual_cndmask_b32 v55, v39, v38
	v_dual_mov_b32 v2, v17 :: v_dual_mov_b32 v3, v18
	v_dual_mov_b32 v6, v21 :: v_dual_mov_b32 v5, v20
	;; [unrolled: 1-line block ×6, first 2 shown]
	s_and_saveexec_b32 s3, s2
	s_delay_alu instid0(SALU_CYCLE_1)
	s_xor_b32 s2, exec_lo, s3
	s_cbranch_execz .LBB93_31
; %bb.30:
	v_dual_mov_b32 v2, v17 :: v_dual_mov_b32 v3, v16
	v_dual_mov_b32 v4, v18 :: v_dual_mov_b32 v5, v19
	v_dual_mov_b32 v6, v20 :: v_dual_mov_b32 v7, v21
	v_dual_mov_b32 v8, v22 :: v_dual_mov_b32 v17, v16
	s_delay_alu instid0(VALU_DEP_4)
	v_dual_mov_b32 v1, v2 :: v_dual_mov_b32 v40, v57
	v_dual_mov_b32 v2, v3 :: v_dual_mov_b32 v41, v56
	;; [unrolled: 1-line block ×10, first 2 shown]
.LBB93_31:
	s_or_b32 exec_lo, exec_lo, s2
	v_dual_mov_b32 v26, v40 :: v_dual_mov_b32 v27, v41
	v_dual_mov_b32 v79, v47 :: v_dual_mov_b32 v78, v46
	;; [unrolled: 1-line block ×22, first 2 shown]
	v_mov_b32_e32 v34, v3
	s_mov_b32 s2, exec_lo
	v_dual_mov_b32 v77, v45 :: v_dual_mov_b32 v76, v44
	v_dual_mov_b32 v69, v53 :: v_dual_mov_b32 v68, v52
	v_cmpx_lt_f32_e32 v17, v3
	s_cbranch_execz .LBB93_33
; %bb.32:
	v_dual_mov_b32 v9, v48 :: v_dual_mov_b32 v10, v49
	v_dual_mov_b32 v15, v54 :: v_dual_mov_b32 v16, v55
	v_mov_b32_e32 v10, v50
	v_dual_mov_b32 v11, v50 :: v_dual_mov_b32 v12, v51
	v_dual_mov_b32 v13, v52 :: v_dual_mov_b32 v14, v53
	v_dual_mov_b32 v63, v47 :: v_dual_mov_b32 v62, v46
	v_mov_b32_e32 v11, v49
	v_dual_mov_b32 v59, v43 :: v_dual_mov_b32 v58, v42
	v_dual_mov_b32 v57, v41 :: v_dual_mov_b32 v56, v40
	;; [unrolled: 1-line block ×14, first 2 shown]
	v_mov_b32_e32 v23, v69
	v_dual_mov_b32 v23, v53 :: v_dual_mov_b32 v26, v72
	v_dual_mov_b32 v19, v65 :: v_dual_mov_b32 v22, v68
	;; [unrolled: 1-line block ×12, first 2 shown]
	v_mov_b32_e32 v42, v41
	v_mov_b32_e32 v50, v49
.LBB93_33:
	s_or_b32 exec_lo, exec_lo, s2
	v_mov_b32_e32 v17, v4
	s_mov_b32 s2, exec_lo
	v_cmpx_lt_f32_e32 v34, v4
	s_cbranch_execz .LBB93_35
; %bb.34:
	v_mov_b32_e32 v11, v51
	v_dual_mov_b32 v3, v4 :: v_dual_mov_b32 v4, v34
	v_dual_mov_b32 v58, v43 :: v_dual_mov_b32 v71, v16
	v_mov_b32_e32 v64, v9
	v_dual_mov_b32 v70, v15 :: v_dual_mov_b32 v69, v14
	v_dual_mov_b32 v79, v63 :: v_dual_mov_b32 v76, v60
	;; [unrolled: 1-line block ×5, first 2 shown]
	v_mov_b32_e32 v67, v50
	v_dual_mov_b32 v78, v62 :: v_dual_mov_b32 v77, v61
	v_dual_mov_b32 v74, v58 :: v_dual_mov_b32 v73, v57
	;; [unrolled: 1-line block ×14, first 2 shown]
	v_mov_b32_e32 v33, v47
	v_mov_b32_e32 v17, v34
	;; [unrolled: 1-line block ×4, first 2 shown]
.LBB93_35:
	s_or_b32 exec_lo, exec_lo, s2
	v_mov_b32_e32 v12, v5
	s_mov_b32 s2, exec_lo
	v_cmpx_lt_f32_e32 v17, v5
	s_cbranch_execz .LBB93_37
; %bb.36:
	v_mov_b32_e32 v12, v52
	v_dual_mov_b32 v4, v5 :: v_dual_mov_b32 v59, v44
	v_mov_b32_e32 v5, v17
	v_dual_mov_b32 v25, v16 :: v_dual_mov_b32 v24, v15
	v_dual_mov_b32 v26, v56 :: v_dual_mov_b32 v27, v57
	v_dual_mov_b32 v23, v14 :: v_dual_mov_b32 v22, v13
	v_dual_mov_b32 v30, v60 :: v_dual_mov_b32 v31, v61
	v_dual_mov_b32 v32, v62 :: v_dual_mov_b32 v33, v63
	v_dual_mov_b32 v79, v63 :: v_dual_mov_b32 v78, v62
	v_dual_mov_b32 v71, v16 :: v_dual_mov_b32 v70, v15
	v_dual_mov_b32 v21, v12 :: v_dual_mov_b32 v20, v11
	v_dual_mov_b32 v19, v10 :: v_dual_mov_b32 v18, v9
	v_dual_mov_b32 v22, v51 :: v_dual_mov_b32 v23, v53
	v_dual_mov_b32 v24, v54 :: v_dual_mov_b32 v25, v55
	v_dual_mov_b32 v28, v58 :: v_dual_mov_b32 v29, v59
	v_dual_mov_b32 v30, v43 :: v_dual_mov_b32 v31, v45
	v_dual_mov_b32 v32, v46 :: v_dual_mov_b32 v33, v47
	v_dual_mov_b32 v75, v59 :: v_dual_mov_b32 v74, v58
	v_dual_mov_b32 v73, v57 :: v_dual_mov_b32 v72, v56
	v_dual_mov_b32 v69, v14 :: v_dual_mov_b32 v68, v13
	v_dual_mov_b32 v67, v12 :: v_dual_mov_b32 v66, v11
	v_dual_mov_b32 v65, v10 :: v_dual_mov_b32 v64, v9
	v_mov_b32_e32 v12, v17
	v_mov_b32_e32 v44, v43
	v_dual_mov_b32 v52, v51 :: v_dual_mov_b32 v77, v61
	v_mov_b32_e32 v76, v60
.LBB93_37:
	s_or_b32 exec_lo, exec_lo, s2
	v_mov_b32_e32 v9, v6
	s_mov_b32 s2, exec_lo
	v_cmpx_lt_f32_e32 v12, v6
	s_cbranch_execz .LBB93_39
; %bb.38:
	v_dual_mov_b32 v68, v53 :: v_dual_mov_b32 v69, v52
	v_dual_mov_b32 v70, v54 :: v_dual_mov_b32 v77, v44
	;; [unrolled: 1-line block ×13, first 2 shown]
	v_mov_b32_e32 v9, v12
.LBB93_39:
	s_or_b32 exec_lo, exec_lo, s2
	s_delay_alu instid0(VALU_DEP_1)
	v_cmp_lt_f32_e32 vcc_lo, v9, v7
	v_mov_b32_e32 v11, v3
	v_mov_b32_e32 v13, v5
	s_mov_b32 s2, exec_lo
	v_dual_mov_b32 v10, v2 :: v_dual_cndmask_b32 v17, v32, v31
	v_dual_cndmask_b32 v31, v31, v32 :: v_dual_cndmask_b32 v66, v24, v23
	v_dual_cndmask_b32 v23, v23, v24 :: v_dual_cndmask_b32 v14, v6, v7
	v_dual_cndmask_b32 v15, v7, v9 :: v_dual_mov_b32 v12, v4
	v_dual_mov_b32 v9, v1 :: v_dual_mov_b32 v16, v8
	v_cmpx_lt_f32_e32 v1, v2
	s_cbranch_execz .LBB93_41
; %bb.40:
	s_delay_alu instid0(VALU_DEP_2) | instskip(NEXT) | instid1(VALU_DEP_3)
	v_dual_mov_b32 v2, v10 :: v_dual_mov_b32 v3, v9
	v_dual_mov_b32 v8, v15 :: v_dual_mov_b32 v9, v16
	v_dual_mov_b32 v4, v11 :: v_dual_mov_b32 v5, v12
	v_dual_mov_b32 v6, v13 :: v_dual_mov_b32 v7, v14
	s_delay_alu instid0(VALU_DEP_3) | instskip(NEXT) | instid1(VALU_DEP_4)
	v_mov_b32_e32 v16, v9
	v_dual_mov_b32 v24, v26 :: v_dual_mov_b32 v15, v8
	s_delay_alu instid0(VALU_DEP_4)
	v_dual_mov_b32 v32, v18 :: v_dual_mov_b32 v11, v4
	v_swap_b32 v26, v27
	v_swap_b32 v18, v19
	v_dual_mov_b32 v14, v7 :: v_dual_mov_b32 v13, v6
	v_mov_b32_e32 v12, v5
	v_dual_mov_b32 v10, v3 :: v_dual_mov_b32 v9, v2
	v_mov_b32_e32 v2, v1
.LBB93_41:
	s_or_b32 exec_lo, exec_lo, s2
	v_mov_b32_e32 v24, v66
	v_mov_b32_e32 v32, v17
	;; [unrolled: 1-line block ×4, first 2 shown]
	s_delay_alu instid0(VALU_DEP_4)
	v_dual_mov_b32 v41, v33 :: v_dual_mov_b32 v48, v24
	v_dual_mov_b32 v34, v26 :: v_dual_mov_b32 v65, v33
	;; [unrolled: 1-line block ×15, first 2 shown]
	v_mov_b32_e32 v50, v18
	s_mov_b32 s2, exec_lo
	v_cmpx_lt_f32_e32 v2, v11
	s_cbranch_execz .LBB93_43
; %bb.42:
	v_dual_mov_b32 v57, v25 :: v_dual_mov_b32 v56, v24
	v_dual_mov_b32 v53, v21 :: v_dual_mov_b32 v52, v20
	;; [unrolled: 1-line block ×7, first 2 shown]
	s_delay_alu instid0(VALU_DEP_4)
	v_dual_mov_b32 v42, v50 :: v_dual_mov_b32 v43, v51
	v_dual_mov_b32 v63, v31 :: v_dual_mov_b32 v62, v30
	;; [unrolled: 1-line block ×18, first 2 shown]
	v_mov_b32_e32 v1, v2
.LBB93_43:
	s_or_b32 exec_lo, exec_lo, s2
	v_mov_b32_e32 v2, v12
	s_mov_b32 s2, exec_lo
	s_delay_alu instid0(VALU_DEP_2)
	v_cmpx_lt_f32_e32 v1, v12
	s_cbranch_execz .LBB93_45
; %bb.44:
	v_dual_mov_b32 v52, v21 :: v_dual_mov_b32 v11, v12
	v_mov_b32_e32 v60, v29
	v_dual_mov_b32 v42, v50 :: v_dual_mov_b32 v45, v53
	v_dual_mov_b32 v47, v55 :: v_dual_mov_b32 v34, v58
	s_delay_alu instid0(VALU_DEP_4)
	v_dual_mov_b32 v37, v61 :: v_dual_mov_b32 v44, v52
	v_dual_mov_b32 v49, v57 :: v_dual_mov_b32 v46, v54
	v_mov_b32_e32 v45, v20
	v_dual_mov_b32 v48, v56 :: v_dual_mov_b32 v47, v23
	v_dual_mov_b32 v36, v60 :: v_dual_mov_b32 v39, v63
	;; [unrolled: 1-line block ×9, first 2 shown]
	v_mov_b32_e32 v41, v33
	v_dual_mov_b32 v2, v1 :: v_dual_mov_b32 v21, v20
.LBB93_45:
	s_or_b32 exec_lo, exec_lo, s2
	v_mov_b32_e32 v1, v13
	s_mov_b32 s2, exec_lo
	s_delay_alu instid0(VALU_DEP_2)
	v_cmpx_lt_f32_e32 v2, v13
	s_cbranch_execz .LBB93_47
; %bb.46:
	v_dual_mov_b32 v53, v22 :: v_dual_mov_b32 v54, v21
	v_dual_mov_b32 v55, v23 :: v_dual_mov_b32 v56, v66
	;; [unrolled: 1-line block ×4, first 2 shown]
	v_mov_b32_e32 v57, v25
	v_dual_mov_b32 v65, v33 :: v_dual_mov_b32 v42, v50
	v_mov_b32_e32 v34, v58
	v_dual_mov_b32 v12, v13 :: v_dual_mov_b32 v13, v2
	v_dual_mov_b32 v35, v59 :: v_dual_mov_b32 v36, v60
	;; [unrolled: 1-line block ×7, first 2 shown]
	v_mov_b32_e32 v47, v55
	v_mov_b32_e32 v49, v57
	;; [unrolled: 1-line block ×3, first 2 shown]
.LBB93_47:
	s_or_b32 exec_lo, exec_lo, s2
	s_delay_alu instid0(VALU_DEP_1)
	v_cmp_lt_f32_e32 vcc_lo, v1, v14
	v_dual_mov_b32 v20, v10 :: v_dual_mov_b32 v25, v15
	v_mov_b32_e32 v22, v12
	v_dual_mov_b32 v26, v16 :: v_dual_cndmask_b32 v27, v39, v38
	v_cndmask_b32_e32 v38, v38, v39, vcc_lo
	v_dual_cndmask_b32 v28, v47, v46 :: v_dual_mov_b32 v19, v9
	v_dual_cndmask_b32 v46, v46, v47 :: v_dual_cndmask_b32 v23, v13, v14
	v_dual_cndmask_b32 v24, v14, v1 :: v_dual_mov_b32 v21, v11
	s_mov_b32 s2, exec_lo
	v_cmpx_lt_f32_e32 v9, v10
	s_cbranch_execz .LBB93_49
; %bb.48:
	v_dual_mov_b32 v7, v25 :: v_dual_mov_b32 v8, v26
	v_dual_mov_b32 v1, v20 :: v_dual_mov_b32 v2, v19
	;; [unrolled: 1-line block ×4, first 2 shown]
	s_delay_alu instid0(VALU_DEP_4)
	v_dual_mov_b32 v11, v34 :: v_dual_mov_b32 v26, v8
	v_dual_mov_b32 v12, v42 :: v_dual_mov_b32 v25, v7
	v_swap_b32 v34, v35
	v_swap_b32 v42, v43
	v_dual_mov_b32 v24, v6 :: v_dual_mov_b32 v23, v5
	v_dual_mov_b32 v22, v4 :: v_dual_mov_b32 v21, v3
	;; [unrolled: 1-line block ×3, first 2 shown]
	v_mov_b32_e32 v10, v9
.LBB93_49:
	s_or_b32 exec_lo, exec_lo, s2
	v_mov_b32_e32 v47, v28
	v_mov_b32_e32 v39, v27
	v_dual_mov_b32 v1, v42 :: v_dual_mov_b32 v4, v45
	v_dual_mov_b32 v11, v34 :: v_dual_mov_b32 v14, v37
	v_dual_mov_b32 v12, v35 :: v_dual_mov_b32 v13, v36
	s_delay_alu instid0(VALU_DEP_4)
	v_dual_mov_b32 v16, v39 :: v_dual_mov_b32 v15, v38
	v_dual_mov_b32 v18, v41 :: v_dual_mov_b32 v17, v40
	;; [unrolled: 1-line block ×5, first 2 shown]
	v_mov_b32_e32 v9, v21
	s_mov_b32 s2, exec_lo
	v_cmpx_lt_f32_e32 v10, v21
	s_cbranch_execz .LBB93_51
; %bb.50:
	v_dual_mov_b32 v1, v42 :: v_dual_mov_b32 v2, v43
	v_dual_mov_b32 v5, v46 :: v_dual_mov_b32 v6, v47
	;; [unrolled: 1-line block ×16, first 2 shown]
	v_mov_b32_e32 v18, v41
	v_mov_b32_e32 v36, v35
	;; [unrolled: 1-line block ×3, first 2 shown]
.LBB93_51:
	s_or_b32 exec_lo, exec_lo, s2
	v_mov_b32_e32 v29, v22
	s_mov_b32 s2, exec_lo
	v_cmpx_lt_f32_e32 v9, v22
; %bb.52:
	v_dual_mov_b32 v21, v22 :: v_dual_mov_b32 v22, v9
	v_dual_mov_b32 v3, v45 :: v_dual_mov_b32 v4, v44
	;; [unrolled: 1-line block ×7, first 2 shown]
	v_mov_b32_e32 v29, v9
; %bb.53:
	s_or_b32 exec_lo, exec_lo, s2
	s_delay_alu instid0(VALU_DEP_1)
	v_cmp_lt_f32_e32 vcc_lo, v29, v23
	v_dual_mov_b32 v28, v20 :: v_dual_mov_b32 v33, v25
	v_mov_b32_e32 v32, v24
	v_dual_mov_b32 v34, v26 :: v_dual_cndmask_b32 v9, v15, v14
	v_cndmask_b32_e32 v14, v14, v15, vcc_lo
	v_dual_cndmask_b32 v10, v5, v4 :: v_dual_cndmask_b32 v31, v23, v29
	v_dual_cndmask_b32 v4, v4, v5 :: v_dual_mov_b32 v27, v19
	v_dual_cndmask_b32 v30, v22, v23 :: v_dual_mov_b32 v29, v21
	s_mov_b32 s2, exec_lo
	v_cmpx_lt_f32_e32 v19, v20
	s_cbranch_execz .LBB93_55
; %bb.54:
	v_dual_mov_b32 v20, v28 :: v_dual_mov_b32 v21, v27
	v_dual_mov_b32 v26, v33 :: v_dual_mov_b32 v27, v34
	;; [unrolled: 1-line block ×4, first 2 shown]
	s_delay_alu instid0(VALU_DEP_3) | instskip(SKIP_2) | instid1(VALU_DEP_4)
	v_dual_mov_b32 v15, v1 :: v_dual_mov_b32 v34, v27
	v_mov_b32_e32 v5, v11
	v_swap_b32 v11, v12
	v_mov_b32_e32 v32, v25
	v_swap_b32 v1, v2
	v_dual_mov_b32 v33, v26 :: v_dual_mov_b32 v30, v23
	v_dual_mov_b32 v31, v24 :: v_dual_mov_b32 v28, v21
	v_mov_b32_e32 v29, v22
	v_dual_mov_b32 v27, v20 :: v_dual_mov_b32 v20, v19
.LBB93_55:
	s_or_b32 exec_lo, exec_lo, s2
	v_mov_b32_e32 v5, v10
	v_mov_b32_e32 v15, v9
	;; [unrolled: 1-line block ×3, first 2 shown]
	s_mov_b32 s2, exec_lo
	v_cmpx_lt_f32_e32 v20, v29
	s_cbranch_execz .LBB93_57
; %bb.56:
	v_dual_mov_b32 v50, v18 :: v_dual_mov_b32 v49, v17
	v_dual_mov_b32 v42, v8 :: v_dual_mov_b32 v41, v7
	v_dual_mov_b32 v48, v16 :: v_dual_mov_b32 v47, v15
	v_dual_mov_b32 v44, v12 :: v_dual_mov_b32 v43, v11
	v_dual_mov_b32 v40, v6 :: v_dual_mov_b32 v39, v5
	v_dual_mov_b32 v38, v4 :: v_dual_mov_b32 v37, v3
	v_dual_mov_b32 v36, v2 :: v_dual_mov_b32 v35, v1
	v_dual_mov_b32 v46, v14 :: v_dual_mov_b32 v45, v13
	v_dual_mov_b32 v48, v16 :: v_dual_mov_b32 v49, v17
	v_dual_mov_b32 v36, v3 :: v_dual_mov_b32 v37, v2
	v_dual_mov_b32 v38, v4 :: v_dual_mov_b32 v39, v10
	v_dual_mov_b32 v40, v6 :: v_dual_mov_b32 v41, v7
	v_dual_mov_b32 v44, v13 :: v_dual_mov_b32 v45, v12
	v_dual_mov_b32 v46, v14 :: v_dual_mov_b32 v47, v9
	v_mov_b32_e32 v50, v18
	v_dual_mov_b32 v28, v29 :: v_dual_mov_b32 v29, v20
	v_dual_mov_b32 v42, v8 :: v_dual_mov_b32 v11, v43
	;; [unrolled: 1-line block ×10, first 2 shown]
.LBB93_57:
	s_or_b32 exec_lo, exec_lo, s2
	s_delay_alu instid0(VALU_DEP_1) | instskip(NEXT) | instid1(VALU_DEP_3)
	v_cmp_lt_f32_e32 vcc_lo, v19, v30
	v_dual_mov_b32 v20, v5 :: v_dual_mov_b32 v21, v6
	s_delay_alu instid0(VALU_DEP_3)
	v_dual_mov_b32 v22, v7 :: v_dual_mov_b32 v23, v8
	v_dual_cndmask_b32 v9, v14, v13 :: v_dual_cndmask_b32 v10, v4, v3
	v_dual_cndmask_b32 v35, v13, v14 :: v_dual_cndmask_b32 v36, v3, v4
	;; [unrolled: 1-line block ×3, first 2 shown]
	v_dual_mov_b32 v4, v15 :: v_dual_mov_b32 v13, v16
	v_dual_mov_b32 v14, v17 :: v_dual_mov_b32 v19, v18
	;; [unrolled: 1-line block ×4, first 2 shown]
	v_mov_b32_e32 v29, v34
	s_mov_b32 s2, exec_lo
	v_cmpx_lt_f32_e32 v27, v28
	s_cbranch_execz .LBB93_59
; %bb.58:
	v_dual_mov_b32 v24, v28 :: v_dual_mov_b32 v19, v18
	v_dual_mov_b32 v4, v11 :: v_dual_mov_b32 v13, v16
	;; [unrolled: 1-line block ×3, first 2 shown]
	v_swap_b32 v11, v12
	v_swap_b32 v1, v2
	v_dual_mov_b32 v28, v27 :: v_dual_mov_b32 v21, v6
	v_dual_mov_b32 v4, v15 :: v_dual_mov_b32 v23, v8
	;; [unrolled: 1-line block ×5, first 2 shown]
	v_mov_b32_e32 v24, v31
	v_mov_b32_e32 v26, v33
.LBB93_59:
	s_or_b32 exec_lo, exec_lo, s2
	s_clause 0x1
	s_load_b32 s8, s[0:1], 0x28
	s_load_b128 s[4:7], s[0:1], 0x10
	v_mov_b32_e32 v6, 0
	s_waitcnt lgkmcnt(0)
	s_cmp_lt_i32 s8, 1
	s_cbranch_scc1 .LBB93_65
; %bb.60:
	v_cmp_lt_f32_e32 vcc_lo, v28, v30
	s_mov_b32 s9, 0x76543210
	s_mov_b32 s10, s8
	v_dual_mov_b32 v7, 0 :: v_dual_mov_b32 v6, 0
	v_cndmask_b32_e32 v18, v37, v30, vcc_lo
	v_dual_cndmask_b32 v5, v36, v2 :: v_dual_cndmask_b32 v2, v2, v36
	v_cndmask_b32_e32 v8, v30, v28, vcc_lo
	v_dual_cndmask_b32 v15, v35, v12 :: v_dual_cndmask_b32 v28, v12, v35
	s_delay_alu instid0(VALU_DEP_4) | instskip(NEXT) | instid1(VALU_DEP_1)
	v_cmp_lt_f32_e64 s2, v27, v18
	v_cndmask_b32_e64 v12, v2, v1, s2
	v_cndmask_b32_e64 v16, v1, v2, s2
	;; [unrolled: 1-line block ×6, first 2 shown]
	v_dual_mov_b32 v28, v0 :: v_dual_mov_b32 v1, 0
	v_mov_b32_e32 v2, 0
.LBB93_61:                              ; =>This Inner Loop Header: Depth=1
	v_cmp_eq_u32_e32 vcc_lo, 1, v7
	v_cmp_eq_u32_e64 s2, 2, v7
	v_dual_cndmask_b32 v30, v18, v17 :: v_dual_cndmask_b32 v31, v16, v12
	v_cndmask_b32_e32 v32, v11, v27, vcc_lo
	v_cmp_eq_u32_e32 vcc_lo, 3, v7
	s_delay_alu instid0(VALU_DEP_3) | instskip(NEXT) | instid1(VALU_DEP_4)
	v_cndmask_b32_e64 v30, v30, v8, s2
	v_cndmask_b32_e64 v31, v31, v5, s2
	s_delay_alu instid0(VALU_DEP_4) | instskip(SKIP_1) | instid1(VALU_DEP_3)
	v_cndmask_b32_e64 v32, v32, v15, s2
	v_cmp_eq_u32_e64 s2, 4, v7
	v_dual_cndmask_b32 v30, v30, v3 :: v_dual_cndmask_b32 v31, v31, v10
	s_delay_alu instid0(VALU_DEP_3) | instskip(SKIP_1) | instid1(VALU_DEP_3)
	v_cndmask_b32_e32 v32, v32, v9, vcc_lo
	v_cmp_eq_u32_e32 vcc_lo, 5, v7
	v_cndmask_b32_e64 v30, v30, v24, s2
	s_delay_alu instid0(VALU_DEP_4) | instskip(NEXT) | instid1(VALU_DEP_4)
	v_cndmask_b32_e64 v31, v31, v20, s2
	v_cndmask_b32_e64 v32, v32, v4, s2
	v_cmp_eq_u32_e64 s2, 6, v7
	s_delay_alu instid0(VALU_DEP_4) | instskip(NEXT) | instid1(VALU_DEP_4)
	v_cndmask_b32_e32 v30, v30, v25, vcc_lo
	v_cndmask_b32_e32 v31, v31, v21, vcc_lo
	s_delay_alu instid0(VALU_DEP_4) | instskip(SKIP_1) | instid1(VALU_DEP_4)
	v_cndmask_b32_e32 v32, v32, v13, vcc_lo
	v_cmp_eq_u32_e32 vcc_lo, 7, v7
	v_cndmask_b32_e64 v30, v30, v26, s2
	s_delay_alu instid0(VALU_DEP_4) | instskip(NEXT) | instid1(VALU_DEP_4)
	v_cndmask_b32_e64 v31, v31, v22, s2
	v_cndmask_b32_e64 v32, v32, v14, s2
	v_cmp_gt_u32_e64 s2, 8, v7
	s_delay_alu instid0(VALU_DEP_3) | instskip(NEXT) | instid1(VALU_DEP_1)
	v_dual_cndmask_b32 v30, v30, v29 :: v_dual_cndmask_b32 v31, v31, v23
	v_cndmask_b32_e64 v30, 0xff800000, v30, s2
	;;#ASMSTART
	v_max_f32 v34, v30, v30 quad_perm:[1,0,3,2] row_mask:0xf bank_mask:0xf bound_ctrl:1
	;;#ASMEND
	;;#ASMSTART
	v_max_f32 v35, v34, v34 quad_perm:[2,3,0,1] row_mask:0xf bank_mask:0xf bound_ctrl:1
	;;#ASMEND
	;;#ASMSTART
	v_max_f32 v34, v35, v35 row_half_mirror row_mask:0xf bank_mask:0xf bound_ctrl:1
	;;#ASMEND
	;;#ASMSTART
	v_max_f32 v35, v34, v34 row_mirror row_mask:0xf bank_mask:0xf bound_ctrl:1
	;;#ASMEND
	v_permlanex16_b32 v34, v35, s9, 0xfedcba98 op_sel:[1,1]
	v_max_f32_e32 v35, v35, v35
	v_cndmask_b32_e64 v33, 0, v31, s2
	s_delay_alu instid0(VALU_DEP_3) | instskip(NEXT) | instid1(VALU_DEP_1)
	v_max_f32_e32 v34, v34, v34
	v_max_f32_e32 v34, v35, v34
	s_delay_alu instid0(VALU_DEP_1) | instskip(SKIP_1) | instid1(VALU_DEP_2)
	v_cmp_eq_f32_e64 s3, v30, v34
	v_cndmask_b32_e32 v30, v32, v19, vcc_lo
	s_ctz_i32_b32 s11, s3
	s_cmp_lg_u32 s3, 0
	s_cselect_b32 s3, s11, 0
	s_add_i32 s10, s10, -1
	v_readlane_b32 s3, v33, s3
	s_delay_alu instid0(VALU_DEP_1)
	v_cmp_eq_u32_e32 vcc_lo, s3, v31
	s_and_b32 vcc_lo, s2, vcc_lo
	s_and_b32 s2, s3, 31
	v_cndmask_b32_e32 v30, 0, v30, vcc_lo
	v_add_co_ci_u32_e32 v7, vcc_lo, 0, v7, vcc_lo
	s_cmp_eq_u32 s10, 0
	s_delay_alu instid0(VALU_DEP_2) | instskip(SKIP_2) | instid1(VALU_DEP_3)
	v_readlane_b32 s11, v30, s2
	v_cmp_eq_u32_e64 s2, 0, v28
	v_add_nc_u32_e32 v28, -1, v28
	v_add_f32_e32 v6, s11, v6
	s_delay_alu instid0(VALU_DEP_3)
	v_cndmask_b32_e64 v2, v2, s11, s2
	v_cndmask_b32_e64 v1, v1, s3, s2
	s_cbranch_scc0 .LBB93_61
; %bb.62:
	s_mov_b32 s2, exec_lo
	v_cmpx_gt_i32_e64 s8, v0
	s_cbranch_execz .LBB93_64
.LBB93_63:
	s_load_b32 s2, s[0:1], 0x30
	v_max_f32_e32 v0, v6, v6
	s_load_b64 s[0:1], s[0:1], 0x20
	s_ashr_i32 s3, s15, 31
	s_delay_alu instid0(VALU_DEP_1) | instskip(SKIP_1) | instid1(VALU_DEP_1)
	v_max_f32_e32 v0, 0x1e3ce508, v0
	s_waitcnt lgkmcnt(0)
	v_div_scale_f32 v3, null, v0, v0, s2
	v_div_scale_f32 v6, vcc_lo, s2, v0, s2
	s_mul_i32 s1, s15, s1
	s_delay_alu instid0(VALU_DEP_2)
	v_rcp_f32_e32 v4, v3
	s_mul_hi_u32 s8, s15, s0
	s_mul_i32 s3, s3, s0
	s_add_i32 s1, s8, s1
	s_mul_i32 s0, s15, s0
	s_add_i32 s1, s1, s3
	s_delay_alu instid0(SALU_CYCLE_1) | instskip(SKIP_2) | instid1(VALU_DEP_1)
	s_lshl_b64 s[0:1], s[0:1], 2
	s_waitcnt_depctr 0xfff
	v_fma_f32 v5, -v3, v4, 1.0
	v_fmac_f32_e32 v4, v5, v4
	s_delay_alu instid0(VALU_DEP_1) | instskip(NEXT) | instid1(VALU_DEP_1)
	v_mul_f32_e32 v5, v6, v4
	v_fma_f32 v7, -v3, v5, v6
	s_delay_alu instid0(VALU_DEP_1) | instskip(NEXT) | instid1(VALU_DEP_1)
	v_fmac_f32_e32 v5, v7, v4
	v_fma_f32 v3, -v3, v5, v6
	s_delay_alu instid0(VALU_DEP_1) | instskip(NEXT) | instid1(VALU_DEP_1)
	v_div_fmas_f32 v3, v3, v4, v5
	v_div_fixup_f32 v0, v3, v0, s2
	s_add_u32 s2, s4, s0
	s_addc_u32 s3, s5, s1
	s_add_u32 s0, s6, s0
	s_addc_u32 s1, s7, s1
	v_mul_f32_e32 v0, v2, v0
	s_clause 0x1
	global_store_b32 v96, v0, s[2:3]
	global_store_b32 v96, v1, s[0:1]
.LBB93_64:
	s_nop 0
	s_sendmsg sendmsg(MSG_DEALLOC_VGPRS)
	s_endpgm
.LBB93_65:
	v_dual_mov_b32 v1, 0 :: v_dual_mov_b32 v2, 0
	s_mov_b32 s2, exec_lo
	v_cmpx_gt_i32_e64 s8, v0
	s_cbranch_execnz .LBB93_63
	s_branch .LBB93_64
	.section	.rodata,"a",@progbits
	.p2align	6, 0x0
	.amdhsa_kernel _ZN5aiter24topk_softplus_kernel_optIf12hip_bfloat16Li256ELb1ELi0EEEvPKT_PKT0_PfPimiif
		.amdhsa_group_segment_fixed_size 0
		.amdhsa_private_segment_fixed_size 0
		.amdhsa_kernarg_size 52
		.amdhsa_user_sgpr_count 15
		.amdhsa_user_sgpr_dispatch_ptr 0
		.amdhsa_user_sgpr_queue_ptr 0
		.amdhsa_user_sgpr_kernarg_segment_ptr 1
		.amdhsa_user_sgpr_dispatch_id 0
		.amdhsa_user_sgpr_private_segment_size 0
		.amdhsa_wavefront_size32 1
		.amdhsa_uses_dynamic_stack 0
		.amdhsa_enable_private_segment 0
		.amdhsa_system_sgpr_workgroup_id_x 1
		.amdhsa_system_sgpr_workgroup_id_y 0
		.amdhsa_system_sgpr_workgroup_id_z 0
		.amdhsa_system_sgpr_workgroup_info 0
		.amdhsa_system_vgpr_workitem_id 0
		.amdhsa_next_free_vgpr 97
		.amdhsa_next_free_sgpr 16
		.amdhsa_reserve_vcc 1
		.amdhsa_float_round_mode_32 0
		.amdhsa_float_round_mode_16_64 0
		.amdhsa_float_denorm_mode_32 3
		.amdhsa_float_denorm_mode_16_64 3
		.amdhsa_dx10_clamp 1
		.amdhsa_ieee_mode 1
		.amdhsa_fp16_overflow 0
		.amdhsa_workgroup_processor_mode 1
		.amdhsa_memory_ordered 1
		.amdhsa_forward_progress 0
		.amdhsa_shared_vgpr_count 0
		.amdhsa_exception_fp_ieee_invalid_op 0
		.amdhsa_exception_fp_denorm_src 0
		.amdhsa_exception_fp_ieee_div_zero 0
		.amdhsa_exception_fp_ieee_overflow 0
		.amdhsa_exception_fp_ieee_underflow 0
		.amdhsa_exception_fp_ieee_inexact 0
		.amdhsa_exception_int_div_zero 0
	.end_amdhsa_kernel
	.section	.text._ZN5aiter24topk_softplus_kernel_optIf12hip_bfloat16Li256ELb1ELi0EEEvPKT_PKT0_PfPimiif,"axG",@progbits,_ZN5aiter24topk_softplus_kernel_optIf12hip_bfloat16Li256ELb1ELi0EEEvPKT_PKT0_PfPimiif,comdat
.Lfunc_end93:
	.size	_ZN5aiter24topk_softplus_kernel_optIf12hip_bfloat16Li256ELb1ELi0EEEvPKT_PKT0_PfPimiif, .Lfunc_end93-_ZN5aiter24topk_softplus_kernel_optIf12hip_bfloat16Li256ELb1ELi0EEEvPKT_PKT0_PfPimiif
                                        ; -- End function
	.section	.AMDGPU.csdata,"",@progbits
; Kernel info:
; codeLenInByte = 8580
; NumSgprs: 18
; NumVgprs: 97
; ScratchSize: 0
; MemoryBound: 0
; FloatMode: 240
; IeeeMode: 1
; LDSByteSize: 0 bytes/workgroup (compile time only)
; SGPRBlocks: 2
; VGPRBlocks: 12
; NumSGPRsForWavesPerEU: 18
; NumVGPRsForWavesPerEU: 97
; Occupancy: 12
; WaveLimiterHint : 0
; COMPUTE_PGM_RSRC2:SCRATCH_EN: 0
; COMPUTE_PGM_RSRC2:USER_SGPR: 15
; COMPUTE_PGM_RSRC2:TRAP_HANDLER: 0
; COMPUTE_PGM_RSRC2:TGID_X_EN: 1
; COMPUTE_PGM_RSRC2:TGID_Y_EN: 0
; COMPUTE_PGM_RSRC2:TGID_Z_EN: 0
; COMPUTE_PGM_RSRC2:TIDIG_COMP_CNT: 0
	.section	.text._ZN5aiter24topk_softplus_kernel_optIf12hip_bfloat16Li256ELb0ELi0EEEvPKT_PKT0_PfPimiif,"axG",@progbits,_ZN5aiter24topk_softplus_kernel_optIf12hip_bfloat16Li256ELb0ELi0EEEvPKT_PKT0_PfPimiif,comdat
	.protected	_ZN5aiter24topk_softplus_kernel_optIf12hip_bfloat16Li256ELb0ELi0EEEvPKT_PKT0_PfPimiif ; -- Begin function _ZN5aiter24topk_softplus_kernel_optIf12hip_bfloat16Li256ELb0ELi0EEEvPKT_PKT0_PfPimiif
	.globl	_ZN5aiter24topk_softplus_kernel_optIf12hip_bfloat16Li256ELb0ELi0EEEvPKT_PKT0_PfPimiif
	.p2align	8
	.type	_ZN5aiter24topk_softplus_kernel_optIf12hip_bfloat16Li256ELb0ELi0EEEvPKT_PKT0_PfPimiif,@function
_ZN5aiter24topk_softplus_kernel_optIf12hip_bfloat16Li256ELb0ELi0EEEvPKT_PKT0_PfPimiif: ; @_ZN5aiter24topk_softplus_kernel_optIf12hip_bfloat16Li256ELb0ELi0EEEvPKT_PKT0_PfPimiif
; %bb.0:
	s_load_b128 s[4:7], s[0:1], 0x0
	s_lshl_b32 s2, s15, 8
	v_lshlrev_b32_e32 v96, 2, v0
	s_ashr_i32 s3, s2, 31
	s_delay_alu instid0(SALU_CYCLE_1)
	s_lshl_b64 s[2:3], s[2:3], 2
	s_waitcnt lgkmcnt(0)
	s_add_u32 s4, s4, s2
	s_addc_u32 s5, s5, s3
	s_cmp_lg_u64 s[6:7], 0
	global_load_b32 v1, v96, s[4:5]
	s_cselect_b32 s3, -1, 0
	s_waitcnt vmcnt(0)
	v_mul_f32_e32 v2, 0x3fb8aa3b, v1
	s_delay_alu instid0(VALU_DEP_1) | instskip(SKIP_2) | instid1(VALU_DEP_2)
	v_cmp_gt_f32_e32 vcc_lo, 0xc2fc0000, v2
	v_cndmask_b32_e64 v2, 0, 0x42800000, vcc_lo
	v_cndmask_b32_e64 v3, 1.0, 0x1f800000, vcc_lo
	v_fmac_f32_e32 v2, 0x3fb8aa3b, v1
	s_delay_alu instid0(VALU_DEP_1) | instskip(SKIP_2) | instid1(VALU_DEP_1)
	v_exp_f32_e32 v2, v2
	s_waitcnt_depctr 0xfff
	v_fma_f32 v2, v2, v3, 1.0
	v_cmp_gt_f32_e32 vcc_lo, 0x800000, v2
	v_cndmask_b32_e64 v3, 1.0, 0x4f800000, vcc_lo
	s_delay_alu instid0(VALU_DEP_1) | instskip(SKIP_2) | instid1(VALU_DEP_3)
	v_mul_f32_e32 v2, v2, v3
	v_cndmask_b32_e64 v3, 0, 0x42000000, vcc_lo
	v_cmp_lt_f32_e32 vcc_lo, 0x41a00000, v1
	v_log_f32_e32 v2, v2
	s_waitcnt_depctr 0xfff
	v_sub_f32_e32 v2, v2, v3
	s_delay_alu instid0(VALU_DEP_1) | instskip(NEXT) | instid1(VALU_DEP_1)
	v_mul_f32_e32 v2, 0x3f317218, v2
	v_cndmask_b32_e32 v1, v2, v1, vcc_lo
	s_delay_alu instid0(VALU_DEP_1) | instskip(SKIP_1) | instid1(VALU_DEP_2)
	v_mul_f32_e32 v2, 0x4f800000, v1
	v_cmp_gt_f32_e32 vcc_lo, 0xf800000, v1
	v_cndmask_b32_e32 v1, v1, v2, vcc_lo
	s_delay_alu instid0(VALU_DEP_1) | instskip(SKIP_3) | instid1(VALU_DEP_2)
	v_sqrt_f32_e32 v2, v1
	s_waitcnt_depctr 0xfff
	v_add_nc_u32_e32 v3, -1, v2
	v_add_nc_u32_e32 v4, 1, v2
	v_fma_f32 v5, -v3, v2, v1
	s_delay_alu instid0(VALU_DEP_2) | instskip(NEXT) | instid1(VALU_DEP_2)
	v_fma_f32 v6, -v4, v2, v1
	v_cmp_ge_f32_e64 s2, 0, v5
	s_delay_alu instid0(VALU_DEP_1) | instskip(NEXT) | instid1(VALU_DEP_3)
	v_cndmask_b32_e64 v2, v2, v3, s2
	v_cmp_lt_f32_e64 s2, 0, v6
	s_delay_alu instid0(VALU_DEP_1) | instskip(NEXT) | instid1(VALU_DEP_1)
	v_cndmask_b32_e64 v2, v2, v4, s2
	v_mul_f32_e32 v3, 0x37800000, v2
	s_delay_alu instid0(VALU_DEP_1) | instskip(SKIP_1) | instid1(VALU_DEP_2)
	v_cndmask_b32_e32 v2, v2, v3, vcc_lo
	v_cmp_class_f32_e64 vcc_lo, v1, 0x260
	v_dual_cndmask_b32 v56, v2, v1 :: v_dual_lshlrev_b32 v3, 1, v0
	v_add_co_u32 v1, s2, s4, v96
	s_delay_alu instid0(VALU_DEP_1) | instskip(NEXT) | instid1(VALU_DEP_3)
	v_add_co_ci_u32_e64 v2, null, s5, 0, s2
	v_mov_b32_e32 v24, v56
	s_and_b32 vcc_lo, exec_lo, s3
	s_cbranch_vccz .LBB94_2
; %bb.1:
	global_load_u16 v4, v3, s[6:7]
	s_waitcnt vmcnt(0)
	v_lshlrev_b32_e32 v4, 16, v4
	s_delay_alu instid0(VALU_DEP_1)
	v_add_f32_e32 v24, v56, v4
.LBB94_2:
	global_load_b32 v4, v[1:2], off offset:128
	s_waitcnt vmcnt(0)
	v_mul_f32_e32 v5, 0x3fb8aa3b, v4
	s_delay_alu instid0(VALU_DEP_1) | instskip(SKIP_2) | instid1(VALU_DEP_2)
	v_cmp_gt_f32_e32 vcc_lo, 0xc2fc0000, v5
	v_cndmask_b32_e64 v6, 0, 0x42800000, vcc_lo
	v_cndmask_b32_e64 v5, 1.0, 0x1f800000, vcc_lo
	v_fmac_f32_e32 v6, 0x3fb8aa3b, v4
	s_delay_alu instid0(VALU_DEP_1) | instskip(SKIP_2) | instid1(VALU_DEP_1)
	v_exp_f32_e32 v6, v6
	s_waitcnt_depctr 0xfff
	v_fma_f32 v5, v6, v5, 1.0
	v_cmp_gt_f32_e32 vcc_lo, 0x800000, v5
	v_cndmask_b32_e64 v6, 1.0, 0x4f800000, vcc_lo
	s_delay_alu instid0(VALU_DEP_1) | instskip(SKIP_2) | instid1(VALU_DEP_3)
	v_mul_f32_e32 v5, v5, v6
	v_cndmask_b32_e64 v6, 0, 0x42000000, vcc_lo
	v_cmp_lt_f32_e32 vcc_lo, 0x41a00000, v4
	v_log_f32_e32 v5, v5
	s_waitcnt_depctr 0xfff
	v_sub_f32_e32 v5, v5, v6
	s_delay_alu instid0(VALU_DEP_1) | instskip(NEXT) | instid1(VALU_DEP_1)
	v_mul_f32_e32 v5, 0x3f317218, v5
	v_cndmask_b32_e32 v4, v5, v4, vcc_lo
	s_delay_alu instid0(VALU_DEP_1) | instskip(SKIP_1) | instid1(VALU_DEP_2)
	v_mul_f32_e32 v5, 0x4f800000, v4
	v_cmp_gt_f32_e32 vcc_lo, 0xf800000, v4
	v_cndmask_b32_e32 v5, v4, v5, vcc_lo
	s_delay_alu instid0(VALU_DEP_1) | instskip(SKIP_3) | instid1(VALU_DEP_2)
	v_sqrt_f32_e32 v4, v5
	s_waitcnt_depctr 0xfff
	v_add_nc_u32_e32 v6, -1, v4
	v_add_nc_u32_e32 v7, 1, v4
	v_fma_f32 v8, -v6, v4, v5
	s_delay_alu instid0(VALU_DEP_2) | instskip(NEXT) | instid1(VALU_DEP_2)
	v_fma_f32 v9, -v7, v4, v5
	v_cmp_ge_f32_e64 s2, 0, v8
	s_delay_alu instid0(VALU_DEP_1) | instskip(NEXT) | instid1(VALU_DEP_3)
	v_cndmask_b32_e64 v4, v4, v6, s2
	v_cmp_lt_f32_e64 s2, 0, v9
	s_delay_alu instid0(VALU_DEP_1) | instskip(NEXT) | instid1(VALU_DEP_1)
	v_cndmask_b32_e64 v4, v4, v7, s2
	v_mul_f32_e32 v6, 0x37800000, v4
	s_delay_alu instid0(VALU_DEP_1) | instskip(SKIP_2) | instid1(VALU_DEP_3)
	v_cndmask_b32_e32 v6, v4, v6, vcc_lo
	v_cmp_class_f32_e64 vcc_lo, v5, 0x260
	v_cndmask_b32_e64 v4, 0, 1, s3
	v_cndmask_b32_e32 v9, v6, v5, vcc_lo
	s_and_not1_b32 vcc_lo, exec_lo, s3
	s_delay_alu instid0(VALU_DEP_1)
	v_mov_b32_e32 v25, v9
	s_cbranch_vccnz .LBB94_4
; %bb.3:
	global_load_u16 v5, v3, s[6:7] offset:64
	s_waitcnt vmcnt(0)
	v_lshlrev_b32_e32 v5, 16, v5
	s_delay_alu instid0(VALU_DEP_1)
	v_add_f32_e32 v25, v9, v5
.LBB94_4:
	global_load_b32 v5, v[1:2], off offset:256
	s_waitcnt vmcnt(0)
	v_mul_f32_e32 v6, 0x3fb8aa3b, v5
	s_delay_alu instid0(VALU_DEP_1) | instskip(SKIP_2) | instid1(VALU_DEP_2)
	v_cmp_gt_f32_e32 vcc_lo, 0xc2fc0000, v6
	v_cndmask_b32_e64 v7, 0, 0x42800000, vcc_lo
	v_cndmask_b32_e64 v6, 1.0, 0x1f800000, vcc_lo
	v_fmac_f32_e32 v7, 0x3fb8aa3b, v5
	s_delay_alu instid0(VALU_DEP_1) | instskip(SKIP_2) | instid1(VALU_DEP_1)
	v_exp_f32_e32 v7, v7
	s_waitcnt_depctr 0xfff
	v_fma_f32 v6, v7, v6, 1.0
	v_cmp_gt_f32_e32 vcc_lo, 0x800000, v6
	v_cndmask_b32_e64 v7, 1.0, 0x4f800000, vcc_lo
	s_delay_alu instid0(VALU_DEP_1) | instskip(SKIP_2) | instid1(VALU_DEP_3)
	v_mul_f32_e32 v6, v6, v7
	v_cndmask_b32_e64 v7, 0, 0x42000000, vcc_lo
	v_cmp_lt_f32_e32 vcc_lo, 0x41a00000, v5
	v_log_f32_e32 v6, v6
	s_waitcnt_depctr 0xfff
	v_sub_f32_e32 v6, v6, v7
	s_delay_alu instid0(VALU_DEP_1) | instskip(NEXT) | instid1(VALU_DEP_1)
	v_mul_f32_e32 v6, 0x3f317218, v6
	v_cndmask_b32_e32 v5, v6, v5, vcc_lo
	s_delay_alu instid0(VALU_DEP_1) | instskip(SKIP_1) | instid1(VALU_DEP_2)
	v_mul_f32_e32 v6, 0x4f800000, v5
	v_cmp_gt_f32_e32 vcc_lo, 0xf800000, v5
	v_cndmask_b32_e32 v5, v5, v6, vcc_lo
	s_delay_alu instid0(VALU_DEP_1) | instskip(SKIP_3) | instid1(VALU_DEP_2)
	v_sqrt_f32_e32 v6, v5
	s_waitcnt_depctr 0xfff
	v_add_nc_u32_e32 v7, -1, v6
	v_add_nc_u32_e32 v8, 1, v6
	v_fma_f32 v10, -v7, v6, v5
	s_delay_alu instid0(VALU_DEP_2) | instskip(NEXT) | instid1(VALU_DEP_2)
	v_fma_f32 v11, -v8, v6, v5
	v_cmp_ge_f32_e64 s2, 0, v10
	s_delay_alu instid0(VALU_DEP_1) | instskip(NEXT) | instid1(VALU_DEP_3)
	v_cndmask_b32_e64 v6, v6, v7, s2
	v_cmp_lt_f32_e64 s2, 0, v11
	s_delay_alu instid0(VALU_DEP_1) | instskip(NEXT) | instid1(VALU_DEP_1)
	v_cndmask_b32_e64 v6, v6, v8, s2
	v_mul_f32_e32 v7, 0x37800000, v6
	s_delay_alu instid0(VALU_DEP_1) | instskip(SKIP_1) | instid1(VALU_DEP_2)
	v_cndmask_b32_e32 v6, v6, v7, vcc_lo
	v_cmp_class_f32_e64 vcc_lo, v5, 0x260
	v_cndmask_b32_e32 v10, v6, v5, vcc_lo
	v_cmp_ne_u32_e32 vcc_lo, 1, v4
	s_delay_alu instid0(VALU_DEP_2)
	v_mov_b32_e32 v26, v10
	s_cbranch_vccnz .LBB94_6
; %bb.5:
	global_load_u16 v5, v3, s[6:7] offset:128
	s_waitcnt vmcnt(0)
	v_lshlrev_b32_e32 v5, 16, v5
	s_delay_alu instid0(VALU_DEP_1)
	v_add_f32_e32 v26, v10, v5
.LBB94_6:
	global_load_b32 v5, v[1:2], off offset:384
	s_waitcnt vmcnt(0)
	v_mul_f32_e32 v6, 0x3fb8aa3b, v5
	s_delay_alu instid0(VALU_DEP_1) | instskip(SKIP_2) | instid1(VALU_DEP_2)
	v_cmp_gt_f32_e32 vcc_lo, 0xc2fc0000, v6
	v_cndmask_b32_e64 v7, 0, 0x42800000, vcc_lo
	v_cndmask_b32_e64 v6, 1.0, 0x1f800000, vcc_lo
	v_fmac_f32_e32 v7, 0x3fb8aa3b, v5
	s_delay_alu instid0(VALU_DEP_1) | instskip(SKIP_2) | instid1(VALU_DEP_1)
	v_exp_f32_e32 v7, v7
	s_waitcnt_depctr 0xfff
	v_fma_f32 v6, v7, v6, 1.0
	v_cmp_gt_f32_e32 vcc_lo, 0x800000, v6
	v_cndmask_b32_e64 v7, 1.0, 0x4f800000, vcc_lo
	s_delay_alu instid0(VALU_DEP_1) | instskip(SKIP_2) | instid1(VALU_DEP_3)
	v_mul_f32_e32 v6, v6, v7
	v_cndmask_b32_e64 v7, 0, 0x42000000, vcc_lo
	v_cmp_lt_f32_e32 vcc_lo, 0x41a00000, v5
	v_log_f32_e32 v6, v6
	s_waitcnt_depctr 0xfff
	v_sub_f32_e32 v6, v6, v7
	s_delay_alu instid0(VALU_DEP_1) | instskip(NEXT) | instid1(VALU_DEP_1)
	v_mul_f32_e32 v6, 0x3f317218, v6
	v_cndmask_b32_e32 v5, v6, v5, vcc_lo
	s_delay_alu instid0(VALU_DEP_1) | instskip(SKIP_1) | instid1(VALU_DEP_2)
	v_mul_f32_e32 v6, 0x4f800000, v5
	v_cmp_gt_f32_e32 vcc_lo, 0xf800000, v5
	v_cndmask_b32_e32 v5, v5, v6, vcc_lo
	s_delay_alu instid0(VALU_DEP_1) | instskip(SKIP_3) | instid1(VALU_DEP_2)
	v_sqrt_f32_e32 v6, v5
	s_waitcnt_depctr 0xfff
	v_add_nc_u32_e32 v7, -1, v6
	v_add_nc_u32_e32 v8, 1, v6
	v_fma_f32 v11, -v7, v6, v5
	s_delay_alu instid0(VALU_DEP_2) | instskip(NEXT) | instid1(VALU_DEP_2)
	v_fma_f32 v12, -v8, v6, v5
	v_cmp_ge_f32_e64 s2, 0, v11
	s_delay_alu instid0(VALU_DEP_1) | instskip(NEXT) | instid1(VALU_DEP_3)
	v_cndmask_b32_e64 v6, v6, v7, s2
	v_cmp_lt_f32_e64 s2, 0, v12
	s_delay_alu instid0(VALU_DEP_1) | instskip(NEXT) | instid1(VALU_DEP_1)
	v_cndmask_b32_e64 v6, v6, v8, s2
	v_mul_f32_e32 v7, 0x37800000, v6
	s_delay_alu instid0(VALU_DEP_1) | instskip(SKIP_1) | instid1(VALU_DEP_2)
	v_cndmask_b32_e32 v6, v6, v7, vcc_lo
	v_cmp_class_f32_e64 vcc_lo, v5, 0x260
	v_cndmask_b32_e32 v11, v6, v5, vcc_lo
	v_cmp_ne_u32_e32 vcc_lo, 1, v4
	s_delay_alu instid0(VALU_DEP_2)
	;; [unrolled: 58-line block ×5, first 2 shown]
	v_mov_b32_e32 v30, v14
	s_cbranch_vccnz .LBB94_14
; %bb.13:
	global_load_u16 v5, v3, s[6:7] offset:384
	s_waitcnt vmcnt(0)
	v_lshlrev_b32_e32 v5, 16, v5
	s_delay_alu instid0(VALU_DEP_1)
	v_add_f32_e32 v30, v14, v5
.LBB94_14:
	global_load_b32 v1, v[1:2], off offset:896
	s_waitcnt vmcnt(0)
	v_mul_f32_e32 v2, 0x3fb8aa3b, v1
	s_delay_alu instid0(VALU_DEP_1) | instskip(SKIP_2) | instid1(VALU_DEP_2)
	v_cmp_gt_f32_e32 vcc_lo, 0xc2fc0000, v2
	v_cndmask_b32_e64 v5, 0, 0x42800000, vcc_lo
	v_cndmask_b32_e64 v2, 1.0, 0x1f800000, vcc_lo
	v_fmac_f32_e32 v5, 0x3fb8aa3b, v1
	s_delay_alu instid0(VALU_DEP_1) | instskip(SKIP_2) | instid1(VALU_DEP_1)
	v_exp_f32_e32 v5, v5
	s_waitcnt_depctr 0xfff
	v_fma_f32 v2, v5, v2, 1.0
	v_cmp_gt_f32_e32 vcc_lo, 0x800000, v2
	v_cndmask_b32_e64 v5, 1.0, 0x4f800000, vcc_lo
	s_delay_alu instid0(VALU_DEP_1) | instskip(SKIP_2) | instid1(VALU_DEP_3)
	v_mul_f32_e32 v2, v2, v5
	v_cndmask_b32_e64 v5, 0, 0x42000000, vcc_lo
	v_cmp_lt_f32_e32 vcc_lo, 0x41a00000, v1
	v_log_f32_e32 v2, v2
	s_waitcnt_depctr 0xfff
	v_sub_f32_e32 v2, v2, v5
	s_delay_alu instid0(VALU_DEP_1) | instskip(NEXT) | instid1(VALU_DEP_1)
	v_mul_f32_e32 v2, 0x3f317218, v2
	v_cndmask_b32_e32 v1, v2, v1, vcc_lo
	s_delay_alu instid0(VALU_DEP_1) | instskip(SKIP_1) | instid1(VALU_DEP_2)
	v_mul_f32_e32 v2, 0x4f800000, v1
	v_cmp_gt_f32_e32 vcc_lo, 0xf800000, v1
	v_cndmask_b32_e32 v1, v1, v2, vcc_lo
	s_delay_alu instid0(VALU_DEP_1) | instskip(SKIP_3) | instid1(VALU_DEP_2)
	v_sqrt_f32_e32 v2, v1
	s_waitcnt_depctr 0xfff
	v_add_nc_u32_e32 v5, -1, v2
	v_add_nc_u32_e32 v6, 1, v2
	v_fma_f32 v7, -v5, v2, v1
	s_delay_alu instid0(VALU_DEP_2) | instskip(NEXT) | instid1(VALU_DEP_2)
	v_fma_f32 v8, -v6, v2, v1
	v_cmp_ge_f32_e64 s2, 0, v7
	s_delay_alu instid0(VALU_DEP_1) | instskip(NEXT) | instid1(VALU_DEP_3)
	v_cndmask_b32_e64 v2, v2, v5, s2
	v_cmp_lt_f32_e64 s2, 0, v8
	s_delay_alu instid0(VALU_DEP_1) | instskip(NEXT) | instid1(VALU_DEP_1)
	v_cndmask_b32_e64 v2, v2, v6, s2
	v_mul_f32_e32 v5, 0x37800000, v2
	s_delay_alu instid0(VALU_DEP_1) | instskip(SKIP_1) | instid1(VALU_DEP_2)
	v_cndmask_b32_e32 v2, v2, v5, vcc_lo
	v_cmp_class_f32_e64 vcc_lo, v1, 0x260
	v_cndmask_b32_e32 v15, v2, v1, vcc_lo
	v_cmp_ne_u32_e32 vcc_lo, 1, v4
	s_cbranch_vccnz .LBB94_16
; %bb.15:
	global_load_u16 v1, v3, s[6:7] offset:448
	s_waitcnt vmcnt(0)
	v_lshlrev_b32_e32 v1, 16, v1
	s_delay_alu instid0(VALU_DEP_1)
	v_add_f32_e32 v31, v15, v1
	s_branch .LBB94_17
.LBB94_16:
	s_delay_alu instid0(VALU_DEP_2)
	v_mov_b32_e32 v31, v15
.LBB94_17:
	v_add_nc_u32_e32 v7, 0xe0, v0
	v_dual_mov_b32 v16, v24 :: v_dual_add_nc_u32 v1, 32, v0
	v_dual_mov_b32 v17, v25 :: v_dual_add_nc_u32 v2, 64, v0
	;; [unrolled: 1-line block ×6, first 2 shown]
	v_dual_mov_b32 v22, v30 :: v_dual_mov_b32 v39, v7
	s_delay_alu instid0(VALU_DEP_2)
	v_dual_mov_b32 v47, v7 :: v_dual_mov_b32 v46, v6
	v_dual_mov_b32 v71, v7 :: v_dual_mov_b32 v70, v6
	;; [unrolled: 1-line block ×16, first 2 shown]
	v_mov_b32_e32 v8, v56
	s_mov_b32 s2, exec_lo
	v_cmpx_lt_f32_e32 v24, v25
	s_xor_b32 s2, exec_lo, s2
	s_cbranch_execz .LBB94_19
; %bb.18:
	v_dual_mov_b32 v38, v6 :: v_dual_mov_b32 v39, v7
	v_dual_mov_b32 v32, v1 :: v_dual_mov_b32 v33, v0
	;; [unrolled: 1-line block ×4, first 2 shown]
	s_delay_alu instid0(VALU_DEP_4)
	v_dual_mov_b32 v47, v39 :: v_dual_mov_b32 v46, v38
	v_dual_mov_b32 v71, v39 :: v_dual_mov_b32 v70, v38
	;; [unrolled: 1-line block ×17, first 2 shown]
	v_mov_b32_e32 v9, v56
	v_mov_b32_e32 v1, v0
.LBB94_19:
	s_or_b32 exec_lo, exec_lo, s2
	v_dual_mov_b32 v63, v15 :: v_dual_mov_b32 v62, v14
	v_dual_mov_b32 v79, v15 :: v_dual_mov_b32 v78, v14
	;; [unrolled: 1-line block ×16, first 2 shown]
	v_mov_b32_e32 v24, v18
	s_mov_b32 s2, exec_lo
	v_cmpx_lt_f32_e32 v25, v18
	s_cbranch_execz .LBB94_21
; %bb.20:
	v_dual_mov_b32 v55, v39 :: v_dual_mov_b32 v54, v38
	v_dual_mov_b32 v51, v35 :: v_dual_mov_b32 v50, v34
	;; [unrolled: 1-line block ×16, first 2 shown]
	v_mov_b32_e32 v83, v11
	v_dual_mov_b32 v85, v93 :: v_dual_mov_b32 v86, v94
	v_dual_mov_b32 v87, v95 :: v_dual_mov_b32 v40, v64
	;; [unrolled: 1-line block ×3, first 2 shown]
	v_mov_b32_e32 v42, v66
	v_dual_mov_b32 v17, v18 :: v_dual_mov_b32 v72, v80
	v_dual_mov_b32 v41, v65 :: v_dual_mov_b32 v44, v68
	;; [unrolled: 1-line block ×10, first 2 shown]
	s_delay_alu instid0(VALU_DEP_2)
	v_dual_mov_b32 v56, v72 :: v_dual_mov_b32 v57, v73
	v_dual_mov_b32 v36, v44 :: v_dual_mov_b32 v37, v45
	;; [unrolled: 1-line block ×11, first 2 shown]
	v_mov_b32_e32 v2, v1
.LBB94_21:
	s_or_b32 exec_lo, exec_lo, s2
	v_mov_b32_e32 v1, v19
	s_mov_b32 s2, exec_lo
	v_cmpx_lt_f32_e32 v24, v19
	s_cbranch_execz .LBB94_23
; %bb.22:
	v_mov_b32_e32 v90, v11
	v_mov_b32_e32 v50, v3
	v_dual_mov_b32 v80, v88 :: v_dual_mov_b32 v81, v89
	v_dual_mov_b32 v71, v55 :: v_dual_mov_b32 v70, v54
	;; [unrolled: 1-line block ×3, first 2 shown]
	s_delay_alu instid0(VALU_DEP_4)
	v_dual_mov_b32 v83, v91 :: v_dual_mov_b32 v66, v50
	v_dual_mov_b32 v65, v49 :: v_dual_mov_b32 v68, v52
	;; [unrolled: 1-line block ×3, first 2 shown]
	v_mov_b32_e32 v67, v2
	v_dual_mov_b32 v82, v90 :: v_dual_mov_b32 v87, v95
	v_dual_mov_b32 v85, v93 :: v_dual_mov_b32 v86, v94
	;; [unrolled: 1-line block ×11, first 2 shown]
	v_mov_b32_e32 v44, v4
	v_dual_mov_b32 v56, v72 :: v_dual_mov_b32 v57, v73
	v_dual_mov_b32 v32, v40 :: v_dual_mov_b32 v35, v43
	;; [unrolled: 1-line block ×3, first 2 shown]
	s_delay_alu instid0(VALU_DEP_4)
	v_dual_mov_b32 v37, v45 :: v_dual_mov_b32 v36, v44
	v_dual_mov_b32 v39, v47 :: v_dual_mov_b32 v38, v46
	;; [unrolled: 1-line block ×3, first 2 shown]
	v_mov_b32_e32 v63, v79
	v_dual_mov_b32 v61, v77 :: v_dual_mov_b32 v62, v78
	v_mov_b32_e32 v39, v7
	v_dual_mov_b32 v18, v19 :: v_dual_mov_b32 v19, v24
	v_dual_mov_b32 v60, v76 :: v_dual_mov_b32 v37, v5
	v_dual_mov_b32 v38, v6 :: v_dual_mov_b32 v61, v13
	v_dual_mov_b32 v62, v14 :: v_dual_mov_b32 v63, v15
	v_mov_b32_e32 v1, v24
	v_mov_b32_e32 v11, v10
	v_mov_b32_e32 v3, v2
.LBB94_23:
	s_or_b32 exec_lo, exec_lo, s2
	v_mov_b32_e32 v2, v20
	s_mov_b32 s2, exec_lo
	v_cmpx_lt_f32_e32 v1, v20
	s_cbranch_execz .LBB94_25
; %bb.24:
	v_mov_b32_e32 v91, v12
	v_mov_b32_e32 v51, v4
	;; [unrolled: 1-line block ×4, first 2 shown]
	v_dual_mov_b32 v40, v48 :: v_dual_mov_b32 v41, v49
	v_dual_mov_b32 v42, v50 :: v_dual_mov_b32 v47, v55
	;; [unrolled: 1-line block ×4, first 2 shown]
	v_mov_b32_e32 v44, v3
	v_dual_mov_b32 v76, v11 :: v_dual_mov_b32 v19, v20
	v_dual_mov_b32 v45, v53 :: v_dual_mov_b32 v46, v54
	v_dual_mov_b32 v75, v91 :: v_dual_mov_b32 v78, v94
	v_dual_mov_b32 v79, v95 :: v_dual_mov_b32 v20, v1
	v_mov_b32_e32 v73, v89
	v_mov_b32_e32 v56, v72
	v_dual_mov_b32 v32, v40 :: v_dual_mov_b32 v33, v41
	v_dual_mov_b32 v60, v76 :: v_dual_mov_b32 v61, v77
	;; [unrolled: 1-line block ×9, first 2 shown]
	v_mov_b32_e32 v59, v75
	v_dual_mov_b32 v37, v5 :: v_dual_mov_b32 v38, v6
	v_dual_mov_b32 v39, v7 :: v_dual_mov_b32 v62, v14
	;; [unrolled: 1-line block ×10, first 2 shown]
	v_mov_b32_e32 v4, v3
.LBB94_25:
	s_or_b32 exec_lo, exec_lo, s2
	v_mov_b32_e32 v1, v21
	s_mov_b32 s2, exec_lo
	v_cmpx_lt_f32_e32 v2, v21
	s_cbranch_execz .LBB94_27
; %bb.26:
	v_mov_b32_e32 v68, v5
	v_dual_mov_b32 v20, v21 :: v_dual_mov_b32 v21, v2
	v_mov_b32_e32 v84, v13
	v_dual_mov_b32 v32, v64 :: v_dual_mov_b32 v33, v65
	v_dual_mov_b32 v39, v71 :: v_dual_mov_b32 v56, v80
	;; [unrolled: 1-line block ×7, first 2 shown]
	v_mov_b32_e32 v61, v12
	v_dual_mov_b32 v72, v80 :: v_dual_mov_b32 v73, v81
	v_dual_mov_b32 v40, v64 :: v_dual_mov_b32 v41, v65
	;; [unrolled: 1-line block ×9, first 2 shown]
	v_mov_b32_e32 v45, v69
	v_mov_b32_e32 v1, v2
	;; [unrolled: 1-line block ×3, first 2 shown]
	v_dual_mov_b32 v5, v4 :: v_dual_mov_b32 v78, v86
	v_dual_mov_b32 v79, v87 :: v_dual_mov_b32 v46, v70
	v_mov_b32_e32 v47, v71
.LBB94_27:
	s_or_b32 exec_lo, exec_lo, s2
	v_mov_b32_e32 v2, v22
	s_mov_b32 s2, exec_lo
	v_cmpx_lt_f32_e32 v1, v22
	s_cbranch_execz .LBB94_29
; %bb.28:
	v_dual_mov_b32 v77, v14 :: v_dual_mov_b32 v78, v13
	v_dual_mov_b32 v45, v6 :: v_dual_mov_b32 v46, v5
	v_mov_b32_e32 v79, v15
	v_dual_mov_b32 v21, v22 :: v_dual_mov_b32 v22, v1
	v_dual_mov_b32 v47, v7 :: v_dual_mov_b32 v56, v72
	;; [unrolled: 1-line block ×10, first 2 shown]
.LBB94_29:
	s_or_b32 exec_lo, exec_lo, s2
	s_delay_alu instid0(VALU_DEP_1)
	v_cmp_lt_f32_e32 vcc_lo, v2, v23
	v_mov_b32_e32 v43, v59
	v_cmp_lt_f32_e64 s2, v16, v17
	v_dual_mov_b32 v41, v57 :: v_dual_mov_b32 v42, v58
	v_dual_cndmask_b32 v9, v23, v2 :: v_dual_mov_b32 v44, v60
	v_dual_cndmask_b32 v22, v22, v23 :: v_dual_cndmask_b32 v47, v63, v62
	s_delay_alu instid0(VALU_DEP_2)
	v_dual_mov_b32 v40, v56 :: v_dual_mov_b32 v23, v9
	v_dual_cndmask_b32 v46, v62, v63 :: v_dual_mov_b32 v1, v16
	v_dual_mov_b32 v4, v19 :: v_dual_mov_b32 v45, v61
	v_dual_cndmask_b32 v54, v38, v39 :: v_dual_cndmask_b32 v55, v39, v38
	v_dual_mov_b32 v2, v17 :: v_dual_mov_b32 v3, v18
	v_dual_mov_b32 v6, v21 :: v_dual_mov_b32 v5, v20
	v_dual_mov_b32 v8, v23 :: v_dual_mov_b32 v7, v22
	v_dual_mov_b32 v48, v32 :: v_dual_mov_b32 v49, v33
	v_dual_mov_b32 v50, v34 :: v_dual_mov_b32 v51, v35
	v_dual_mov_b32 v52, v36 :: v_dual_mov_b32 v53, v37
	s_and_saveexec_b32 s3, s2
	s_delay_alu instid0(SALU_CYCLE_1)
	s_xor_b32 s2, exec_lo, s3
	s_cbranch_execz .LBB94_31
; %bb.30:
	v_dual_mov_b32 v2, v17 :: v_dual_mov_b32 v3, v16
	v_dual_mov_b32 v4, v18 :: v_dual_mov_b32 v5, v19
	;; [unrolled: 1-line block ×4, first 2 shown]
	s_delay_alu instid0(VALU_DEP_4)
	v_dual_mov_b32 v1, v2 :: v_dual_mov_b32 v40, v57
	v_dual_mov_b32 v2, v3 :: v_dual_mov_b32 v41, v56
	;; [unrolled: 1-line block ×10, first 2 shown]
.LBB94_31:
	s_or_b32 exec_lo, exec_lo, s2
	v_dual_mov_b32 v26, v40 :: v_dual_mov_b32 v27, v41
	v_dual_mov_b32 v79, v47 :: v_dual_mov_b32 v78, v46
	;; [unrolled: 1-line block ×22, first 2 shown]
	v_mov_b32_e32 v34, v3
	s_mov_b32 s2, exec_lo
	v_dual_mov_b32 v77, v45 :: v_dual_mov_b32 v76, v44
	v_dual_mov_b32 v69, v53 :: v_dual_mov_b32 v68, v52
	v_cmpx_lt_f32_e32 v17, v3
	s_cbranch_execz .LBB94_33
; %bb.32:
	v_dual_mov_b32 v9, v48 :: v_dual_mov_b32 v10, v49
	v_dual_mov_b32 v15, v54 :: v_dual_mov_b32 v16, v55
	v_mov_b32_e32 v10, v50
	v_dual_mov_b32 v11, v50 :: v_dual_mov_b32 v12, v51
	v_dual_mov_b32 v13, v52 :: v_dual_mov_b32 v14, v53
	;; [unrolled: 1-line block ×3, first 2 shown]
	v_mov_b32_e32 v11, v49
	v_dual_mov_b32 v59, v43 :: v_dual_mov_b32 v58, v42
	v_dual_mov_b32 v57, v41 :: v_dual_mov_b32 v56, v40
	;; [unrolled: 1-line block ×14, first 2 shown]
	v_mov_b32_e32 v23, v69
	v_dual_mov_b32 v23, v53 :: v_dual_mov_b32 v26, v72
	v_dual_mov_b32 v19, v65 :: v_dual_mov_b32 v22, v68
	;; [unrolled: 1-line block ×12, first 2 shown]
	v_mov_b32_e32 v42, v41
	v_mov_b32_e32 v50, v49
.LBB94_33:
	s_or_b32 exec_lo, exec_lo, s2
	v_mov_b32_e32 v17, v4
	s_mov_b32 s2, exec_lo
	v_cmpx_lt_f32_e32 v34, v4
	s_cbranch_execz .LBB94_35
; %bb.34:
	v_mov_b32_e32 v11, v51
	v_dual_mov_b32 v3, v4 :: v_dual_mov_b32 v4, v34
	v_dual_mov_b32 v58, v43 :: v_dual_mov_b32 v71, v16
	v_mov_b32_e32 v64, v9
	v_dual_mov_b32 v70, v15 :: v_dual_mov_b32 v69, v14
	v_dual_mov_b32 v79, v63 :: v_dual_mov_b32 v76, v60
	;; [unrolled: 1-line block ×5, first 2 shown]
	v_mov_b32_e32 v67, v50
	v_dual_mov_b32 v78, v62 :: v_dual_mov_b32 v77, v61
	v_dual_mov_b32 v74, v58 :: v_dual_mov_b32 v73, v57
	;; [unrolled: 1-line block ×14, first 2 shown]
	v_mov_b32_e32 v33, v47
	v_mov_b32_e32 v17, v34
	;; [unrolled: 1-line block ×4, first 2 shown]
.LBB94_35:
	s_or_b32 exec_lo, exec_lo, s2
	v_mov_b32_e32 v12, v5
	s_mov_b32 s2, exec_lo
	v_cmpx_lt_f32_e32 v17, v5
	s_cbranch_execz .LBB94_37
; %bb.36:
	v_mov_b32_e32 v12, v52
	v_dual_mov_b32 v4, v5 :: v_dual_mov_b32 v59, v44
	v_mov_b32_e32 v5, v17
	v_dual_mov_b32 v25, v16 :: v_dual_mov_b32 v24, v15
	v_dual_mov_b32 v26, v56 :: v_dual_mov_b32 v27, v57
	;; [unrolled: 1-line block ×19, first 2 shown]
	v_mov_b32_e32 v12, v17
	v_mov_b32_e32 v44, v43
	v_dual_mov_b32 v52, v51 :: v_dual_mov_b32 v77, v61
	v_mov_b32_e32 v76, v60
.LBB94_37:
	s_or_b32 exec_lo, exec_lo, s2
	v_mov_b32_e32 v9, v6
	s_mov_b32 s2, exec_lo
	v_cmpx_lt_f32_e32 v12, v6
	s_cbranch_execz .LBB94_39
; %bb.38:
	v_dual_mov_b32 v68, v53 :: v_dual_mov_b32 v69, v52
	v_dual_mov_b32 v70, v54 :: v_dual_mov_b32 v77, v44
	;; [unrolled: 1-line block ×13, first 2 shown]
	v_mov_b32_e32 v9, v12
.LBB94_39:
	s_or_b32 exec_lo, exec_lo, s2
	s_delay_alu instid0(VALU_DEP_1)
	v_cmp_lt_f32_e32 vcc_lo, v9, v7
	v_mov_b32_e32 v11, v3
	v_mov_b32_e32 v13, v5
	s_mov_b32 s2, exec_lo
	v_dual_mov_b32 v10, v2 :: v_dual_cndmask_b32 v17, v32, v31
	v_dual_cndmask_b32 v31, v31, v32 :: v_dual_cndmask_b32 v66, v24, v23
	v_dual_cndmask_b32 v23, v23, v24 :: v_dual_cndmask_b32 v14, v6, v7
	v_dual_cndmask_b32 v15, v7, v9 :: v_dual_mov_b32 v12, v4
	v_dual_mov_b32 v9, v1 :: v_dual_mov_b32 v16, v8
	v_cmpx_lt_f32_e32 v1, v2
	s_cbranch_execz .LBB94_41
; %bb.40:
	s_delay_alu instid0(VALU_DEP_2) | instskip(NEXT) | instid1(VALU_DEP_3)
	v_dual_mov_b32 v2, v10 :: v_dual_mov_b32 v3, v9
	v_dual_mov_b32 v8, v15 :: v_dual_mov_b32 v9, v16
	;; [unrolled: 1-line block ×4, first 2 shown]
	s_delay_alu instid0(VALU_DEP_3) | instskip(NEXT) | instid1(VALU_DEP_4)
	v_mov_b32_e32 v16, v9
	v_dual_mov_b32 v24, v26 :: v_dual_mov_b32 v15, v8
	s_delay_alu instid0(VALU_DEP_4)
	v_dual_mov_b32 v32, v18 :: v_dual_mov_b32 v11, v4
	v_swap_b32 v26, v27
	v_swap_b32 v18, v19
	v_dual_mov_b32 v14, v7 :: v_dual_mov_b32 v13, v6
	v_mov_b32_e32 v12, v5
	v_dual_mov_b32 v10, v3 :: v_dual_mov_b32 v9, v2
	v_mov_b32_e32 v2, v1
.LBB94_41:
	s_or_b32 exec_lo, exec_lo, s2
	v_mov_b32_e32 v24, v66
	v_mov_b32_e32 v32, v17
	;; [unrolled: 1-line block ×4, first 2 shown]
	s_delay_alu instid0(VALU_DEP_4)
	v_dual_mov_b32 v41, v33 :: v_dual_mov_b32 v48, v24
	v_dual_mov_b32 v34, v26 :: v_dual_mov_b32 v65, v33
	;; [unrolled: 1-line block ×15, first 2 shown]
	v_mov_b32_e32 v50, v18
	s_mov_b32 s2, exec_lo
	v_cmpx_lt_f32_e32 v2, v11
	s_cbranch_execz .LBB94_43
; %bb.42:
	v_dual_mov_b32 v57, v25 :: v_dual_mov_b32 v56, v24
	v_dual_mov_b32 v53, v21 :: v_dual_mov_b32 v52, v20
	;; [unrolled: 1-line block ×7, first 2 shown]
	s_delay_alu instid0(VALU_DEP_4)
	v_dual_mov_b32 v42, v50 :: v_dual_mov_b32 v43, v51
	v_dual_mov_b32 v63, v31 :: v_dual_mov_b32 v62, v30
	;; [unrolled: 1-line block ×18, first 2 shown]
	v_mov_b32_e32 v1, v2
.LBB94_43:
	s_or_b32 exec_lo, exec_lo, s2
	v_mov_b32_e32 v2, v12
	s_mov_b32 s2, exec_lo
	s_delay_alu instid0(VALU_DEP_2)
	v_cmpx_lt_f32_e32 v1, v12
	s_cbranch_execz .LBB94_45
; %bb.44:
	v_dual_mov_b32 v52, v21 :: v_dual_mov_b32 v11, v12
	v_mov_b32_e32 v60, v29
	v_dual_mov_b32 v42, v50 :: v_dual_mov_b32 v45, v53
	v_dual_mov_b32 v47, v55 :: v_dual_mov_b32 v34, v58
	s_delay_alu instid0(VALU_DEP_4)
	v_dual_mov_b32 v37, v61 :: v_dual_mov_b32 v44, v52
	v_dual_mov_b32 v49, v57 :: v_dual_mov_b32 v46, v54
	v_mov_b32_e32 v45, v20
	v_dual_mov_b32 v48, v56 :: v_dual_mov_b32 v47, v23
	v_dual_mov_b32 v36, v60 :: v_dual_mov_b32 v39, v63
	;; [unrolled: 1-line block ×9, first 2 shown]
	v_mov_b32_e32 v41, v33
	v_dual_mov_b32 v2, v1 :: v_dual_mov_b32 v21, v20
.LBB94_45:
	s_or_b32 exec_lo, exec_lo, s2
	v_mov_b32_e32 v1, v13
	s_mov_b32 s2, exec_lo
	s_delay_alu instid0(VALU_DEP_2)
	v_cmpx_lt_f32_e32 v2, v13
	s_cbranch_execz .LBB94_47
; %bb.46:
	v_dual_mov_b32 v53, v22 :: v_dual_mov_b32 v54, v21
	v_dual_mov_b32 v55, v23 :: v_dual_mov_b32 v56, v66
	;; [unrolled: 1-line block ×4, first 2 shown]
	v_mov_b32_e32 v57, v25
	v_dual_mov_b32 v65, v33 :: v_dual_mov_b32 v42, v50
	v_mov_b32_e32 v34, v58
	v_dual_mov_b32 v12, v13 :: v_dual_mov_b32 v13, v2
	v_dual_mov_b32 v35, v59 :: v_dual_mov_b32 v36, v60
	;; [unrolled: 1-line block ×7, first 2 shown]
	v_mov_b32_e32 v47, v55
	v_mov_b32_e32 v49, v57
	;; [unrolled: 1-line block ×3, first 2 shown]
.LBB94_47:
	s_or_b32 exec_lo, exec_lo, s2
	s_delay_alu instid0(VALU_DEP_1)
	v_cmp_lt_f32_e32 vcc_lo, v1, v14
	v_dual_mov_b32 v20, v10 :: v_dual_mov_b32 v25, v15
	v_mov_b32_e32 v22, v12
	v_dual_mov_b32 v26, v16 :: v_dual_cndmask_b32 v27, v39, v38
	v_cndmask_b32_e32 v38, v38, v39, vcc_lo
	v_dual_cndmask_b32 v28, v47, v46 :: v_dual_mov_b32 v19, v9
	v_dual_cndmask_b32 v46, v46, v47 :: v_dual_cndmask_b32 v23, v13, v14
	v_dual_cndmask_b32 v24, v14, v1 :: v_dual_mov_b32 v21, v11
	s_mov_b32 s2, exec_lo
	v_cmpx_lt_f32_e32 v9, v10
	s_cbranch_execz .LBB94_49
; %bb.48:
	v_dual_mov_b32 v7, v25 :: v_dual_mov_b32 v8, v26
	v_dual_mov_b32 v1, v20 :: v_dual_mov_b32 v2, v19
	v_dual_mov_b32 v3, v21 :: v_dual_mov_b32 v4, v22
	v_dual_mov_b32 v5, v23 :: v_dual_mov_b32 v6, v24
	s_delay_alu instid0(VALU_DEP_4)
	v_dual_mov_b32 v11, v34 :: v_dual_mov_b32 v26, v8
	v_dual_mov_b32 v12, v42 :: v_dual_mov_b32 v25, v7
	v_swap_b32 v34, v35
	v_swap_b32 v42, v43
	v_dual_mov_b32 v24, v6 :: v_dual_mov_b32 v23, v5
	v_dual_mov_b32 v22, v4 :: v_dual_mov_b32 v21, v3
	;; [unrolled: 1-line block ×3, first 2 shown]
	v_mov_b32_e32 v10, v9
.LBB94_49:
	s_or_b32 exec_lo, exec_lo, s2
	v_mov_b32_e32 v47, v28
	v_mov_b32_e32 v39, v27
	v_dual_mov_b32 v1, v42 :: v_dual_mov_b32 v4, v45
	v_dual_mov_b32 v11, v34 :: v_dual_mov_b32 v14, v37
	;; [unrolled: 1-line block ×3, first 2 shown]
	s_delay_alu instid0(VALU_DEP_4)
	v_dual_mov_b32 v16, v39 :: v_dual_mov_b32 v15, v38
	v_dual_mov_b32 v18, v41 :: v_dual_mov_b32 v17, v40
	;; [unrolled: 1-line block ×5, first 2 shown]
	v_mov_b32_e32 v9, v21
	s_mov_b32 s2, exec_lo
	v_cmpx_lt_f32_e32 v10, v21
	s_cbranch_execz .LBB94_51
; %bb.50:
	v_dual_mov_b32 v1, v42 :: v_dual_mov_b32 v2, v43
	v_dual_mov_b32 v5, v46 :: v_dual_mov_b32 v6, v47
	v_dual_mov_b32 v6, v28 :: v_dual_mov_b32 v11, v34
	v_dual_mov_b32 v3, v44 :: v_dual_mov_b32 v4, v45
	v_dual_mov_b32 v7, v48 :: v_dual_mov_b32 v8, v49
	v_dual_mov_b32 v12, v35 :: v_dual_mov_b32 v13, v36
	v_dual_mov_b32 v14, v37 :: v_dual_mov_b32 v15, v38
	v_dual_mov_b32 v16, v39 :: v_dual_mov_b32 v17, v40
	v_dual_mov_b32 v18, v41 :: v_dual_mov_b32 v13, v35
	v_dual_mov_b32 v20, v21 :: v_dual_mov_b32 v21, v10
	v_dual_mov_b32 v2, v44 :: v_dual_mov_b32 v3, v43
	v_dual_mov_b32 v4, v45 :: v_dual_mov_b32 v5, v46
	v_dual_mov_b32 v7, v48 :: v_dual_mov_b32 v8, v49
	v_dual_mov_b32 v12, v36 :: v_dual_mov_b32 v15, v38
	v_dual_mov_b32 v14, v37 :: v_dual_mov_b32 v17, v40
	v_dual_mov_b32 v16, v27 :: v_dual_mov_b32 v9, v10
	v_mov_b32_e32 v18, v41
	v_mov_b32_e32 v36, v35
	;; [unrolled: 1-line block ×3, first 2 shown]
.LBB94_51:
	s_or_b32 exec_lo, exec_lo, s2
	v_mov_b32_e32 v29, v22
	s_mov_b32 s2, exec_lo
	v_cmpx_lt_f32_e32 v9, v22
; %bb.52:
	v_dual_mov_b32 v21, v22 :: v_dual_mov_b32 v22, v9
	v_dual_mov_b32 v3, v45 :: v_dual_mov_b32 v4, v44
	;; [unrolled: 1-line block ×7, first 2 shown]
	v_mov_b32_e32 v29, v9
; %bb.53:
	s_or_b32 exec_lo, exec_lo, s2
	s_delay_alu instid0(VALU_DEP_1)
	v_cmp_lt_f32_e32 vcc_lo, v29, v23
	v_dual_mov_b32 v28, v20 :: v_dual_mov_b32 v33, v25
	v_mov_b32_e32 v32, v24
	v_dual_mov_b32 v34, v26 :: v_dual_cndmask_b32 v9, v15, v14
	v_cndmask_b32_e32 v14, v14, v15, vcc_lo
	v_dual_cndmask_b32 v10, v5, v4 :: v_dual_cndmask_b32 v31, v23, v29
	v_dual_cndmask_b32 v4, v4, v5 :: v_dual_mov_b32 v27, v19
	v_dual_cndmask_b32 v30, v22, v23 :: v_dual_mov_b32 v29, v21
	s_mov_b32 s2, exec_lo
	v_cmpx_lt_f32_e32 v19, v20
	s_cbranch_execz .LBB94_55
; %bb.54:
	v_dual_mov_b32 v20, v28 :: v_dual_mov_b32 v21, v27
	v_dual_mov_b32 v26, v33 :: v_dual_mov_b32 v27, v34
	;; [unrolled: 1-line block ×4, first 2 shown]
	s_delay_alu instid0(VALU_DEP_3) | instskip(SKIP_2) | instid1(VALU_DEP_4)
	v_dual_mov_b32 v15, v1 :: v_dual_mov_b32 v34, v27
	v_mov_b32_e32 v5, v11
	v_swap_b32 v11, v12
	v_mov_b32_e32 v32, v25
	v_swap_b32 v1, v2
	v_dual_mov_b32 v33, v26 :: v_dual_mov_b32 v30, v23
	v_dual_mov_b32 v31, v24 :: v_dual_mov_b32 v28, v21
	v_mov_b32_e32 v29, v22
	v_dual_mov_b32 v27, v20 :: v_dual_mov_b32 v20, v19
.LBB94_55:
	s_or_b32 exec_lo, exec_lo, s2
	v_mov_b32_e32 v5, v10
	v_mov_b32_e32 v15, v9
	;; [unrolled: 1-line block ×3, first 2 shown]
	s_mov_b32 s2, exec_lo
	v_cmpx_lt_f32_e32 v20, v29
	s_cbranch_execz .LBB94_57
; %bb.56:
	v_dual_mov_b32 v50, v18 :: v_dual_mov_b32 v49, v17
	v_dual_mov_b32 v42, v8 :: v_dual_mov_b32 v41, v7
	;; [unrolled: 1-line block ×14, first 2 shown]
	v_mov_b32_e32 v50, v18
	v_dual_mov_b32 v28, v29 :: v_dual_mov_b32 v29, v20
	v_dual_mov_b32 v42, v8 :: v_dual_mov_b32 v11, v43
	;; [unrolled: 1-line block ×10, first 2 shown]
.LBB94_57:
	s_or_b32 exec_lo, exec_lo, s2
	s_delay_alu instid0(VALU_DEP_1) | instskip(NEXT) | instid1(VALU_DEP_3)
	v_cmp_lt_f32_e32 vcc_lo, v19, v30
	v_dual_mov_b32 v20, v5 :: v_dual_mov_b32 v21, v6
	s_delay_alu instid0(VALU_DEP_3)
	v_dual_mov_b32 v22, v7 :: v_dual_mov_b32 v23, v8
	v_dual_cndmask_b32 v9, v14, v13 :: v_dual_cndmask_b32 v10, v4, v3
	v_dual_cndmask_b32 v35, v13, v14 :: v_dual_cndmask_b32 v36, v3, v4
	;; [unrolled: 1-line block ×3, first 2 shown]
	v_dual_mov_b32 v4, v15 :: v_dual_mov_b32 v13, v16
	v_dual_mov_b32 v14, v17 :: v_dual_mov_b32 v19, v18
	;; [unrolled: 1-line block ×4, first 2 shown]
	v_mov_b32_e32 v29, v34
	s_mov_b32 s2, exec_lo
	v_cmpx_lt_f32_e32 v27, v28
	s_cbranch_execz .LBB94_59
; %bb.58:
	v_dual_mov_b32 v24, v28 :: v_dual_mov_b32 v19, v18
	v_dual_mov_b32 v4, v11 :: v_dual_mov_b32 v13, v16
	;; [unrolled: 1-line block ×3, first 2 shown]
	v_swap_b32 v11, v12
	v_swap_b32 v1, v2
	v_dual_mov_b32 v28, v27 :: v_dual_mov_b32 v21, v6
	v_dual_mov_b32 v4, v15 :: v_dual_mov_b32 v23, v8
	;; [unrolled: 1-line block ×5, first 2 shown]
	v_mov_b32_e32 v24, v31
	v_mov_b32_e32 v26, v33
.LBB94_59:
	s_or_b32 exec_lo, exec_lo, s2
	s_clause 0x1
	s_load_b32 s8, s[0:1], 0x28
	s_load_b128 s[4:7], s[0:1], 0x10
	s_waitcnt lgkmcnt(0)
	s_cmp_lt_i32 s8, 1
	s_cbranch_scc1 .LBB94_65
; %bb.60:
	v_cmp_lt_f32_e32 vcc_lo, v28, v30
	v_mov_b32_e32 v7, 0
	s_mov_b32 s9, 0x76543210
	s_mov_b32 s10, s8
	v_mov_b32_e32 v6, 0
	v_dual_cndmask_b32 v8, v35, v12 :: v_dual_cndmask_b32 v17, v37, v30
	v_cndmask_b32_e32 v5, v36, v2, vcc_lo
	v_cndmask_b32_e32 v15, v2, v36, vcc_lo
	;; [unrolled: 1-line block ×4, first 2 shown]
	v_cmp_lt_f32_e64 s2, v27, v17
	s_delay_alu instid0(VALU_DEP_1)
	v_cndmask_b32_e64 v12, v15, v1, s2
	v_cndmask_b32_e64 v15, v1, v15, s2
	v_cndmask_b32_e64 v16, v17, v27, s2
	v_cndmask_b32_e64 v17, v27, v17, s2
	v_cndmask_b32_e64 v18, v28, v11, s2
	v_cndmask_b32_e64 v11, v11, v28, s2
	v_mov_b32_e32 v27, v0
	v_mov_b32_e32 v1, 0
.LBB94_61:                              ; =>This Inner Loop Header: Depth=1
	v_cmp_eq_u32_e32 vcc_lo, 1, v7
	v_cmp_eq_u32_e64 s2, 2, v7
	v_cmp_gt_u32_e64 s3, 8, v7
	v_dual_cndmask_b32 v28, v17, v16 :: v_dual_cndmask_b32 v31, v11, v18
	v_cndmask_b32_e32 v30, v15, v12, vcc_lo
	v_cmp_eq_u32_e32 vcc_lo, 3, v7
	s_delay_alu instid0(VALU_DEP_3) | instskip(NEXT) | instid1(VALU_DEP_4)
	v_cndmask_b32_e64 v28, v28, v2, s2
	v_cndmask_b32_e64 v31, v31, v8, s2
	s_delay_alu instid0(VALU_DEP_4) | instskip(SKIP_1) | instid1(VALU_DEP_3)
	v_cndmask_b32_e64 v30, v30, v5, s2
	v_cmp_eq_u32_e64 s2, 4, v7
	v_dual_cndmask_b32 v28, v28, v3 :: v_dual_cndmask_b32 v31, v31, v9
	s_delay_alu instid0(VALU_DEP_1) | instskip(NEXT) | instid1(VALU_DEP_2)
	v_cndmask_b32_e64 v28, v28, v24, s2
	v_cndmask_b32_e64 v31, v31, v4, s2
	v_cndmask_b32_e32 v30, v30, v10, vcc_lo
	v_cmp_eq_u32_e32 vcc_lo, 5, v7
	s_delay_alu instid0(VALU_DEP_3) | instskip(SKIP_1) | instid1(VALU_DEP_4)
	v_cndmask_b32_e32 v31, v31, v13, vcc_lo
	v_cndmask_b32_e32 v28, v28, v25, vcc_lo
	v_cndmask_b32_e64 v30, v30, v20, s2
	v_cmp_eq_u32_e64 s2, 6, v7
	s_delay_alu instid0(VALU_DEP_2) | instskip(NEXT) | instid1(VALU_DEP_2)
	v_cndmask_b32_e32 v30, v30, v21, vcc_lo
	v_cndmask_b32_e64 v28, v28, v26, s2
	v_cmp_eq_u32_e32 vcc_lo, 7, v7
	v_cndmask_b32_e64 v31, v31, v14, s2
	s_delay_alu instid0(VALU_DEP_4) | instskip(NEXT) | instid1(VALU_DEP_4)
	v_cndmask_b32_e64 v30, v30, v22, s2
	v_cndmask_b32_e32 v28, v28, v29, vcc_lo
	s_delay_alu instid0(VALU_DEP_2) | instskip(NEXT) | instid1(VALU_DEP_2)
	v_cndmask_b32_e32 v30, v30, v23, vcc_lo
	v_cndmask_b32_e64 v28, 0xff800000, v28, s3
	;;#ASMSTART
	v_max_f32 v32, v28, v28 quad_perm:[1,0,3,2] row_mask:0xf bank_mask:0xf bound_ctrl:1
	;;#ASMEND
	;;#ASMSTART
	v_max_f32 v33, v32, v32 quad_perm:[2,3,0,1] row_mask:0xf bank_mask:0xf bound_ctrl:1
	;;#ASMEND
	;;#ASMSTART
	v_max_f32 v32, v33, v33 row_half_mirror row_mask:0xf bank_mask:0xf bound_ctrl:1
	;;#ASMEND
	;;#ASMSTART
	v_max_f32 v33, v32, v32 row_mirror row_mask:0xf bank_mask:0xf bound_ctrl:1
	;;#ASMEND
	v_permlanex16_b32 v32, v33, s9, 0xfedcba98 op_sel:[1,1]
	s_delay_alu instid0(VALU_DEP_1) | instskip(NEXT) | instid1(VALU_DEP_1)
	v_dual_max_f32 v33, v33, v33 :: v_dual_max_f32 v32, v32, v32
	v_max_f32_e32 v32, v33, v32
	s_delay_alu instid0(VALU_DEP_1) | instskip(SKIP_1) | instid1(VALU_DEP_2)
	v_cmp_eq_f32_e64 s2, v28, v32
	v_cndmask_b32_e64 v28, 0, v30, s3
	s_ctz_i32_b32 s11, s2
	s_cmp_lg_u32 s2, 0
	s_cselect_b32 s2, s11, 0
	s_add_i32 s10, s10, -1
	v_readlane_b32 s11, v28, s2
	v_cndmask_b32_e32 v28, v31, v19, vcc_lo
	s_delay_alu instid0(VALU_DEP_2)
	v_cmp_eq_u32_e32 vcc_lo, s11, v30
	s_and_b32 s2, s11, 31
	s_and_b32 vcc_lo, s3, vcc_lo
	s_cmp_eq_u32 s10, 0
	v_cndmask_b32_e32 v28, 0, v28, vcc_lo
	v_add_co_ci_u32_e32 v7, vcc_lo, 0, v7, vcc_lo
	s_delay_alu instid0(VALU_DEP_2) | instskip(SKIP_2) | instid1(VALU_DEP_2)
	v_readlane_b32 s3, v28, s2
	v_cmp_eq_u32_e64 s2, 0, v27
	v_add_nc_u32_e32 v27, -1, v27
	v_cndmask_b32_e64 v6, v6, s3, s2
	v_cndmask_b32_e64 v1, v1, s11, s2
	s_cbranch_scc0 .LBB94_61
; %bb.62:
	s_mov_b32 s2, exec_lo
	v_cmpx_gt_i32_e64 s8, v0
	s_cbranch_execz .LBB94_64
.LBB94_63:
	s_clause 0x1
	s_load_b64 s[2:3], s[0:1], 0x20
	s_load_b32 s8, s[0:1], 0x30
	s_ashr_i32 s0, s15, 31
	s_waitcnt lgkmcnt(0)
	s_mul_i32 s1, s15, s3
	s_mul_hi_u32 s3, s15, s2
	s_mul_i32 s0, s0, s2
	s_add_i32 s1, s3, s1
	v_mul_f32_e32 v0, s8, v6
	s_add_i32 s1, s1, s0
	s_mul_i32 s0, s15, s2
	s_delay_alu instid0(SALU_CYCLE_1) | instskip(NEXT) | instid1(SALU_CYCLE_1)
	s_lshl_b64 s[0:1], s[0:1], 2
	s_add_u32 s2, s4, s0
	s_addc_u32 s3, s5, s1
	s_add_u32 s0, s6, s0
	s_addc_u32 s1, s7, s1
	s_clause 0x1
	global_store_b32 v96, v0, s[2:3]
	global_store_b32 v96, v1, s[0:1]
.LBB94_64:
	s_nop 0
	s_sendmsg sendmsg(MSG_DEALLOC_VGPRS)
	s_endpgm
.LBB94_65:
	v_dual_mov_b32 v1, 0 :: v_dual_mov_b32 v6, 0
	s_mov_b32 s2, exec_lo
	v_cmpx_gt_i32_e64 s8, v0
	s_cbranch_execnz .LBB94_63
	s_branch .LBB94_64
	.section	.rodata,"a",@progbits
	.p2align	6, 0x0
	.amdhsa_kernel _ZN5aiter24topk_softplus_kernel_optIf12hip_bfloat16Li256ELb0ELi0EEEvPKT_PKT0_PfPimiif
		.amdhsa_group_segment_fixed_size 0
		.amdhsa_private_segment_fixed_size 0
		.amdhsa_kernarg_size 52
		.amdhsa_user_sgpr_count 15
		.amdhsa_user_sgpr_dispatch_ptr 0
		.amdhsa_user_sgpr_queue_ptr 0
		.amdhsa_user_sgpr_kernarg_segment_ptr 1
		.amdhsa_user_sgpr_dispatch_id 0
		.amdhsa_user_sgpr_private_segment_size 0
		.amdhsa_wavefront_size32 1
		.amdhsa_uses_dynamic_stack 0
		.amdhsa_enable_private_segment 0
		.amdhsa_system_sgpr_workgroup_id_x 1
		.amdhsa_system_sgpr_workgroup_id_y 0
		.amdhsa_system_sgpr_workgroup_id_z 0
		.amdhsa_system_sgpr_workgroup_info 0
		.amdhsa_system_vgpr_workitem_id 0
		.amdhsa_next_free_vgpr 97
		.amdhsa_next_free_sgpr 16
		.amdhsa_reserve_vcc 1
		.amdhsa_float_round_mode_32 0
		.amdhsa_float_round_mode_16_64 0
		.amdhsa_float_denorm_mode_32 3
		.amdhsa_float_denorm_mode_16_64 3
		.amdhsa_dx10_clamp 1
		.amdhsa_ieee_mode 1
		.amdhsa_fp16_overflow 0
		.amdhsa_workgroup_processor_mode 1
		.amdhsa_memory_ordered 1
		.amdhsa_forward_progress 0
		.amdhsa_shared_vgpr_count 0
		.amdhsa_exception_fp_ieee_invalid_op 0
		.amdhsa_exception_fp_denorm_src 0
		.amdhsa_exception_fp_ieee_div_zero 0
		.amdhsa_exception_fp_ieee_overflow 0
		.amdhsa_exception_fp_ieee_underflow 0
		.amdhsa_exception_fp_ieee_inexact 0
		.amdhsa_exception_int_div_zero 0
	.end_amdhsa_kernel
	.section	.text._ZN5aiter24topk_softplus_kernel_optIf12hip_bfloat16Li256ELb0ELi0EEEvPKT_PKT0_PfPimiif,"axG",@progbits,_ZN5aiter24topk_softplus_kernel_optIf12hip_bfloat16Li256ELb0ELi0EEEvPKT_PKT0_PfPimiif,comdat
.Lfunc_end94:
	.size	_ZN5aiter24topk_softplus_kernel_optIf12hip_bfloat16Li256ELb0ELi0EEEvPKT_PKT0_PfPimiif, .Lfunc_end94-_ZN5aiter24topk_softplus_kernel_optIf12hip_bfloat16Li256ELb0ELi0EEEvPKT_PKT0_PfPimiif
                                        ; -- End function
	.section	.AMDGPU.csdata,"",@progbits
; Kernel info:
; codeLenInByte = 8456
; NumSgprs: 18
; NumVgprs: 97
; ScratchSize: 0
; MemoryBound: 0
; FloatMode: 240
; IeeeMode: 1
; LDSByteSize: 0 bytes/workgroup (compile time only)
; SGPRBlocks: 2
; VGPRBlocks: 12
; NumSGPRsForWavesPerEU: 18
; NumVGPRsForWavesPerEU: 97
; Occupancy: 12
; WaveLimiterHint : 0
; COMPUTE_PGM_RSRC2:SCRATCH_EN: 0
; COMPUTE_PGM_RSRC2:USER_SGPR: 15
; COMPUTE_PGM_RSRC2:TRAP_HANDLER: 0
; COMPUTE_PGM_RSRC2:TGID_X_EN: 1
; COMPUTE_PGM_RSRC2:TGID_Y_EN: 0
; COMPUTE_PGM_RSRC2:TGID_Z_EN: 0
; COMPUTE_PGM_RSRC2:TIDIG_COMP_CNT: 0
	.section	.text._ZN5aiter24topk_softplus_kernel_optIf12hip_bfloat16Li384ELb1ELi0EEEvPKT_PKT0_PfPimiif,"axG",@progbits,_ZN5aiter24topk_softplus_kernel_optIf12hip_bfloat16Li384ELb1ELi0EEEvPKT_PKT0_PfPimiif,comdat
	.protected	_ZN5aiter24topk_softplus_kernel_optIf12hip_bfloat16Li384ELb1ELi0EEEvPKT_PKT0_PfPimiif ; -- Begin function _ZN5aiter24topk_softplus_kernel_optIf12hip_bfloat16Li384ELb1ELi0EEEvPKT_PKT0_PfPimiif
	.globl	_ZN5aiter24topk_softplus_kernel_optIf12hip_bfloat16Li384ELb1ELi0EEEvPKT_PKT0_PfPimiif
	.p2align	8
	.type	_ZN5aiter24topk_softplus_kernel_optIf12hip_bfloat16Li384ELb1ELi0EEEvPKT_PKT0_PfPimiif,@function
_ZN5aiter24topk_softplus_kernel_optIf12hip_bfloat16Li384ELb1ELi0EEEvPKT_PKT0_PfPimiif: ; @_ZN5aiter24topk_softplus_kernel_optIf12hip_bfloat16Li384ELb1ELi0EEEvPKT_PKT0_PfPimiif
; %bb.0:
	s_load_b128 s[4:7], s[0:1], 0x0
	s_mul_i32 s2, s15, 0x180
	v_lshlrev_b32_e32 v183, 2, v0
	s_ashr_i32 s3, s2, 31
	s_delay_alu instid0(SALU_CYCLE_1)
	s_lshl_b64 s[2:3], s[2:3], 2
	s_waitcnt lgkmcnt(0)
	s_add_u32 s4, s4, s2
	s_addc_u32 s5, s5, s3
	s_cmp_lg_u64 s[6:7], 0
	global_load_b32 v1, v183, s[4:5]
	s_cselect_b32 s3, -1, 0
	s_waitcnt vmcnt(0)
	v_mul_f32_e32 v2, 0x3fb8aa3b, v1
	s_delay_alu instid0(VALU_DEP_1) | instskip(SKIP_2) | instid1(VALU_DEP_2)
	v_cmp_gt_f32_e32 vcc_lo, 0xc2fc0000, v2
	v_cndmask_b32_e64 v2, 0, 0x42800000, vcc_lo
	v_cndmask_b32_e64 v3, 1.0, 0x1f800000, vcc_lo
	v_fmac_f32_e32 v2, 0x3fb8aa3b, v1
	s_delay_alu instid0(VALU_DEP_1) | instskip(SKIP_2) | instid1(VALU_DEP_1)
	v_exp_f32_e32 v2, v2
	s_waitcnt_depctr 0xfff
	v_fma_f32 v2, v2, v3, 1.0
	v_cmp_gt_f32_e32 vcc_lo, 0x800000, v2
	v_cndmask_b32_e64 v3, 1.0, 0x4f800000, vcc_lo
	s_delay_alu instid0(VALU_DEP_1) | instskip(SKIP_2) | instid1(VALU_DEP_3)
	v_mul_f32_e32 v2, v2, v3
	v_cndmask_b32_e64 v3, 0, 0x42000000, vcc_lo
	v_cmp_lt_f32_e32 vcc_lo, 0x41a00000, v1
	v_log_f32_e32 v2, v2
	s_waitcnt_depctr 0xfff
	v_sub_f32_e32 v2, v2, v3
	s_delay_alu instid0(VALU_DEP_1) | instskip(NEXT) | instid1(VALU_DEP_1)
	v_mul_f32_e32 v2, 0x3f317218, v2
	v_cndmask_b32_e32 v1, v2, v1, vcc_lo
	s_delay_alu instid0(VALU_DEP_1) | instskip(SKIP_1) | instid1(VALU_DEP_2)
	v_mul_f32_e32 v2, 0x4f800000, v1
	v_cmp_gt_f32_e32 vcc_lo, 0xf800000, v1
	v_cndmask_b32_e32 v1, v1, v2, vcc_lo
	s_delay_alu instid0(VALU_DEP_1) | instskip(SKIP_3) | instid1(VALU_DEP_2)
	v_sqrt_f32_e32 v2, v1
	s_waitcnt_depctr 0xfff
	v_add_nc_u32_e32 v3, -1, v2
	v_add_nc_u32_e32 v4, 1, v2
	v_fma_f32 v5, -v3, v2, v1
	s_delay_alu instid0(VALU_DEP_2) | instskip(NEXT) | instid1(VALU_DEP_2)
	v_fma_f32 v6, -v4, v2, v1
	v_cmp_ge_f32_e64 s2, 0, v5
	s_delay_alu instid0(VALU_DEP_1) | instskip(NEXT) | instid1(VALU_DEP_3)
	v_cndmask_b32_e64 v2, v2, v3, s2
	v_cmp_lt_f32_e64 s2, 0, v6
	s_delay_alu instid0(VALU_DEP_1) | instskip(SKIP_1) | instid1(VALU_DEP_1)
	v_cndmask_b32_e64 v2, v2, v4, s2
	v_add_co_u32 v12, s2, s4, v183
	v_add_co_ci_u32_e64 v13, null, s5, 0, s2
	s_delay_alu instid0(VALU_DEP_3) | instskip(NEXT) | instid1(VALU_DEP_1)
	v_mul_f32_e32 v3, 0x37800000, v2
	v_cndmask_b32_e32 v2, v2, v3, vcc_lo
	v_cmp_class_f32_e64 vcc_lo, v1, 0x260
	s_delay_alu instid0(VALU_DEP_2) | instskip(SKIP_2) | instid1(VALU_DEP_2)
	v_cndmask_b32_e32 v49, v2, v1, vcc_lo
	v_lshlrev_b32_e32 v1, 1, v0
	s_and_b32 vcc_lo, exec_lo, s3
	v_mov_b32_e32 v37, v49
	s_cbranch_vccz .LBB95_2
; %bb.1:
	global_load_u16 v2, v1, s[6:7]
	s_waitcnt vmcnt(0)
	v_lshlrev_b32_e32 v2, 16, v2
	s_delay_alu instid0(VALU_DEP_1)
	v_add_f32_e32 v37, v49, v2
.LBB95_2:
	global_load_b32 v2, v[12:13], off offset:128
	v_cndmask_b32_e64 v14, 0, 1, s3
	s_waitcnt vmcnt(0)
	v_mul_f32_e32 v3, 0x3fb8aa3b, v2
	s_delay_alu instid0(VALU_DEP_1) | instskip(SKIP_2) | instid1(VALU_DEP_2)
	v_cmp_gt_f32_e32 vcc_lo, 0xc2fc0000, v3
	v_cndmask_b32_e64 v4, 0, 0x42800000, vcc_lo
	v_cndmask_b32_e64 v3, 1.0, 0x1f800000, vcc_lo
	v_fmac_f32_e32 v4, 0x3fb8aa3b, v2
	s_delay_alu instid0(VALU_DEP_1) | instskip(SKIP_2) | instid1(VALU_DEP_1)
	v_exp_f32_e32 v4, v4
	s_waitcnt_depctr 0xfff
	v_fma_f32 v3, v4, v3, 1.0
	v_cmp_gt_f32_e32 vcc_lo, 0x800000, v3
	v_cndmask_b32_e64 v4, 1.0, 0x4f800000, vcc_lo
	s_delay_alu instid0(VALU_DEP_1) | instskip(SKIP_2) | instid1(VALU_DEP_3)
	v_mul_f32_e32 v3, v3, v4
	v_cndmask_b32_e64 v4, 0, 0x42000000, vcc_lo
	v_cmp_lt_f32_e32 vcc_lo, 0x41a00000, v2
	v_log_f32_e32 v3, v3
	s_waitcnt_depctr 0xfff
	v_sub_f32_e32 v3, v3, v4
	s_delay_alu instid0(VALU_DEP_1) | instskip(NEXT) | instid1(VALU_DEP_1)
	v_mul_f32_e32 v3, 0x3f317218, v3
	v_cndmask_b32_e32 v2, v3, v2, vcc_lo
	s_delay_alu instid0(VALU_DEP_1) | instskip(SKIP_1) | instid1(VALU_DEP_2)
	v_mul_f32_e32 v3, 0x4f800000, v2
	v_cmp_gt_f32_e32 vcc_lo, 0xf800000, v2
	v_cndmask_b32_e32 v2, v2, v3, vcc_lo
	s_delay_alu instid0(VALU_DEP_1) | instskip(SKIP_3) | instid1(VALU_DEP_2)
	v_sqrt_f32_e32 v3, v2
	s_waitcnt_depctr 0xfff
	v_add_nc_u32_e32 v4, -1, v3
	v_add_nc_u32_e32 v5, 1, v3
	v_fma_f32 v6, -v4, v3, v2
	s_delay_alu instid0(VALU_DEP_2) | instskip(NEXT) | instid1(VALU_DEP_2)
	v_fma_f32 v7, -v5, v3, v2
	v_cmp_ge_f32_e64 s2, 0, v6
	s_delay_alu instid0(VALU_DEP_1) | instskip(NEXT) | instid1(VALU_DEP_3)
	v_cndmask_b32_e64 v3, v3, v4, s2
	v_cmp_lt_f32_e64 s2, 0, v7
	s_delay_alu instid0(VALU_DEP_1) | instskip(NEXT) | instid1(VALU_DEP_1)
	v_cndmask_b32_e64 v3, v3, v5, s2
	v_mul_f32_e32 v4, 0x37800000, v3
	s_delay_alu instid0(VALU_DEP_1) | instskip(SKIP_1) | instid1(VALU_DEP_2)
	v_cndmask_b32_e32 v3, v3, v4, vcc_lo
	v_cmp_class_f32_e64 vcc_lo, v2, 0x260
	v_cndmask_b32_e32 v2, v3, v2, vcc_lo
	s_and_not1_b32 vcc_lo, exec_lo, s3
	s_delay_alu instid0(VALU_DEP_1)
	v_mov_b32_e32 v38, v2
	s_cbranch_vccnz .LBB95_4
; %bb.3:
	global_load_u16 v3, v1, s[6:7] offset:64
	s_waitcnt vmcnt(0)
	v_lshlrev_b32_e32 v3, 16, v3
	s_delay_alu instid0(VALU_DEP_1)
	v_add_f32_e32 v38, v2, v3
.LBB95_4:
	global_load_b32 v3, v[12:13], off offset:256
	s_waitcnt vmcnt(0)
	v_mul_f32_e32 v4, 0x3fb8aa3b, v3
	s_delay_alu instid0(VALU_DEP_1) | instskip(SKIP_2) | instid1(VALU_DEP_2)
	v_cmp_gt_f32_e32 vcc_lo, 0xc2fc0000, v4
	v_cndmask_b32_e64 v5, 0, 0x42800000, vcc_lo
	v_cndmask_b32_e64 v4, 1.0, 0x1f800000, vcc_lo
	v_fmac_f32_e32 v5, 0x3fb8aa3b, v3
	s_delay_alu instid0(VALU_DEP_1) | instskip(SKIP_2) | instid1(VALU_DEP_1)
	v_exp_f32_e32 v5, v5
	s_waitcnt_depctr 0xfff
	v_fma_f32 v4, v5, v4, 1.0
	v_cmp_gt_f32_e32 vcc_lo, 0x800000, v4
	v_cndmask_b32_e64 v5, 1.0, 0x4f800000, vcc_lo
	s_delay_alu instid0(VALU_DEP_1) | instskip(SKIP_2) | instid1(VALU_DEP_3)
	v_mul_f32_e32 v4, v4, v5
	v_cndmask_b32_e64 v5, 0, 0x42000000, vcc_lo
	v_cmp_lt_f32_e32 vcc_lo, 0x41a00000, v3
	v_log_f32_e32 v4, v4
	s_waitcnt_depctr 0xfff
	v_sub_f32_e32 v4, v4, v5
	s_delay_alu instid0(VALU_DEP_1) | instskip(NEXT) | instid1(VALU_DEP_1)
	v_mul_f32_e32 v4, 0x3f317218, v4
	v_cndmask_b32_e32 v3, v4, v3, vcc_lo
	s_delay_alu instid0(VALU_DEP_1) | instskip(SKIP_1) | instid1(VALU_DEP_2)
	v_mul_f32_e32 v4, 0x4f800000, v3
	v_cmp_gt_f32_e32 vcc_lo, 0xf800000, v3
	v_cndmask_b32_e32 v3, v3, v4, vcc_lo
	s_delay_alu instid0(VALU_DEP_1) | instskip(SKIP_3) | instid1(VALU_DEP_2)
	v_sqrt_f32_e32 v4, v3
	s_waitcnt_depctr 0xfff
	v_add_nc_u32_e32 v5, -1, v4
	v_add_nc_u32_e32 v6, 1, v4
	v_fma_f32 v7, -v5, v4, v3
	s_delay_alu instid0(VALU_DEP_2) | instskip(NEXT) | instid1(VALU_DEP_2)
	v_fma_f32 v8, -v6, v4, v3
	v_cmp_ge_f32_e64 s2, 0, v7
	s_delay_alu instid0(VALU_DEP_1) | instskip(NEXT) | instid1(VALU_DEP_3)
	v_cndmask_b32_e64 v4, v4, v5, s2
	v_cmp_lt_f32_e64 s2, 0, v8
	s_delay_alu instid0(VALU_DEP_1) | instskip(NEXT) | instid1(VALU_DEP_1)
	v_cndmask_b32_e64 v4, v4, v6, s2
	v_mul_f32_e32 v5, 0x37800000, v4
	s_delay_alu instid0(VALU_DEP_1) | instskip(SKIP_1) | instid1(VALU_DEP_2)
	v_cndmask_b32_e32 v4, v4, v5, vcc_lo
	v_cmp_class_f32_e64 vcc_lo, v3, 0x260
	v_cndmask_b32_e32 v3, v4, v3, vcc_lo
	v_cmp_ne_u32_e32 vcc_lo, 1, v14
	s_delay_alu instid0(VALU_DEP_2)
	v_mov_b32_e32 v39, v3
	s_cbranch_vccnz .LBB95_6
; %bb.5:
	global_load_u16 v4, v1, s[6:7] offset:128
	s_waitcnt vmcnt(0)
	v_lshlrev_b32_e32 v4, 16, v4
	s_delay_alu instid0(VALU_DEP_1)
	v_add_f32_e32 v39, v3, v4
.LBB95_6:
	global_load_b32 v4, v[12:13], off offset:384
	s_waitcnt vmcnt(0)
	v_mul_f32_e32 v5, 0x3fb8aa3b, v4
	s_delay_alu instid0(VALU_DEP_1) | instskip(SKIP_2) | instid1(VALU_DEP_2)
	v_cmp_gt_f32_e32 vcc_lo, 0xc2fc0000, v5
	v_cndmask_b32_e64 v6, 0, 0x42800000, vcc_lo
	v_cndmask_b32_e64 v5, 1.0, 0x1f800000, vcc_lo
	v_fmac_f32_e32 v6, 0x3fb8aa3b, v4
	s_delay_alu instid0(VALU_DEP_1) | instskip(SKIP_2) | instid1(VALU_DEP_1)
	v_exp_f32_e32 v6, v6
	s_waitcnt_depctr 0xfff
	v_fma_f32 v5, v6, v5, 1.0
	v_cmp_gt_f32_e32 vcc_lo, 0x800000, v5
	v_cndmask_b32_e64 v6, 1.0, 0x4f800000, vcc_lo
	s_delay_alu instid0(VALU_DEP_1) | instskip(SKIP_2) | instid1(VALU_DEP_3)
	v_mul_f32_e32 v5, v5, v6
	v_cndmask_b32_e64 v6, 0, 0x42000000, vcc_lo
	v_cmp_lt_f32_e32 vcc_lo, 0x41a00000, v4
	v_log_f32_e32 v5, v5
	s_waitcnt_depctr 0xfff
	v_sub_f32_e32 v5, v5, v6
	s_delay_alu instid0(VALU_DEP_1) | instskip(NEXT) | instid1(VALU_DEP_1)
	v_mul_f32_e32 v5, 0x3f317218, v5
	v_cndmask_b32_e32 v4, v5, v4, vcc_lo
	s_delay_alu instid0(VALU_DEP_1) | instskip(SKIP_1) | instid1(VALU_DEP_2)
	v_mul_f32_e32 v5, 0x4f800000, v4
	v_cmp_gt_f32_e32 vcc_lo, 0xf800000, v4
	v_cndmask_b32_e32 v4, v4, v5, vcc_lo
	s_delay_alu instid0(VALU_DEP_1) | instskip(SKIP_3) | instid1(VALU_DEP_2)
	v_sqrt_f32_e32 v5, v4
	s_waitcnt_depctr 0xfff
	v_add_nc_u32_e32 v6, -1, v5
	v_add_nc_u32_e32 v7, 1, v5
	v_fma_f32 v8, -v6, v5, v4
	s_delay_alu instid0(VALU_DEP_2) | instskip(NEXT) | instid1(VALU_DEP_2)
	v_fma_f32 v9, -v7, v5, v4
	v_cmp_ge_f32_e64 s2, 0, v8
	s_delay_alu instid0(VALU_DEP_1) | instskip(NEXT) | instid1(VALU_DEP_3)
	v_cndmask_b32_e64 v5, v5, v6, s2
	v_cmp_lt_f32_e64 s2, 0, v9
	s_delay_alu instid0(VALU_DEP_1) | instskip(NEXT) | instid1(VALU_DEP_1)
	v_cndmask_b32_e64 v5, v5, v7, s2
	v_mul_f32_e32 v6, 0x37800000, v5
	s_delay_alu instid0(VALU_DEP_1) | instskip(SKIP_1) | instid1(VALU_DEP_2)
	v_cndmask_b32_e32 v5, v5, v6, vcc_lo
	v_cmp_class_f32_e64 vcc_lo, v4, 0x260
	v_cndmask_b32_e32 v4, v5, v4, vcc_lo
	v_cmp_ne_u32_e32 vcc_lo, 1, v14
	s_delay_alu instid0(VALU_DEP_2)
	;; [unrolled: 58-line block ×9, first 2 shown]
	v_mov_b32_e32 v47, v11
	s_cbranch_vccnz .LBB95_22
; %bb.21:
	global_load_u16 v15, v1, s[6:7] offset:640
	s_waitcnt vmcnt(0)
	v_lshlrev_b32_e32 v15, 16, v15
	s_delay_alu instid0(VALU_DEP_1)
	v_add_f32_e32 v47, v11, v15
.LBB95_22:
	global_load_b32 v12, v[12:13], off offset:1408
	s_waitcnt vmcnt(0)
	v_mul_f32_e32 v13, 0x3fb8aa3b, v12
	s_delay_alu instid0(VALU_DEP_1) | instskip(SKIP_2) | instid1(VALU_DEP_2)
	v_cmp_gt_f32_e32 vcc_lo, 0xc2fc0000, v13
	v_cndmask_b32_e64 v15, 0, 0x42800000, vcc_lo
	v_cndmask_b32_e64 v13, 1.0, 0x1f800000, vcc_lo
	v_fmac_f32_e32 v15, 0x3fb8aa3b, v12
	s_delay_alu instid0(VALU_DEP_1) | instskip(SKIP_2) | instid1(VALU_DEP_1)
	v_exp_f32_e32 v15, v15
	s_waitcnt_depctr 0xfff
	v_fma_f32 v13, v15, v13, 1.0
	v_cmp_gt_f32_e32 vcc_lo, 0x800000, v13
	v_cndmask_b32_e64 v15, 1.0, 0x4f800000, vcc_lo
	s_delay_alu instid0(VALU_DEP_1) | instskip(SKIP_2) | instid1(VALU_DEP_3)
	v_mul_f32_e32 v13, v13, v15
	v_cndmask_b32_e64 v15, 0, 0x42000000, vcc_lo
	v_cmp_lt_f32_e32 vcc_lo, 0x41a00000, v12
	v_log_f32_e32 v13, v13
	s_waitcnt_depctr 0xfff
	v_sub_f32_e32 v13, v13, v15
	s_delay_alu instid0(VALU_DEP_1) | instskip(NEXT) | instid1(VALU_DEP_1)
	v_mul_f32_e32 v13, 0x3f317218, v13
	v_cndmask_b32_e32 v12, v13, v12, vcc_lo
	s_delay_alu instid0(VALU_DEP_1) | instskip(SKIP_1) | instid1(VALU_DEP_2)
	v_mul_f32_e32 v13, 0x4f800000, v12
	v_cmp_gt_f32_e32 vcc_lo, 0xf800000, v12
	v_cndmask_b32_e32 v12, v12, v13, vcc_lo
	s_delay_alu instid0(VALU_DEP_1) | instskip(SKIP_3) | instid1(VALU_DEP_2)
	v_sqrt_f32_e32 v13, v12
	s_waitcnt_depctr 0xfff
	v_add_nc_u32_e32 v15, -1, v13
	v_add_nc_u32_e32 v16, 1, v13
	v_fma_f32 v17, -v15, v13, v12
	s_delay_alu instid0(VALU_DEP_2) | instskip(NEXT) | instid1(VALU_DEP_2)
	v_fma_f32 v18, -v16, v13, v12
	v_cmp_ge_f32_e64 s2, 0, v17
	s_delay_alu instid0(VALU_DEP_1) | instskip(NEXT) | instid1(VALU_DEP_3)
	v_cndmask_b32_e64 v13, v13, v15, s2
	v_cmp_lt_f32_e64 s2, 0, v18
	s_delay_alu instid0(VALU_DEP_1) | instskip(NEXT) | instid1(VALU_DEP_1)
	v_cndmask_b32_e64 v13, v13, v16, s2
	v_mul_f32_e32 v15, 0x37800000, v13
	s_delay_alu instid0(VALU_DEP_1) | instskip(SKIP_1) | instid1(VALU_DEP_2)
	v_cndmask_b32_e32 v13, v13, v15, vcc_lo
	v_cmp_class_f32_e64 vcc_lo, v12, 0x260
	v_cndmask_b32_e32 v12, v13, v12, vcc_lo
	v_cmp_ne_u32_e32 vcc_lo, 1, v14
	s_cbranch_vccnz .LBB95_24
; %bb.23:
	global_load_u16 v1, v1, s[6:7] offset:704
	s_waitcnt vmcnt(0)
	v_lshlrev_b32_e32 v1, 16, v1
	s_delay_alu instid0(VALU_DEP_1)
	v_add_f32_e32 v48, v12, v1
	s_branch .LBB95_25
.LBB95_24:
	s_delay_alu instid0(VALU_DEP_2)
	v_mov_b32_e32 v48, v12
.LBB95_25:
	v_dual_mov_b32 v13, v37 :: v_dual_add_nc_u32 v26, 32, v0
	v_dual_mov_b32 v14, v38 :: v_dual_add_nc_u32 v27, 64, v0
	;; [unrolled: 1-line block ×11, first 2 shown]
	v_dual_mov_b32 v24, v48 :: v_dual_mov_b32 v1, v49
	v_mov_b32_e32 v25, v0
	s_mov_b32 s2, exec_lo
	v_cmpx_lt_f32_e32 v37, v38
	s_xor_b32 s2, exec_lo, s2
; %bb.26:
	v_dual_mov_b32 v13, v38 :: v_dual_mov_b32 v14, v37
	v_dual_mov_b32 v15, v39 :: v_dual_mov_b32 v16, v40
	;; [unrolled: 1-line block ×8, first 2 shown]
	v_mov_b32_e32 v26, v0
; %bb.27:
	s_or_b32 exec_lo, exec_lo, s2
	v_dual_mov_b32 v37, v15 :: v_dual_mov_b32 v86, v12
	v_dual_mov_b32 v75, v1 :: v_dual_mov_b32 v146, v12
	;; [unrolled: 1-line block ×36, first 2 shown]
	s_clause 0x8
	scratch_store_b128 off, v[1:4], off
	scratch_store_b128 off, v[5:8], off offset:16
	scratch_store_b128 off, v[9:12], off offset:32
	;; [unrolled: 1-line block ×8, first 2 shown]
	v_dual_mov_b32 v73, v35 :: v_dual_mov_b32 v72, v34
	v_dual_mov_b32 v71, v33 :: v_dual_mov_b32 v70, v32
	;; [unrolled: 1-line block ×30, first 2 shown]
	v_mov_b32_e32 v159, v25
	s_clause 0x2
	scratch_store_b128 off, v[25:28], off offset:144
	scratch_store_b128 off, v[29:32], off offset:160
	;; [unrolled: 1-line block ×3, first 2 shown]
	s_mov_b32 s2, exec_lo
	v_dual_mov_b32 v182, v36 :: v_dual_mov_b32 v181, v35
	v_dual_mov_b32 v180, v34 :: v_dual_mov_b32 v179, v33
	;; [unrolled: 1-line block ×6, first 2 shown]
	v_cmpx_lt_f32_e32 v38, v15
	s_cbranch_execz .LBB95_29
; %bb.28:
	v_dual_mov_b32 v37, v38 :: v_dual_mov_b32 v182, v36
	v_dual_mov_b32 v173, v27 :: v_dual_mov_b32 v172, v26
	;; [unrolled: 1-line block ×14, first 2 shown]
	v_mov_b32_e32 v125, v2
	v_dual_mov_b32 v159, v171 :: v_dual_mov_b32 v162, v174
	v_dual_mov_b32 v161, v173 :: v_dual_mov_b32 v164, v176
	;; [unrolled: 1-line block ×6, first 2 shown]
	v_mov_b32_e32 v162, v28
	s_clause 0x2
	scratch_store_b128 off, v[123:126], off offset:96
	scratch_store_b128 off, v[127:130], off offset:112
	;; [unrolled: 1-line block ×3, first 2 shown]
	v_dual_mov_b32 v14, v15 :: v_dual_mov_b32 v15, v38
	v_dual_mov_b32 v43, v164 :: v_dual_mov_b32 v44, v165
	;; [unrolled: 1-line block ×7, first 2 shown]
	s_clause 0x2
	scratch_store_b128 off, v[38:41], off offset:144
	scratch_store_b128 off, v[42:45], off offset:160
	;; [unrolled: 1-line block ×3, first 2 shown]
	v_mov_b32_e32 v163, v29
	v_mov_b32_e32 v27, v26
	v_dual_mov_b32 v43, v128 :: v_dual_mov_b32 v44, v129
	v_dual_mov_b32 v47, v132 :: v_dual_mov_b32 v38, v123
	;; [unrolled: 1-line block ×5, first 2 shown]
	v_mov_b32_e32 v41, v126
	v_dual_mov_b32 v147, v159 :: v_dual_mov_b32 v154, v166
	v_mov_b32_e32 v148, v160
	v_mov_b32_e32 v150, v162
	s_clause 0x2
	scratch_store_b128 off, v[38:41], off offset:48
	scratch_store_b128 off, v[42:45], off offset:64
	;; [unrolled: 1-line block ×3, first 2 shown]
	v_dual_mov_b32 v127, v5 :: v_dual_mov_b32 v152, v164
	v_dual_mov_b32 v153, v165 :: v_dual_mov_b32 v152, v30
	;; [unrolled: 1-line block ×7, first 2 shown]
	v_mov_b32_e32 v41, v126
	v_dual_mov_b32 v128, v6 :: v_dual_mov_b32 v99, v147
	v_dual_mov_b32 v105, v153 :: v_dual_mov_b32 v106, v154
	;; [unrolled: 1-line block ×3, first 2 shown]
	v_mov_b32_e32 v105, v31
	v_dual_mov_b32 v103, v151 :: v_dual_mov_b32 v104, v152
	v_dual_mov_b32 v107, v155 :: v_dual_mov_b32 v108, v156
	;; [unrolled: 1-line block ×6, first 2 shown]
	v_mov_b32_e32 v60, v132
	v_dual_mov_b32 v52, v124 :: v_dual_mov_b32 v55, v127
	v_dual_mov_b32 v58, v130 :: v_dual_mov_b32 v61, v133
	v_mov_b32_e32 v57, v7
	v_dual_mov_b32 v53, v125 :: v_dual_mov_b32 v56, v128
	s_clause 0x2
	scratch_store_b128 off, v[38:41], off
	scratch_store_b128 off, v[42:45], off offset:16
	scratch_store_b128 off, v[46:49], off offset:32
	v_dual_mov_b32 v39, v99 :: v_dual_mov_b32 v44, v104
	v_dual_mov_b32 v45, v105 :: v_dual_mov_b32 v50, v110
	;; [unrolled: 1-line block ×6, first 2 shown]
	v_mov_b32_e32 v122, v62
	v_dual_mov_b32 v46, v32 :: v_dual_mov_b32 v111, v51
	v_dual_mov_b32 v121, v61 :: v_dual_mov_b32 v120, v60
	;; [unrolled: 1-line block ×6, first 2 shown]
	v_mov_b32_e32 v118, v8
	v_dual_mov_b32 v98, v50 :: v_dual_mov_b32 v97, v49
	v_dual_mov_b32 v96, v48 :: v_dual_mov_b32 v95, v47
	;; [unrolled: 1-line block ×7, first 2 shown]
	v_mov_b32_e32 v135, v111
	v_dual_mov_b32 v3, v2 :: v_dual_mov_b32 v144, v120
	v_dual_mov_b32 v145, v121 :: v_dual_mov_b32 v142, v118
	;; [unrolled: 1-line block ×5, first 2 shown]
	v_mov_b32_e32 v137, v113
	v_mov_b32_e32 v143, v9
	v_dual_mov_b32 v63, v87 :: v_dual_mov_b32 v70, v94
	v_mov_b32_e32 v64, v88
	v_mov_b32_e32 v66, v90
	v_dual_mov_b32 v68, v92 :: v_dual_mov_b32 v75, v135
	v_dual_mov_b32 v80, v140 :: v_dual_mov_b32 v65, v89
	;; [unrolled: 1-line block ×13, first 2 shown]
.LBB95_29:
	s_or_b32 exec_lo, exec_lo, s2
	v_mov_b32_e32 v1, v16
	s_mov_b32 s2, exec_lo
	v_cmpx_lt_f32_e32 v37, v16
	s_cbranch_execz .LBB95_31
; %bb.30:
	s_clause 0x2
	scratch_load_b128 v[38:41], off, off offset:96
	scratch_load_b128 v[42:45], off, off offset:112
	;; [unrolled: 1-line block ×3, first 2 shown]
	v_mov_b32_e32 v173, v28
	v_dual_mov_b32 v15, v16 :: v_dual_mov_b32 v16, v37
	v_dual_mov_b32 v1, v37 :: v_dual_mov_b32 v28, v27
	s_waitcnt vmcnt(2)
	v_dual_mov_b32 v124, v39 :: v_dual_mov_b32 v123, v38
	s_waitcnt vmcnt(0)
	v_dual_mov_b32 v134, v49 :: v_dual_mov_b32 v125, v4
	v_dual_mov_b32 v159, v171 :: v_dual_mov_b32 v160, v172
	v_mov_b32_e32 v162, v174
	v_dual_mov_b32 v38, v123 :: v_dual_mov_b32 v39, v124
	v_dual_mov_b32 v161, v173 :: v_dual_mov_b32 v164, v176
	;; [unrolled: 1-line block ×10, first 2 shown]
	v_mov_b32_e32 v126, v41
	s_clause 0x2
	scratch_store_b128 off, v[38:41], off offset:96
	scratch_store_b128 off, v[42:45], off offset:112
	;; [unrolled: 1-line block ×3, first 2 shown]
	v_dual_mov_b32 v43, v164 :: v_dual_mov_b32 v38, v159
	v_dual_mov_b32 v41, v162 :: v_dual_mov_b32 v126, v3
	;; [unrolled: 1-line block ×7, first 2 shown]
	s_clause 0x2
	scratch_store_b128 off, v[38:41], off offset:144
	scratch_store_b128 off, v[42:45], off offset:160
	scratch_store_b128 off, v[46:49], off offset:176
	v_dual_mov_b32 v43, v128 :: v_dual_mov_b32 v46, v131
	v_dual_mov_b32 v49, v134 :: v_dual_mov_b32 v38, v123
	;; [unrolled: 1-line block ×5, first 2 shown]
	v_mov_b32_e32 v41, v126
	v_dual_mov_b32 v147, v159 :: v_dual_mov_b32 v152, v164
	v_dual_mov_b32 v148, v160 :: v_dual_mov_b32 v127, v5
	;; [unrolled: 1-line block ×7, first 2 shown]
	s_clause 0x2
	scratch_store_b128 off, v[38:41], off offset:48
	scratch_store_b128 off, v[42:45], off offset:64
	;; [unrolled: 1-line block ×3, first 2 shown]
	v_dual_mov_b32 v38, v123 :: v_dual_mov_b32 v39, v124
	v_dual_mov_b32 v40, v125 :: v_dual_mov_b32 v41, v126
	v_mov_b32_e32 v42, v127
	v_dual_mov_b32 v128, v6 :: v_dual_mov_b32 v99, v147
	v_dual_mov_b32 v106, v154 :: v_dual_mov_b32 v107, v155
	;; [unrolled: 1-line block ×3, first 2 shown]
	v_mov_b32_e32 v52, v124
	v_dual_mov_b32 v100, v148 :: v_dual_mov_b32 v101, v149
	v_dual_mov_b32 v102, v150 :: v_dual_mov_b32 v103, v151
	;; [unrolled: 1-line block ×6, first 2 shown]
	v_mov_b32_e32 v105, v31
	v_dual_mov_b32 v57, v129 :: v_dual_mov_b32 v58, v130
	v_dual_mov_b32 v53, v125 :: v_dual_mov_b32 v54, v126
	;; [unrolled: 1-line block ×3, first 2 shown]
	v_mov_b32_e32 v57, v7
	s_clause 0x2
	scratch_store_b128 off, v[38:41], off
	scratch_store_b128 off, v[42:45], off offset:16
	scratch_store_b128 off, v[46:49], off offset:32
	v_dual_mov_b32 v39, v99 :: v_dual_mov_b32 v42, v102
	v_dual_mov_b32 v47, v107 :: v_dual_mov_b32 v50, v110
	;; [unrolled: 1-line block ×9, first 2 shown]
	v_mov_b32_e32 v46, v32
	v_dual_mov_b32 v118, v58 :: v_dual_mov_b32 v117, v57
	v_dual_mov_b32 v116, v56 :: v_dual_mov_b32 v115, v55
	;; [unrolled: 1-line block ×3, first 2 shown]
	v_mov_b32_e32 v118, v8
	v_dual_mov_b32 v98, v50 :: v_dual_mov_b32 v95, v47
	v_dual_mov_b32 v97, v49 :: v_dual_mov_b32 v90, v42
	;; [unrolled: 1-line block ×9, first 2 shown]
	v_mov_b32_e32 v89, v41
	v_dual_mov_b32 v143, v9 :: v_dual_mov_b32 v142, v118
	v_dual_mov_b32 v141, v117 :: v_dual_mov_b32 v140, v116
	;; [unrolled: 1-line block ×3, first 2 shown]
	v_mov_b32_e32 v137, v113
	v_dual_mov_b32 v63, v87 :: v_dual_mov_b32 v66, v90
	v_dual_mov_b32 v64, v88 :: v_dual_mov_b32 v75, v135
	;; [unrolled: 1-line block ×13, first 2 shown]
	v_mov_b32_e32 v82, v142
	v_dual_mov_b32 v84, v10 :: v_dual_mov_b32 v85, v11
	v_mov_b32_e32 v86, v12
.LBB95_31:
	s_or_b32 exec_lo, exec_lo, s2
	v_mov_b32_e32 v2, v17
	s_mov_b32 s2, exec_lo
	v_cmpx_lt_f32_e32 v1, v17
	s_cbranch_execz .LBB95_33
; %bb.32:
	s_clause 0x2
	scratch_load_b128 v[37:40], off, off offset:96
	scratch_load_b128 v[41:44], off, off offset:112
	scratch_load_b128 v[45:48], off, off offset:128
	v_mov_b32_e32 v174, v29
	v_dual_mov_b32 v2, v1 :: v_dual_mov_b32 v29, v28
	v_mov_b32_e32 v16, v17
	s_waitcnt vmcnt(0)
	v_dual_mov_b32 v74, v48 :: v_dual_mov_b32 v71, v45
	v_dual_mov_b32 v68, v42 :: v_dual_mov_b32 v65, v39
	v_dual_mov_b32 v72, v46 :: v_dual_mov_b32 v69, v43
	v_dual_mov_b32 v70, v44 :: v_dual_mov_b32 v67, v41
	v_dual_mov_b32 v64, v38 :: v_dual_mov_b32 v63, v37
	v_dual_mov_b32 v73, v47 :: v_dual_mov_b32 v66, v5
	v_dual_mov_b32 v159, v171 :: v_dual_mov_b32 v164, v176
	v_dual_mov_b32 v165, v177 :: v_dual_mov_b32 v162, v174
	v_dual_mov_b32 v163, v175 :: v_dual_mov_b32 v166, v178
	v_dual_mov_b32 v167, v179 :: v_dual_mov_b32 v168, v180
	v_dual_mov_b32 v169, v181 :: v_dual_mov_b32 v170, v182
	v_dual_mov_b32 v163, v28 :: v_dual_mov_b32 v134, v74
	v_dual_mov_b32 v133, v73 :: v_dual_mov_b32 v160, v172
	v_dual_mov_b32 v161, v173 :: v_dual_mov_b32 v130, v70
	v_dual_mov_b32 v129, v69 :: v_dual_mov_b32 v128, v68
	v_dual_mov_b32 v127, v67 :: v_dual_mov_b32 v124, v64
	v_dual_mov_b32 v123, v63 :: v_dual_mov_b32 v132, v72
	v_dual_mov_b32 v131, v71 :: v_dual_mov_b32 v126, v66
	v_mov_b32_e32 v125, v65
	v_mov_b32_e32 v127, v4
	v_dual_mov_b32 v147, v159 :: v_dual_mov_b32 v148, v160
	v_dual_mov_b32 v153, v165 :: v_dual_mov_b32 v156, v168
	;; [unrolled: 1-line block ×3, first 2 shown]
	v_mov_b32_e32 v157, v169
	v_dual_mov_b32 v151, v163 :: v_dual_mov_b32 v154, v166
	v_dual_mov_b32 v149, v161 :: v_dual_mov_b32 v152, v164
	;; [unrolled: 1-line block ×4, first 2 shown]
	v_mov_b32_e32 v38, v124
	v_dual_mov_b32 v152, v30 :: v_dual_mov_b32 v45, v131
	v_dual_mov_b32 v46, v132 :: v_dual_mov_b32 v47, v133
	;; [unrolled: 1-line block ×13, first 2 shown]
	s_clause 0x2
	scratch_store_b128 off, v[37:40], off
	scratch_store_b128 off, v[41:44], off offset:16
	scratch_store_b128 off, v[45:48], off offset:32
	v_dual_mov_b32 v57, v129 :: v_dual_mov_b32 v60, v132
	v_dual_mov_b32 v55, v127 :: v_dual_mov_b32 v58, v130
	v_mov_b32_e32 v61, v133
	v_mov_b32_e32 v57, v7
	v_dual_mov_b32 v39, v99 :: v_dual_mov_b32 v44, v104
	v_dual_mov_b32 v17, v1 :: v_dual_mov_b32 v52, v124
	;; [unrolled: 1-line block ×8, first 2 shown]
	v_mov_b32_e32 v122, v62
	v_dual_mov_b32 v46, v32 :: v_dual_mov_b32 v119, v59
	v_dual_mov_b32 v118, v58 :: v_dual_mov_b32 v111, v51
	v_dual_mov_b32 v118, v8 :: v_dual_mov_b32 v121, v61
	v_dual_mov_b32 v120, v60 :: v_dual_mov_b32 v117, v57
	v_dual_mov_b32 v116, v56 :: v_dual_mov_b32 v115, v55
	v_dual_mov_b32 v114, v54 :: v_dual_mov_b32 v113, v53
	v_mov_b32_e32 v112, v52
	v_dual_mov_b32 v98, v50 :: v_dual_mov_b32 v97, v49
	v_dual_mov_b32 v96, v48 :: v_dual_mov_b32 v95, v47
	;; [unrolled: 1-line block ×8, first 2 shown]
	v_mov_b32_e32 v135, v111
	v_dual_mov_b32 v145, v121 :: v_dual_mov_b32 v144, v120
	v_dual_mov_b32 v141, v117 :: v_dual_mov_b32 v140, v116
	v_mov_b32_e32 v143, v9
	v_dual_mov_b32 v139, v115 :: v_dual_mov_b32 v138, v114
	v_dual_mov_b32 v137, v113 :: v_dual_mov_b32 v136, v112
	s_clause 0x5
	scratch_store_b128 off, v[63:66], off offset:48
	scratch_store_b128 off, v[67:70], off offset:64
	;; [unrolled: 1-line block ×6, first 2 shown]
	v_dual_mov_b32 v63, v87 :: v_dual_mov_b32 v68, v92
	v_mov_b32_e32 v64, v88
	v_dual_mov_b32 v66, v90 :: v_dual_mov_b32 v75, v135
	v_dual_mov_b32 v78, v138 :: v_dual_mov_b32 v67, v91
	;; [unrolled: 1-line block ×14, first 2 shown]
.LBB95_33:
	s_or_b32 exec_lo, exec_lo, s2
	v_mov_b32_e32 v1, v18
	s_mov_b32 s2, exec_lo
	v_cmpx_lt_f32_e32 v2, v18
	s_cbranch_execz .LBB95_35
; %bb.34:
	s_clause 0x2
	scratch_load_b128 v[37:40], off, off offset:144
	scratch_load_b128 v[41:44], off, off offset:160
	scratch_load_b128 v[45:48], off, off offset:176
	s_waitcnt vmcnt(0)
	v_dual_mov_b32 v17, v18 :: v_dual_mov_b32 v170, v48
	v_dual_mov_b32 v169, v47 :: v_dual_mov_b32 v162, v40
	;; [unrolled: 1-line block ×6, first 2 shown]
	s_clause 0x2
	scratch_load_b128 v[37:40], off, off offset:48
	scratch_load_b128 v[41:44], off, off offset:64
	scratch_load_b128 v[45:48], off, off offset:80
	v_dual_mov_b32 v163, v30 :: v_dual_mov_b32 v30, v29
	s_waitcnt vmcnt(0)
	v_mov_b32_e32 v74, v48
	v_dual_mov_b32 v66, v40 :: v_dual_mov_b32 v63, v37
	v_dual_mov_b32 v73, v47 :: v_dual_mov_b32 v64, v38
	;; [unrolled: 1-line block ×5, first 2 shown]
	v_mov_b32_e32 v69, v43
	v_dual_mov_b32 v67, v6 :: v_dual_mov_b32 v148, v160
	v_dual_mov_b32 v134, v74 :: v_dual_mov_b32 v133, v73
	;; [unrolled: 1-line block ×12, first 2 shown]
	v_mov_b32_e32 v128, v5
	v_dual_mov_b32 v152, v29 :: v_dual_mov_b32 v51, v123
	v_dual_mov_b32 v99, v147 :: v_dual_mov_b32 v108, v156
	;; [unrolled: 1-line block ×13, first 2 shown]
	v_mov_b32_e32 v57, v7
	v_dual_mov_b32 v39, v99 :: v_dual_mov_b32 v40, v100
	v_dual_mov_b32 v49, v109 :: v_dual_mov_b32 v50, v110
	s_delay_alu instid0(VALU_DEP_4)
	v_dual_mov_b32 v122, v62 :: v_dual_mov_b32 v121, v61
	v_dual_mov_b32 v43, v103 :: v_dual_mov_b32 v44, v104
	;; [unrolled: 1-line block ×10, first 2 shown]
	v_mov_b32_e32 v46, v32
	v_mov_b32_e32 v118, v8
	v_dual_mov_b32 v98, v50 :: v_dual_mov_b32 v93, v45
	v_dual_mov_b32 v97, v49 :: v_dual_mov_b32 v146, v122
	;; [unrolled: 1-line block ×13, first 2 shown]
	v_mov_b32_e32 v137, v113
	s_clause 0x2
	scratch_store_b128 off, v[63:66], off
	scratch_store_b128 off, v[67:70], off offset:16
	scratch_store_b128 off, v[71:74], off offset:32
	v_dual_mov_b32 v63, v87 :: v_dual_mov_b32 v66, v90
	v_dual_mov_b32 v75, v135 :: v_dual_mov_b32 v78, v138
	;; [unrolled: 1-line block ×15, first 2 shown]
	v_mov_b32_e32 v86, v12
	v_mov_b32_e32 v6, v5
.LBB95_35:
	s_or_b32 exec_lo, exec_lo, s2
	v_mov_b32_e32 v2, v19
	s_mov_b32 s2, exec_lo
	v_cmpx_lt_f32_e32 v1, v19
	s_cbranch_execz .LBB95_37
; %bb.36:
	s_clause 0x2
	scratch_load_b128 v[37:40], off, off
	scratch_load_b128 v[41:44], off, off offset:16
	scratch_load_b128 v[45:48], off, off offset:32
	v_mov_b32_e32 v164, v31
	v_dual_mov_b32 v2, v1 :: v_dual_mov_b32 v31, v30
	v_mov_b32_e32 v18, v19
	s_waitcnt vmcnt(0)
	v_dual_mov_b32 v134, v48 :: v_dual_mov_b32 v133, v47
	v_dual_mov_b32 v130, v44 :: v_dual_mov_b32 v127, v41
	;; [unrolled: 1-line block ×17, first 2 shown]
	v_mov_b32_e32 v61, v133
	v_mov_b32_e32 v57, v6
	;; [unrolled: 1-line block ×3, first 2 shown]
	v_dual_mov_b32 v62, v134 :: v_dual_mov_b32 v39, v99
	v_dual_mov_b32 v147, v159 :: v_dual_mov_b32 v148, v160
	s_delay_alu instid0(VALU_DEP_2)
	v_dual_mov_b32 v149, v161 :: v_dual_mov_b32 v122, v62
	v_dual_mov_b32 v120, v60 :: v_dual_mov_b32 v49, v109
	v_mov_b32_e32 v50, v110
	v_dual_mov_b32 v40, v100 :: v_dual_mov_b32 v119, v59
	v_dual_mov_b32 v118, v58 :: v_dual_mov_b32 v115, v55
	;; [unrolled: 1-line block ×6, first 2 shown]
	v_mov_b32_e32 v121, v61
	v_dual_mov_b32 v117, v57 :: v_dual_mov_b32 v116, v56
	v_dual_mov_b32 v113, v53 :: v_dual_mov_b32 v112, v52
	;; [unrolled: 1-line block ×3, first 2 shown]
	v_mov_b32_e32 v46, v32
	v_mov_b32_e32 v118, v8
	v_dual_mov_b32 v98, v50 :: v_dual_mov_b32 v95, v47
	v_dual_mov_b32 v97, v49 :: v_dual_mov_b32 v146, v122
	;; [unrolled: 1-line block ×4, first 2 shown]
	v_mov_b32_e32 v87, v39
	v_dual_mov_b32 v143, v9 :: v_dual_mov_b32 v96, v48
	v_dual_mov_b32 v93, v45 :: v_dual_mov_b32 v88, v40
	;; [unrolled: 1-line block ×8, first 2 shown]
	v_mov_b32_e32 v137, v113
	v_dual_mov_b32 v75, v135 :: v_dual_mov_b32 v78, v138
	v_dual_mov_b32 v63, v87 :: v_dual_mov_b32 v66, v90
	;; [unrolled: 1-line block ×14, first 2 shown]
	v_mov_b32_e32 v74, v36
	v_dual_mov_b32 v84, v10 :: v_dual_mov_b32 v85, v11
	v_dual_mov_b32 v150, v162 :: v_dual_mov_b32 v151, v163
	;; [unrolled: 1-line block ×5, first 2 shown]
	v_mov_b32_e32 v158, v170
	v_mov_b32_e32 v7, v6
.LBB95_37:
	s_or_b32 exec_lo, exec_lo, s2
	v_mov_b32_e32 v1, v20
	s_mov_b32 s2, exec_lo
	v_cmpx_lt_f32_e32 v2, v20
	s_cbranch_execz .LBB95_39
; %bb.38:
	v_mov_b32_e32 v129, v8
	v_mov_b32_e32 v153, v32
	v_dual_mov_b32 v111, v123 :: v_dual_mov_b32 v114, v126
	v_dual_mov_b32 v39, v147 :: v_dual_mov_b32 v40, v148
	;; [unrolled: 1-line block ×10, first 2 shown]
	v_mov_b32_e32 v120, v132
	v_dual_mov_b32 v116, v128 :: v_dual_mov_b32 v121, v133
	v_mov_b32_e32 v46, v31
	v_dual_mov_b32 v119, v131 :: v_dual_mov_b32 v98, v50
	v_dual_mov_b32 v118, v7 :: v_dual_mov_b32 v97, v49
	v_dual_mov_b32 v88, v40 :: v_dual_mov_b32 v87, v39
	v_dual_mov_b32 v146, v122 :: v_dual_mov_b32 v145, v121
	v_dual_mov_b32 v136, v112 :: v_dual_mov_b32 v135, v111
	v_dual_mov_b32 v96, v48 :: v_dual_mov_b32 v95, v47
	v_dual_mov_b32 v94, v46 :: v_dual_mov_b32 v93, v45
	v_dual_mov_b32 v92, v44 :: v_dual_mov_b32 v91, v43
	v_dual_mov_b32 v144, v120 :: v_dual_mov_b32 v143, v119
	v_dual_mov_b32 v142, v118 :: v_dual_mov_b32 v141, v117
	v_dual_mov_b32 v140, v116 :: v_dual_mov_b32 v139, v115
	v_dual_mov_b32 v90, v42 :: v_dual_mov_b32 v89, v41
	v_dual_mov_b32 v138, v114 :: v_dual_mov_b32 v137, v113
	v_mov_b32_e32 v95, v33
	v_dual_mov_b32 v19, v20 :: v_dual_mov_b32 v20, v2
	v_mov_b32_e32 v143, v9
	v_dual_mov_b32 v63, v87 :: v_dual_mov_b32 v68, v92
	v_dual_mov_b32 v64, v88 :: v_dual_mov_b32 v75, v135
	;; [unrolled: 1-line block ×11, first 2 shown]
	v_mov_b32_e32 v70, v94
	v_dual_mov_b32 v66, v90 :: v_dual_mov_b32 v71, v95
	v_dual_mov_b32 v76, v136 :: v_dual_mov_b32 v77, v137
	;; [unrolled: 1-line block ×15, first 2 shown]
	v_mov_b32_e32 v110, v158
	v_dual_mov_b32 v1, v2 :: v_dual_mov_b32 v8, v7
	v_mov_b32_e32 v32, v31
.LBB95_39:
	s_or_b32 exec_lo, exec_lo, s2
	v_mov_b32_e32 v2, v21
	s_mov_b32 s2, exec_lo
	v_cmpx_lt_f32_e32 v1, v21
	s_cbranch_execz .LBB95_41
; %bb.40:
	v_mov_b32_e32 v58, v9
	v_mov_b32_e32 v106, v33
	v_dual_mov_b32 v146, v62 :: v_dual_mov_b32 v143, v59
	v_mov_b32_e32 v87, v99
	s_delay_alu instid0(VALU_DEP_3)
	v_dual_mov_b32 v141, v57 :: v_dual_mov_b32 v94, v106
	v_dual_mov_b32 v95, v107 :: v_dual_mov_b32 v140, v56
	;; [unrolled: 1-line block ×6, first 2 shown]
	v_mov_b32_e32 v95, v32
	v_dual_mov_b32 v143, v8 :: v_dual_mov_b32 v20, v21
	v_dual_mov_b32 v88, v100 :: v_dual_mov_b32 v89, v101
	v_dual_mov_b32 v90, v102 :: v_dual_mov_b32 v91, v103
	v_dual_mov_b32 v92, v104 :: v_dual_mov_b32 v93, v105
	v_dual_mov_b32 v142, v58 :: v_dual_mov_b32 v137, v53
	v_dual_mov_b32 v136, v52 :: v_dual_mov_b32 v21, v1
	v_dual_mov_b32 v63, v87 :: v_dual_mov_b32 v64, v88
	s_delay_alu instid0(VALU_DEP_2)
	v_dual_mov_b32 v75, v135 :: v_dual_mov_b32 v76, v136
	v_dual_mov_b32 v122, v62 :: v_dual_mov_b32 v117, v57
	;; [unrolled: 1-line block ×25, first 2 shown]
	v_mov_b32_e32 v48, v108
	v_dual_mov_b32 v50, v110 :: v_dual_mov_b32 v9, v8
	v_dual_mov_b32 v2, v1 :: v_dual_mov_b32 v33, v32
.LBB95_41:
	s_or_b32 exec_lo, exec_lo, s2
	v_mov_b32_e32 v3, v22
	s_mov_b32 s2, exec_lo
	s_delay_alu instid0(VALU_DEP_2)
	v_cmpx_lt_f32_e32 v2, v22
	s_cbranch_execz .LBB95_43
; %bb.42:
	v_mov_b32_e32 v47, v34
	v_mov_b32_e32 v74, v50
	v_dual_mov_b32 v21, v22 :: v_dual_mov_b32 v72, v48
	v_dual_mov_b32 v72, v33 :: v_dual_mov_b32 v119, v10
	;; [unrolled: 1-line block ×3, first 2 shown]
	v_mov_b32_e32 v78, v114
	v_dual_mov_b32 v22, v2 :: v_dual_mov_b32 v73, v49
	v_dual_mov_b32 v81, v117 :: v_dual_mov_b32 v84, v120
	;; [unrolled: 1-line block ×7, first 2 shown]
	v_mov_b32_e32 v69, v45
	v_dual_mov_b32 v67, v43 :: v_dual_mov_b32 v66, v42
	v_dual_mov_b32 v65, v41 :: v_dual_mov_b32 v64, v40
	;; [unrolled: 1-line block ×18, first 2 shown]
	v_mov_b32_e32 v34, v33
.LBB95_43:
	s_or_b32 exec_lo, exec_lo, s2
	v_mov_b32_e32 v1, v23
	s_mov_b32 s2, exec_lo
	v_cmpx_lt_f32_e32 v3, v23
	s_cbranch_execz .LBB95_45
; %bb.44:
	v_dual_mov_b32 v144, v11 :: v_dual_mov_b32 v145, v10
	v_dual_mov_b32 v96, v35 :: v_dual_mov_b32 v97, v34
	v_mov_b32_e32 v146, v12
	v_mov_b32_e32 v22, v23
	v_dual_mov_b32 v23, v3 :: v_dual_mov_b32 v98, v36
	v_dual_mov_b32 v75, v135 :: v_dual_mov_b32 v84, v144
	;; [unrolled: 1-line block ×3, first 2 shown]
	v_mov_b32_e32 v79, v139
	v_dual_mov_b32 v77, v137 :: v_dual_mov_b32 v78, v138
	v_dual_mov_b32 v81, v141 :: v_dual_mov_b32 v80, v140
	v_dual_mov_b32 v83, v143 :: v_dual_mov_b32 v82, v142
	v_dual_mov_b32 v85, v145 :: v_dual_mov_b32 v86, v146
	v_dual_mov_b32 v65, v89 :: v_dual_mov_b32 v64, v88
	v_dual_mov_b32 v67, v91 :: v_dual_mov_b32 v66, v90
	v_dual_mov_b32 v69, v93 :: v_dual_mov_b32 v68, v92
	v_dual_mov_b32 v71, v95 :: v_dual_mov_b32 v70, v94
	v_dual_mov_b32 v73, v97 :: v_dual_mov_b32 v72, v96
	v_dual_mov_b32 v1, v3 :: v_dual_mov_b32 v74, v98
.LBB95_45:
	s_or_b32 exec_lo, exec_lo, s2
	s_delay_alu instid0(VALU_DEP_1)
	v_cmp_lt_f32_e32 vcc_lo, v1, v24
	v_mov_b32_e32 v42, v78
	v_cmp_lt_f32_e64 s2, v13, v14
	v_dual_mov_b32 v40, v76 :: v_dual_mov_b32 v41, v77
	v_dual_cndmask_b32 v12, v24, v1 :: v_dual_mov_b32 v43, v79
	v_dual_cndmask_b32 v23, v23, v24 :: v_dual_cndmask_b32 v50, v86, v85
	s_delay_alu instid0(VALU_DEP_2) | instskip(SKIP_2) | instid1(VALU_DEP_3)
	v_dual_mov_b32 v39, v75 :: v_dual_mov_b32 v24, v12
	v_dual_cndmask_b32 v49, v85, v86 :: v_dual_mov_b32 v44, v80
	v_dual_cndmask_b32 v61, v73, v74 :: v_dual_cndmask_b32 v62, v74, v73
	v_dual_mov_b32 v38, v24 :: v_dual_mov_b32 v35, v21
	v_dual_mov_b32 v37, v23 :: v_dual_mov_b32 v36, v22
	;; [unrolled: 1-line block ×13, first 2 shown]
	s_and_saveexec_b32 s3, s2
	s_delay_alu instid0(SALU_CYCLE_1)
	s_xor_b32 s2, exec_lo, s3
	s_cbranch_execz .LBB95_47
; %bb.46:
	v_dual_mov_b32 v1, v14 :: v_dual_mov_b32 v2, v13
	v_dual_mov_b32 v3, v15 :: v_dual_mov_b32 v4, v16
	;; [unrolled: 1-line block ×6, first 2 shown]
	s_delay_alu instid0(VALU_DEP_2) | instskip(NEXT) | instid1(VALU_DEP_2)
	v_dual_mov_b32 v38, v12 :: v_dual_mov_b32 v35, v9
	v_dual_mov_b32 v36, v10 :: v_dual_mov_b32 v37, v11
	;; [unrolled: 1-line block ×16, first 2 shown]
.LBB95_47:
	s_or_b32 exec_lo, exec_lo, s2
	v_dual_mov_b32 v13, v29 :: v_dual_mov_b32 v122, v50
	v_dual_mov_b32 v15, v39 :: v_dual_mov_b32 v16, v40
	;; [unrolled: 1-line block ×30, first 2 shown]
	v_mov_b32_e32 v135, v39
	s_clause 0x2
	scratch_store_b128 off, v[39:42], off offset:48
	scratch_store_b128 off, v[43:46], off offset:64
	scratch_store_b128 off, v[47:50], off offset:80
	v_dual_mov_b32 v1, v51 :: v_dual_mov_b32 v4, v54
	v_dual_mov_b32 v11, v61 :: v_dual_mov_b32 v74, v62
	;; [unrolled: 1-line block ×34, first 2 shown]
	v_mov_b32_e32 v159, v51
	s_mov_b32 s2, exec_lo
	v_dual_mov_b32 v73, v61 :: v_dual_mov_b32 v72, v60
	v_mov_b32_e32 v2, v52
	s_clause 0x2
	scratch_store_b128 off, v[51:54], off
	scratch_store_b128 off, v[55:58], off offset:16
	scratch_store_b128 off, v[59:62], off offset:32
	v_dual_mov_b32 v182, v50 :: v_dual_mov_b32 v181, v49
	v_dual_mov_b32 v180, v48 :: v_dual_mov_b32 v179, v47
	v_dual_mov_b32 v178, v46 :: v_dual_mov_b32 v177, v45
	v_dual_mov_b32 v176, v44 :: v_dual_mov_b32 v175, v43
	v_dual_mov_b32 v174, v42 :: v_dual_mov_b32 v173, v41
	v_dual_mov_b32 v172, v40 :: v_dual_mov_b32 v171, v39
	v_cmpx_lt_f32_e32 v14, v29
	s_cbranch_execz .LBB95_49
; %bb.48:
	v_dual_mov_b32 v170, v62 :: v_dual_mov_b32 v169, v61
	v_dual_mov_b32 v162, v54 :: v_dual_mov_b32 v161, v53
	;; [unrolled: 1-line block ×7, first 2 shown]
	s_clause 0x2
	scratch_store_b128 off, v[159:162], off
	scratch_store_b128 off, v[163:166], off offset:16
	scratch_store_b128 off, v[167:170], off offset:32
	v_dual_mov_b32 v182, v50 :: v_dual_mov_b32 v181, v49
	v_dual_mov_b32 v172, v40 :: v_dual_mov_b32 v171, v39
	;; [unrolled: 1-line block ×8, first 2 shown]
	s_delay_alu instid0(VALU_DEP_3)
	v_dual_mov_b32 v140, v176 :: v_dual_mov_b32 v141, v177
	v_dual_mov_b32 v138, v174 :: v_dual_mov_b32 v139, v175
	;; [unrolled: 1-line block ×3, first 2 shown]
	v_mov_b32_e32 v146, v182
	v_dual_mov_b32 v136, v172 :: v_dual_mov_b32 v137, v173
	v_mov_b32_e32 v138, v42
	v_dual_mov_b32 v142, v178 :: v_dual_mov_b32 v143, v179
	v_mov_b32_e32 v53, v52
	v_mov_b32_e32 v139, v43
	;; [unrolled: 1-line block ×3, first 2 shown]
	v_dual_mov_b32 v147, v159 :: v_dual_mov_b32 v148, v160
	v_mov_b32_e32 v151, v163
	v_dual_mov_b32 v149, v161 :: v_dual_mov_b32 v150, v162
	v_dual_mov_b32 v153, v165 :: v_dual_mov_b32 v152, v164
	;; [unrolled: 1-line block ×16, first 2 shown]
	v_mov_b32_e32 v122, v146
	v_dual_mov_b32 v114, v138 :: v_dual_mov_b32 v117, v141
	v_dual_mov_b32 v116, v140 :: v_dual_mov_b32 v119, v143
	v_dual_mov_b32 v118, v142 :: v_dual_mov_b32 v121, v145
	v_dual_mov_b32 v112, v136 :: v_dual_mov_b32 v115, v139
	v_dual_mov_b32 v120, v144 :: v_dual_mov_b32 v87, v123
	v_dual_mov_b32 v116, v44 :: v_dual_mov_b32 v91, v127
	v_dual_mov_b32 v88, v124 :: v_dual_mov_b32 v93, v129
	v_dual_mov_b32 v89, v125 :: v_dual_mov_b32 v96, v132
	v_dual_mov_b32 v75, v111 :: v_dual_mov_b32 v90, v126
	v_dual_mov_b32 v95, v131 :: v_dual_mov_b32 v92, v128
	v_dual_mov_b32 v97, v133 :: v_dual_mov_b32 v94, v130
	v_dual_mov_b32 v93, v57 :: v_dual_mov_b32 v98, v134
	v_dual_mov_b32 v77, v113 :: v_dual_mov_b32 v86, v122
	v_dual_mov_b32 v78, v114 :: v_dual_mov_b32 v83, v119
	v_mov_b32_e32 v82, v118
	v_dual_mov_b32 v76, v112 :: v_dual_mov_b32 v81, v117
	v_dual_mov_b32 v80, v116 :: v_dual_mov_b32 v85, v121
	v_dual_mov_b32 v84, v120 :: v_dual_mov_b32 v63, v87
	v_dual_mov_b32 v8, v142 :: v_dual_mov_b32 v11, v145
	v_dual_mov_b32 v12, v146 :: v_dual_mov_b32 v3, v137
	v_dual_mov_b32 v28, v29 :: v_dual_mov_b32 v79, v115
	v_mov_b32_e32 v81, v45
	v_dual_mov_b32 v65, v89 :: v_dual_mov_b32 v72, v96
	v_mov_b32_e32 v29, v14
	s_delay_alu instid0(VALU_DEP_3)
	v_dual_mov_b32 v110, v86 :: v_dual_mov_b32 v105, v81
	v_dual_mov_b32 v70, v94 :: v_dual_mov_b32 v73, v97
	;; [unrolled: 1-line block ×11, first 2 shown]
	v_mov_b32_e32 v106, v46
	s_clause 0x2
	scratch_store_b128 off, v[1:4], off offset:48
	scratch_store_b128 off, v[5:8], off offset:64
	scratch_store_b128 off, v[9:12], off offset:80
	v_dual_mov_b32 v100, v76 :: v_dual_mov_b32 v1, v63
	v_dual_mov_b32 v10, v72 :: v_dual_mov_b32 v3, v65
	;; [unrolled: 1-line block ×16, first 2 shown]
	v_mov_b32_e32 v26, v50
.LBB95_49:
	s_or_b32 exec_lo, exec_lo, s2
	v_mov_b32_e32 v14, v30
	s_mov_b32 s2, exec_lo
	v_cmpx_lt_f32_e32 v13, v30
	s_cbranch_execz .LBB95_51
; %bb.50:
	s_clause 0x2
	scratch_load_b128 v[1:4], off, off
	scratch_load_b128 v[5:8], off, off offset:16
	scratch_load_b128 v[9:12], off, off offset:32
	v_mov_b32_e32 v161, v54
	v_dual_mov_b32 v29, v30 :: v_dual_mov_b32 v30, v13
	v_mov_b32_e32 v54, v53
	s_waitcnt vmcnt(0)
	v_dual_mov_b32 v170, v12 :: v_dual_mov_b32 v169, v11
	v_mov_b32_e32 v162, v4
	v_dual_mov_b32 v162, v53 :: v_dual_mov_b32 v173, v42
	v_dual_mov_b32 v160, v2 :: v_dual_mov_b32 v135, v171
	;; [unrolled: 1-line block ×4, first 2 shown]
	v_mov_b32_e32 v165, v7
	s_delay_alu instid0(VALU_DEP_3)
	v_dual_mov_b32 v1, v159 :: v_dual_mov_b32 v2, v160
	v_dual_mov_b32 v136, v172 :: v_dual_mov_b32 v3, v161
	v_mov_b32_e32 v138, v174
	v_dual_mov_b32 v164, v6 :: v_dual_mov_b32 v163, v5
	s_clause 0x2
	scratch_store_b128 off, v[1:4], off
	scratch_store_b128 off, v[5:8], off offset:16
	scratch_store_b128 off, v[9:12], off offset:32
	v_dual_mov_b32 v137, v173 :: v_dual_mov_b32 v140, v176
	v_dual_mov_b32 v138, v41 :: v_dual_mov_b32 v147, v159
	;; [unrolled: 1-line block ×12, first 2 shown]
	v_mov_b32_e32 v139, v43
	v_dual_mov_b32 v123, v147 :: v_dual_mov_b32 v126, v150
	v_dual_mov_b32 v124, v148 :: v_dual_mov_b32 v111, v135
	;; [unrolled: 1-line block ×3, first 2 shown]
	s_delay_alu instid0(VALU_DEP_4)
	v_dual_mov_b32 v128, v152 :: v_dual_mov_b32 v115, v139
	v_dual_mov_b32 v116, v140 :: v_dual_mov_b32 v121, v145
	;; [unrolled: 1-line block ×6, first 2 shown]
	v_mov_b32_e32 v128, v56
	v_dual_mov_b32 v116, v44 :: v_dual_mov_b32 v87, v123
	v_dual_mov_b32 v113, v137 :: v_dual_mov_b32 v114, v138
	;; [unrolled: 1-line block ×17, first 2 shown]
	v_mov_b32_e32 v81, v45
	v_dual_mov_b32 v7, v141 :: v_dual_mov_b32 v8, v142
	v_dual_mov_b32 v9, v143 :: v_dual_mov_b32 v10, v144
	;; [unrolled: 1-line block ×5, first 2 shown]
	v_mov_b32_e32 v64, v88
	v_dual_mov_b32 v110, v86 :: v_dual_mov_b32 v109, v85
	v_dual_mov_b32 v65, v89 :: v_dual_mov_b32 v68, v92
	;; [unrolled: 1-line block ×10, first 2 shown]
	v_mov_b32_e32 v102, v78
	v_dual_mov_b32 v42, v41 :: v_dual_mov_b32 v103, v79
	v_mov_b32_e32 v100, v76
	v_mov_b32_e32 v106, v46
	s_clause 0x2
	scratch_store_b128 off, v[1:4], off offset:48
	scratch_store_b128 off, v[5:8], off offset:64
	;; [unrolled: 1-line block ×3, first 2 shown]
	v_mov_b32_e32 v1, v63
	v_mov_b32_e32 v5, v67
	v_dual_mov_b32 v3, v65 :: v_dual_mov_b32 v12, v74
	v_dual_mov_b32 v15, v99 :: v_dual_mov_b32 v4, v66
	;; [unrolled: 1-line block ×14, first 2 shown]
	v_mov_b32_e32 v24, v48
	v_mov_b32_e32 v26, v50
.LBB95_51:
	s_or_b32 exec_lo, exec_lo, s2
	v_mov_b32_e32 v13, v31
	s_mov_b32 s2, exec_lo
	v_cmpx_lt_f32_e32 v14, v31
	s_cbranch_execz .LBB95_53
; %bb.52:
	s_clause 0x2
	scratch_load_b128 v[1:4], off, off
	scratch_load_b128 v[5:8], off, off offset:16
	scratch_load_b128 v[9:12], off, off offset:32
	v_dual_mov_b32 v30, v31 :: v_dual_mov_b32 v31, v14
	v_dual_mov_b32 v13, v14 :: v_dual_mov_b32 v162, v55
	v_mov_b32_e32 v55, v54
	s_waitcnt vmcnt(2)
	v_dual_mov_b32 v161, v3 :: v_dual_mov_b32 v160, v2
	s_waitcnt vmcnt(0)
	v_dual_mov_b32 v159, v1 :: v_dual_mov_b32 v170, v12
	v_dual_mov_b32 v169, v11 :: v_dual_mov_b32 v168, v10
	;; [unrolled: 1-line block ×8, first 2 shown]
	s_delay_alu instid0(VALU_DEP_4)
	v_dual_mov_b32 v151, v163 :: v_dual_mov_b32 v156, v168
	v_dual_mov_b32 v157, v169 :: v_dual_mov_b32 v136, v172
	;; [unrolled: 1-line block ×8, first 2 shown]
	v_mov_b32_e32 v145, v181
	v_mov_b32_e32 v139, v42
	;; [unrolled: 1-line block ×3, first 2 shown]
	v_dual_mov_b32 v146, v182 :: v_dual_mov_b32 v123, v147
	v_dual_mov_b32 v111, v135 :: v_dual_mov_b32 v112, v136
	;; [unrolled: 1-line block ×3, first 2 shown]
	s_delay_alu instid0(VALU_DEP_4)
	v_dual_mov_b32 v124, v148 :: v_dual_mov_b32 v127, v151
	v_dual_mov_b32 v128, v152 :: v_dual_mov_b32 v131, v155
	;; [unrolled: 1-line block ×9, first 2 shown]
	v_mov_b32_e32 v120, v144
	v_dual_mov_b32 v116, v44 :: v_dual_mov_b32 v87, v123
	v_mov_b32_e32 v114, v138
	v_dual_mov_b32 v98, v134 :: v_dual_mov_b32 v75, v111
	v_dual_mov_b32 v88, v124 :: v_dual_mov_b32 v89, v125
	;; [unrolled: 1-line block ×3, first 2 shown]
	v_mov_b32_e32 v86, v122
	v_dual_mov_b32 v90, v126 :: v_dual_mov_b32 v91, v127
	v_dual_mov_b32 v92, v128 :: v_dual_mov_b32 v93, v129
	;; [unrolled: 1-line block ×8, first 2 shown]
	v_mov_b32_e32 v79, v115
	v_mov_b32_e32 v81, v45
	v_dual_mov_b32 v63, v87 :: v_dual_mov_b32 v66, v90
	v_dual_mov_b32 v64, v88 :: v_dual_mov_b32 v73, v97
	v_dual_mov_b32 v110, v86 :: v_dual_mov_b32 v67, v91
	v_dual_mov_b32 v70, v94 :: v_dual_mov_b32 v71, v95
	v_dual_mov_b32 v74, v98 :: v_dual_mov_b32 v107, v83
	v_dual_mov_b32 v106, v82 :: v_dual_mov_b32 v99, v75
	v_dual_mov_b32 v70, v58 :: v_dual_mov_b32 v65, v89
	v_dual_mov_b32 v68, v92 :: v_dual_mov_b32 v69, v93
	v_dual_mov_b32 v72, v96 :: v_dual_mov_b32 v109, v85
	v_mov_b32_e32 v108, v84
	v_dual_mov_b32 v106, v46 :: v_dual_mov_b32 v1, v63
	v_dual_mov_b32 v105, v81 :: v_dual_mov_b32 v104, v80
	;; [unrolled: 1-line block ×19, first 2 shown]
	v_mov_b32_e32 v26, v50
	v_mov_b32_e32 v43, v42
	s_clause 0x2
	scratch_store_b128 off, v[171:174], off offset:48
	scratch_store_b128 off, v[175:178], off offset:64
	;; [unrolled: 1-line block ×3, first 2 shown]
.LBB95_53:
	s_or_b32 exec_lo, exec_lo, s2
	v_mov_b32_e32 v14, v32
	s_mov_b32 s2, exec_lo
	v_cmpx_lt_f32_e32 v13, v32
	s_cbranch_execz .LBB95_55
; %bb.54:
	s_clause 0x2
	scratch_load_b128 v[1:4], off, off offset:48
	scratch_load_b128 v[5:8], off, off offset:64
	;; [unrolled: 1-line block ×3, first 2 shown]
	v_dual_mov_b32 v163, v56 :: v_dual_mov_b32 v14, v13
	v_dual_mov_b32 v56, v55 :: v_dual_mov_b32 v31, v32
	s_waitcnt vmcnt(2)
	v_dual_mov_b32 v138, v4 :: v_dual_mov_b32 v137, v3
	s_waitcnt vmcnt(0)
	v_dual_mov_b32 v146, v12 :: v_dual_mov_b32 v145, v11
	v_dual_mov_b32 v136, v2 :: v_dual_mov_b32 v135, v1
	;; [unrolled: 1-line block ×17, first 2 shown]
	v_mov_b32_e32 v120, v144
	v_mov_b32_e32 v116, v43
	v_dual_mov_b32 v87, v123 :: v_dual_mov_b32 v88, v124
	v_dual_mov_b32 v89, v125 :: v_dual_mov_b32 v98, v134
	v_dual_mov_b32 v75, v111 :: v_dual_mov_b32 v96, v132
	v_dual_mov_b32 v97, v133 :: v_dual_mov_b32 v86, v122
	v_dual_mov_b32 v94, v130 :: v_dual_mov_b32 v95, v131
	v_dual_mov_b32 v90, v126 :: v_dual_mov_b32 v91, v127
	v_dual_mov_b32 v92, v128 :: v_dual_mov_b32 v93, v129
	v_dual_mov_b32 v82, v118 :: v_dual_mov_b32 v83, v119
	v_dual_mov_b32 v80, v116 :: v_dual_mov_b32 v81, v117
	v_dual_mov_b32 v84, v120 :: v_dual_mov_b32 v85, v121
	v_dual_mov_b32 v93, v57 :: v_dual_mov_b32 v76, v112
	v_dual_mov_b32 v77, v113 :: v_dual_mov_b32 v78, v114
	v_mov_b32_e32 v79, v115
	v_mov_b32_e32 v81, v45
	v_dual_mov_b32 v63, v87 :: v_dual_mov_b32 v66, v90
	v_dual_mov_b32 v64, v88 :: v_dual_mov_b32 v73, v97
	;; [unrolled: 1-line block ×8, first 2 shown]
	v_mov_b32_e32 v70, v58
	v_dual_mov_b32 v106, v46 :: v_dual_mov_b32 v65, v89
	v_dual_mov_b32 v68, v92 :: v_dual_mov_b32 v105, v81
	;; [unrolled: 1-line block ×4, first 2 shown]
	v_mov_b32_e32 v100, v76
	v_dual_mov_b32 v32, v13 :: v_dual_mov_b32 v1, v63
	v_dual_mov_b32 v12, v74 :: v_dual_mov_b32 v15, v99
	v_mov_b32_e32 v26, v110
	v_dual_mov_b32 v8, v70 :: v_dual_mov_b32 v9, v71
	v_dual_mov_b32 v10, v72 :: v_dual_mov_b32 v11, v73
	;; [unrolled: 1-line block ×20, first 2 shown]
	v_mov_b32_e32 v44, v43
.LBB95_55:
	s_or_b32 exec_lo, exec_lo, s2
	v_mov_b32_e32 v13, v33
	s_mov_b32 s2, exec_lo
	v_cmpx_lt_f32_e32 v14, v33
	s_cbranch_execz .LBB95_57
; %bb.56:
	v_mov_b32_e32 v140, v45
	v_dual_mov_b32 v152, v57 :: v_dual_mov_b32 v75, v135
	v_dual_mov_b32 v87, v147 :: v_dual_mov_b32 v90, v150
	;; [unrolled: 1-line block ×3, first 2 shown]
	s_delay_alu instid0(VALU_DEP_3)
	v_dual_mov_b32 v92, v152 :: v_dual_mov_b32 v93, v153
	v_dual_mov_b32 v76, v136 :: v_dual_mov_b32 v79, v139
	;; [unrolled: 1-line block ×6, first 2 shown]
	v_mov_b32_e32 v93, v56
	v_dual_mov_b32 v84, v144 :: v_dual_mov_b32 v63, v87
	v_dual_mov_b32 v78, v138 :: v_dual_mov_b32 v81, v141
	;; [unrolled: 1-line block ×5, first 2 shown]
	s_delay_alu instid0(VALU_DEP_3) | instskip(SKIP_1) | instid1(VALU_DEP_4)
	v_dual_mov_b32 v110, v86 :: v_dual_mov_b32 v109, v85
	v_dual_mov_b32 v100, v76 :: v_dual_mov_b32 v99, v75
	v_dual_mov_b32 v108, v84 :: v_dual_mov_b32 v107, v83
	v_dual_mov_b32 v69, v93 :: v_dual_mov_b32 v70, v94
	v_dual_mov_b32 v106, v82 :: v_dual_mov_b32 v105, v81
	v_dual_mov_b32 v64, v88 :: v_dual_mov_b32 v65, v89
	v_dual_mov_b32 v67, v91 :: v_dual_mov_b32 v68, v92
	v_dual_mov_b32 v71, v95 :: v_dual_mov_b32 v72, v96
	v_dual_mov_b32 v73, v97 :: v_dual_mov_b32 v74, v98
	v_dual_mov_b32 v104, v80 :: v_dual_mov_b32 v103, v79
	v_dual_mov_b32 v102, v78 :: v_dual_mov_b32 v101, v77
	v_mov_b32_e32 v106, v46
	v_dual_mov_b32 v70, v58 :: v_dual_mov_b32 v15, v99
	v_dual_mov_b32 v1, v63 :: v_dual_mov_b32 v24, v108
	;; [unrolled: 1-line block ×3, first 2 shown]
	s_delay_alu instid0(VALU_DEP_3)
	v_dual_mov_b32 v8, v70 :: v_dual_mov_b32 v9, v71
	v_dual_mov_b32 v10, v72 :: v_dual_mov_b32 v11, v73
	;; [unrolled: 1-line block ×26, first 2 shown]
	v_mov_b32_e32 v13, v14
	v_dual_mov_b32 v134, v158 :: v_dual_mov_b32 v45, v44
	v_mov_b32_e32 v57, v56
.LBB95_57:
	s_or_b32 exec_lo, exec_lo, s2
	v_mov_b32_e32 v14, v34
	s_mov_b32 s2, exec_lo
	v_cmpx_lt_f32_e32 v13, v34
	s_cbranch_execz .LBB95_59
; %bb.58:
	v_mov_b32_e32 v129, v58
	v_dual_mov_b32 v63, v123 :: v_dual_mov_b32 v70, v130
	v_dual_mov_b32 v70, v57 :: v_dual_mov_b32 v71, v131
	;; [unrolled: 1-line block ×22, first 2 shown]
	v_mov_b32_e32 v34, v13
	v_dual_mov_b32 v3, v65 :: v_dual_mov_b32 v4, v66
	v_dual_mov_b32 v5, v67 :: v_dual_mov_b32 v6, v68
	;; [unrolled: 1-line block ×20, first 2 shown]
	v_mov_b32_e32 v14, v13
	v_mov_b32_e32 v46, v45
	;; [unrolled: 1-line block ×3, first 2 shown]
.LBB95_59:
	s_or_b32 exec_lo, exec_lo, s2
	v_mov_b32_e32 v13, v35
	s_mov_b32 s2, exec_lo
	v_cmpx_lt_f32_e32 v14, v35
	s_cbranch_execz .LBB95_61
; %bb.60:
	v_mov_b32_e32 v94, v59
	v_dual_mov_b32 v34, v35 :: v_dual_mov_b32 v35, v14
	v_mov_b32_e32 v82, v47
	v_dual_mov_b32 v1, v87 :: v_dual_mov_b32 v2, v88
	v_dual_mov_b32 v10, v96 :: v_dual_mov_b32 v7, v93
	;; [unrolled: 1-line block ×13, first 2 shown]
	v_mov_b32_e32 v5, v91
	v_mov_b32_e32 v9, v58
	v_dual_mov_b32 v12, v62 :: v_dual_mov_b32 v17, v77
	v_dual_mov_b32 v16, v76 :: v_dual_mov_b32 v19, v79
	;; [unrolled: 1-line block ×14, first 2 shown]
	v_mov_b32_e32 v47, v46
	v_mov_b32_e32 v59, v58
	;; [unrolled: 1-line block ×3, first 2 shown]
.LBB95_61:
	s_or_b32 exec_lo, exec_lo, s2
	v_mov_b32_e32 v39, v36
	s_mov_b32 s2, exec_lo
	v_cmpx_lt_f32_e32 v13, v36
	s_cbranch_execz .LBB95_63
; %bb.62:
	v_dual_mov_b32 v71, v60 :: v_dual_mov_b32 v72, v59
	v_dual_mov_b32 v73, v61 :: v_dual_mov_b32 v108, v47
	;; [unrolled: 1-line block ×17, first 2 shown]
	v_mov_b32_e32 v39, v13
.LBB95_63:
	s_or_b32 exec_lo, exec_lo, s2
	s_delay_alu instid0(VALU_DEP_1)
	v_cmp_lt_f32_e32 vcc_lo, v39, v37
	v_dual_mov_b32 v40, v28 :: v_dual_mov_b32 v43, v31
	v_dual_mov_b32 v42, v30 :: v_dual_mov_b32 v45, v33
	v_dual_cndmask_b32 v13, v25, v24 :: v_dual_cndmask_b32 v24, v24, v25
	v_dual_cndmask_b32 v14, v11, v10 :: v_dual_cndmask_b32 v49, v37, v39
	v_dual_cndmask_b32 v10, v10, v11 :: v_dual_mov_b32 v39, v27
	v_dual_cndmask_b32 v48, v36, v37 :: v_dual_mov_b32 v41, v29
	v_dual_mov_b32 v44, v32 :: v_dual_mov_b32 v47, v35
	v_mov_b32_e32 v46, v34
	v_mov_b32_e32 v50, v38
	s_mov_b32 s2, exec_lo
	v_cmpx_lt_f32_e32 v27, v28
	s_cbranch_execz .LBB95_65
; %bb.64:
	v_dual_mov_b32 v28, v40 :: v_dual_mov_b32 v29, v39
	v_dual_mov_b32 v38, v49 :: v_dual_mov_b32 v39, v50
	;; [unrolled: 1-line block ×7, first 2 shown]
	v_mov_b32_e32 v11, v15
	v_swap_b32 v15, v16
	s_delay_alu instid0(VALU_DEP_4)
	v_mov_b32_e32 v48, v37
	v_swap_b32 v1, v2
	v_dual_mov_b32 v49, v38 :: v_dual_mov_b32 v46, v35
	v_dual_mov_b32 v47, v36 :: v_dual_mov_b32 v44, v33
	;; [unrolled: 1-line block ×4, first 2 shown]
	v_mov_b32_e32 v41, v30
	v_dual_mov_b32 v39, v28 :: v_dual_mov_b32 v28, v27
.LBB95_65:
	s_or_b32 exec_lo, exec_lo, s2
	v_mov_b32_e32 v11, v14
	v_dual_mov_b32 v25, v13 :: v_dual_mov_b32 v62, v12
	v_dual_mov_b32 v74, v26 :: v_dual_mov_b32 v63, v15
	v_mov_b32_e32 v86, v26
	v_dual_mov_b32 v72, v24 :: v_dual_mov_b32 v75, v15
	v_dual_mov_b32 v110, v26 :: v_dual_mov_b32 v53, v3
	;; [unrolled: 1-line block ×61, first 2 shown]
	v_mov_b32_e32 v149, v3
	v_mov_b32_e32 v147, v1
	v_mov_b32_e32 v11, v41
	s_mov_b32 s2, exec_lo
	v_dual_mov_b32 v85, v25 :: v_dual_mov_b32 v84, v24
	v_dual_mov_b32 v83, v23 :: v_dual_mov_b32 v82, v22
	s_clause 0x2
	scratch_store_b128 off, v[1:4], off
	scratch_store_b128 off, v[5:8], off offset:16
	scratch_store_b128 off, v[9:12], off offset:32
	v_cmpx_lt_f32_e32 v28, v41
	s_cbranch_execz .LBB95_67
; %bb.66:
	v_dual_mov_b32 v158, v12 :: v_dual_mov_b32 v157, v11
	v_dual_mov_b32 v150, v4 :: v_dual_mov_b32 v149, v3
	;; [unrolled: 1-line block ×7, first 2 shown]
	s_clause 0x2
	scratch_store_b128 off, v[147:150], off
	scratch_store_b128 off, v[151:154], off offset:16
	scratch_store_b128 off, v[155:158], off offset:32
	v_dual_mov_b32 v182, v26 :: v_dual_mov_b32 v181, v25
	v_dual_mov_b32 v172, v16 :: v_dual_mov_b32 v171, v15
	;; [unrolled: 1-line block ×8, first 2 shown]
	s_delay_alu instid0(VALU_DEP_4) | instskip(SKIP_1) | instid1(VALU_DEP_4)
	v_dual_mov_b32 v160, v172 :: v_dual_mov_b32 v161, v173
	v_dual_mov_b32 v162, v174 :: v_dual_mov_b32 v163, v175
	;; [unrolled: 1-line block ×4, first 2 shown]
	v_mov_b32_e32 v170, v182
	v_dual_mov_b32 v166, v178 :: v_dual_mov_b32 v167, v179
	v_mov_b32_e32 v162, v18
	v_dual_mov_b32 v40, v41 :: v_dual_mov_b32 v41, v28
	v_mov_b32_e32 v3, v2
	v_mov_b32_e32 v17, v16
	;; [unrolled: 1-line block ×3, first 2 shown]
	v_dual_mov_b32 v137, v149 :: v_dual_mov_b32 v144, v156
	v_dual_mov_b32 v123, v159 :: v_dual_mov_b32 v136, v148
	;; [unrolled: 1-line block ×12, first 2 shown]
	v_mov_b32_e32 v133, v169
	v_dual_mov_b32 v111, v135 :: v_dual_mov_b32 v112, v136
	v_dual_mov_b32 v99, v123 :: v_dual_mov_b32 v100, v124
	;; [unrolled: 1-line block ×12, first 2 shown]
	v_mov_b32_e32 v104, v20
	v_dual_mov_b32 v116, v6 :: v_dual_mov_b32 v75, v99
	v_mov_b32_e32 v87, v111
	v_dual_mov_b32 v93, v117 :: v_dual_mov_b32 v78, v102
	s_delay_alu instid0(VALU_DEP_3)
	v_dual_mov_b32 v81, v105 :: v_dual_mov_b32 v92, v116
	v_dual_mov_b32 v90, v114 :: v_dual_mov_b32 v91, v115
	;; [unrolled: 1-line block ×11, first 2 shown]
	v_mov_b32_e32 v51, v87
	v_dual_mov_b32 v63, v75 :: v_dual_mov_b32 v66, v78
	v_dual_mov_b32 v55, v91 :: v_dual_mov_b32 v58, v94
	;; [unrolled: 1-line block ×13, first 2 shown]
	v_mov_b32_e32 v60, v10
	v_dual_mov_b32 v61, v14 :: v_dual_mov_b32 v62, v12
	v_dual_mov_b32 v70, v22 :: v_dual_mov_b32 v71, v23
	;; [unrolled: 1-line block ×3, first 2 shown]
	v_mov_b32_e32 v74, v26
.LBB95_67:
	s_or_b32 exec_lo, exec_lo, s2
	v_mov_b32_e32 v1, v42
	v_cmp_lt_f32_e32 vcc_lo, v11, v42
	s_mov_b32 s2, exec_lo
	s_clause 0x2
	scratch_load_b128 v[27:30], off, off
	scratch_load_b128 v[31:34], off, off offset:16
	scratch_load_b128 v[35:38], off, off offset:32
	s_and_b32 s3, s2, vcc_lo
	s_delay_alu instid0(SALU_CYCLE_1)
	s_mov_b32 exec_lo, s3
	s_cbranch_execz .LBB95_69
; %bb.68:
	v_mov_b32_e32 v173, v18
	s_waitcnt vmcnt(2)
	v_mov_b32_e32 v29, v4
	v_dual_mov_b32 v159, v171 :: v_dual_mov_b32 v162, v174
	s_waitcnt vmcnt(0)
	v_dual_mov_b32 v158, v38 :: v_dual_mov_b32 v157, v37
	v_dual_mov_b32 v156, v36 :: v_dual_mov_b32 v147, v27
	v_dual_mov_b32 v160, v172 :: v_dual_mov_b32 v153, v33
	v_dual_mov_b32 v152, v32 :: v_dual_mov_b32 v151, v31
	v_dual_mov_b32 v150, v30 :: v_dual_mov_b32 v149, v29
	v_dual_mov_b32 v148, v28 :: v_dual_mov_b32 v163, v175
	v_mov_b32_e32 v168, v180
	v_dual_mov_b32 v164, v176 :: v_dual_mov_b32 v165, v177
	v_dual_mov_b32 v170, v182 :: v_dual_mov_b32 v155, v35
	;; [unrolled: 1-line block ×4, first 2 shown]
	v_mov_b32_e32 v162, v17
	v_dual_mov_b32 v169, v181 :: v_dual_mov_b32 v150, v3
	v_dual_mov_b32 v123, v159 :: v_dual_mov_b32 v124, v160
	;; [unrolled: 1-line block ×3, first 2 shown]
	s_delay_alu instid0(VALU_DEP_3)
	v_dual_mov_b32 v137, v149 :: v_dual_mov_b32 v138, v150
	v_dual_mov_b32 v139, v151 :: v_dual_mov_b32 v140, v152
	;; [unrolled: 1-line block ×10, first 2 shown]
	v_mov_b32_e32 v127, v19
	v_mov_b32_e32 v139, v5
	v_dual_mov_b32 v99, v123 :: v_dual_mov_b32 v100, v124
	v_dual_mov_b32 v111, v135 :: v_dual_mov_b32 v114, v138
	;; [unrolled: 1-line block ×4, first 2 shown]
	v_mov_b32_e32 v120, v144
	v_dual_mov_b32 v104, v128 :: v_dual_mov_b32 v105, v129
	v_dual_mov_b32 v110, v134 :: v_dual_mov_b32 v115, v139
	;; [unrolled: 1-line block ×22, first 2 shown]
	v_mov_b32_e32 v93, v7
	v_dual_mov_b32 v63, v75 :: v_dual_mov_b32 v68, v80
	v_dual_mov_b32 v64, v76 :: v_dual_mov_b32 v51, v87
	;; [unrolled: 1-line block ×3, first 2 shown]
	s_delay_alu instid0(VALU_DEP_4)
	v_dual_mov_b32 v58, v94 :: v_dual_mov_b32 v57, v93
	v_dual_mov_b32 v60, v96 :: v_dual_mov_b32 v59, v95
	;; [unrolled: 1-line block ×8, first 2 shown]
	v_mov_b32_e32 v60, v10
	v_dual_mov_b32 v52, v88 :: v_dual_mov_b32 v53, v89
	v_dual_mov_b32 v56, v92 :: v_dual_mov_b32 v59, v9
	;; [unrolled: 1-line block ×3, first 2 shown]
	v_mov_b32_e32 v72, v24
	v_dual_mov_b32 v70, v22 :: v_dual_mov_b32 v71, v23
	v_dual_mov_b32 v73, v13 :: v_dual_mov_b32 v74, v26
	;; [unrolled: 1-line block ×3, first 2 shown]
	v_mov_b32_e32 v4, v3
.LBB95_69:
	s_or_b32 exec_lo, exec_lo, s2
	v_mov_b32_e32 v2, v43
	s_mov_b32 s2, exec_lo
	v_cmpx_lt_f32_e32 v1, v43
	s_cbranch_execz .LBB95_71
; %bb.70:
	v_mov_b32_e32 v174, v19
	s_waitcnt vmcnt(2)
	v_dual_mov_b32 v30, v5 :: v_dual_mov_b32 v123, v171
	s_waitcnt vmcnt(0)
	v_dual_mov_b32 v146, v38 :: v_dual_mov_b32 v143, v35
	v_dual_mov_b32 v145, v37 :: v_dual_mov_b32 v142, v34
	s_delay_alu instid0(VALU_DEP_3)
	v_dual_mov_b32 v139, v31 :: v_dual_mov_b32 v138, v30
	v_dual_mov_b32 v135, v27 :: v_dual_mov_b32 v124, v172
	;; [unrolled: 1-line block ×5, first 2 shown]
	v_mov_b32_e32 v127, v18
	v_dual_mov_b32 v134, v182 :: v_dual_mov_b32 v139, v4
	v_dual_mov_b32 v144, v36 :: v_dual_mov_b32 v141, v33
	;; [unrolled: 1-line block ×5, first 2 shown]
	s_delay_alu instid0(VALU_DEP_3)
	v_dual_mov_b32 v111, v135 :: v_dual_mov_b32 v112, v136
	v_dual_mov_b32 v99, v123 :: v_dual_mov_b32 v100, v124
	;; [unrolled: 1-line block ×12, first 2 shown]
	v_mov_b32_e32 v104, v20
	v_dual_mov_b32 v116, v6 :: v_dual_mov_b32 v75, v99
	v_mov_b32_e32 v87, v111
	v_dual_mov_b32 v93, v117 :: v_dual_mov_b32 v78, v102
	s_delay_alu instid0(VALU_DEP_3)
	v_dual_mov_b32 v81, v105 :: v_dual_mov_b32 v92, v116
	v_dual_mov_b32 v80, v104 :: v_dual_mov_b32 v83, v107
	;; [unrolled: 1-line block ×11, first 2 shown]
	v_mov_b32_e32 v63, v75
	s_delay_alu instid0(VALU_DEP_4)
	v_dual_mov_b32 v51, v87 :: v_dual_mov_b32 v52, v88
	v_dual_mov_b32 v71, v83 :: v_dual_mov_b32 v72, v84
	;; [unrolled: 1-line block ×14, first 2 shown]
	v_mov_b32_e32 v68, v80
	v_dual_mov_b32 v58, v8 :: v_dual_mov_b32 v59, v9
	v_dual_mov_b32 v60, v10 :: v_dual_mov_b32 v71, v23
	;; [unrolled: 1-line block ×16, first 2 shown]
	v_mov_b32_e32 v2, v1
.LBB95_71:
	s_or_b32 exec_lo, exec_lo, s2
	v_mov_b32_e32 v1, v44
	s_mov_b32 s2, exec_lo
	s_delay_alu instid0(VALU_DEP_2)
	v_cmpx_lt_f32_e32 v2, v44
	s_cbranch_execz .LBB95_73
; %bb.72:
	v_mov_b32_e32 v163, v20
	v_mov_b32_e32 v151, v6
	v_dual_mov_b32 v99, v159 :: v_dual_mov_b32 v100, v160
	v_dual_mov_b32 v111, v147 :: v_dual_mov_b32 v112, v148
	;; [unrolled: 1-line block ×10, first 2 shown]
	v_mov_b32_e32 v108, v168
	v_dual_mov_b32 v104, v164 :: v_dual_mov_b32 v107, v167
	v_mov_b32_e32 v116, v5
	v_dual_mov_b32 v109, v169 :: v_dual_mov_b32 v104, v19
	v_dual_mov_b32 v87, v111 :: v_dual_mov_b32 v88, v112
	;; [unrolled: 1-line block ×13, first 2 shown]
	v_mov_b32_e32 v93, v7
	v_dual_mov_b32 v43, v44 :: v_dual_mov_b32 v44, v2
	v_mov_b32_e32 v81, v21
	v_dual_mov_b32 v51, v87 :: v_dual_mov_b32 v56, v92
	v_dual_mov_b32 v52, v88 :: v_dual_mov_b32 v63, v75
	;; [unrolled: 1-line block ×14, first 2 shown]
	v_mov_b32_e32 v136, v148
	v_dual_mov_b32 v54, v90 :: v_dual_mov_b32 v59, v9
	v_dual_mov_b32 v62, v12 :: v_dual_mov_b32 v61, v14
	v_mov_b32_e32 v72, v24
	v_dual_mov_b32 v70, v22 :: v_dual_mov_b32 v71, v23
	v_dual_mov_b32 v73, v13 :: v_dual_mov_b32 v74, v26
	v_dual_mov_b32 v125, v161 :: v_dual_mov_b32 v126, v162
	v_dual_mov_b32 v127, v163 :: v_dual_mov_b32 v128, v164
	v_dual_mov_b32 v129, v165 :: v_dual_mov_b32 v130, v166
	v_dual_mov_b32 v131, v167 :: v_dual_mov_b32 v132, v168
	v_dual_mov_b32 v133, v169 :: v_dual_mov_b32 v134, v170
	v_dual_mov_b32 v137, v149 :: v_dual_mov_b32 v138, v150
	v_dual_mov_b32 v139, v151 :: v_dual_mov_b32 v140, v152
	v_dual_mov_b32 v141, v153 :: v_dual_mov_b32 v142, v154
	v_dual_mov_b32 v143, v155 :: v_dual_mov_b32 v144, v156
	v_dual_mov_b32 v145, v157 :: v_dual_mov_b32 v146, v158
	v_dual_mov_b32 v1, v2 :: v_dual_mov_b32 v20, v19
	v_mov_b32_e32 v6, v5
.LBB95_73:
	s_or_b32 exec_lo, exec_lo, s2
	v_mov_b32_e32 v2, v45
	s_mov_b32 s2, exec_lo
	v_cmpx_lt_f32_e32 v1, v45
	s_cbranch_execz .LBB95_75
; %bb.74:
	v_mov_b32_e32 v140, v7
	v_dual_mov_b32 v128, v21 :: v_dual_mov_b32 v87, v135
	v_mov_b32_e32 v93, v141
	v_mov_b32_e32 v93, v6
	;; [unrolled: 1-line block ×3, first 2 shown]
	v_dual_mov_b32 v92, v140 :: v_dual_mov_b32 v95, v143
	v_dual_mov_b32 v96, v144 :: v_dual_mov_b32 v97, v145
	;; [unrolled: 1-line block ×42, first 2 shown]
	v_mov_b32_e32 v2, v1
.LBB95_75:
	s_or_b32 exec_lo, exec_lo, s2
	v_mov_b32_e32 v1, v46
	s_mov_b32 s2, exec_lo
	s_delay_alu instid0(VALU_DEP_2)
	v_cmpx_lt_f32_e32 v2, v46
	s_cbranch_execz .LBB95_77
; %bb.76:
	v_mov_b32_e32 v117, v8
	v_mov_b32_e32 v45, v46
	;; [unrolled: 1-line block ×4, first 2 shown]
	v_dual_mov_b32 v51, v111 :: v_dual_mov_b32 v54, v114
	v_dual_mov_b32 v56, v116 :: v_dual_mov_b32 v63, v99
	v_dual_mov_b32 v66, v102 :: v_dual_mov_b32 v53, v113
	v_dual_mov_b32 v58, v118 :: v_dual_mov_b32 v55, v115
	v_dual_mov_b32 v60, v120 :: v_dual_mov_b32 v57, v117
	v_dual_mov_b32 v62, v122 :: v_dual_mov_b32 v59, v119
	v_dual_mov_b32 v60, v10 :: v_dual_mov_b32 v61, v121
	v_mov_b32_e32 v58, v7
	v_dual_mov_b32 v67, v103 :: v_dual_mov_b32 v70, v106
	v_dual_mov_b32 v69, v105 :: v_dual_mov_b32 v72, v108
	v_dual_mov_b32 v71, v107 :: v_dual_mov_b32 v74, v110
	v_dual_mov_b32 v73, v109 :: v_dual_mov_b32 v72, v24
	v_dual_mov_b32 v75, v99 :: v_dual_mov_b32 v76, v100
	v_dual_mov_b32 v87, v111 :: v_dual_mov_b32 v88, v112
	v_dual_mov_b32 v52, v112 :: v_dual_mov_b32 v59, v9
	v_dual_mov_b32 v62, v12 :: v_dual_mov_b32 v61, v14
	v_dual_mov_b32 v64, v100 :: v_dual_mov_b32 v65, v101
	v_mov_b32_e32 v68, v104
	v_dual_mov_b32 v70, v21 :: v_dual_mov_b32 v71, v23
	v_dual_mov_b32 v73, v13 :: v_dual_mov_b32 v74, v26
	;; [unrolled: 10-line block ×3, first 2 shown]
	v_dual_mov_b32 v95, v119 :: v_dual_mov_b32 v96, v120
	v_dual_mov_b32 v97, v121 :: v_dual_mov_b32 v98, v122
.LBB95_77:
	s_or_b32 exec_lo, exec_lo, s2
	v_mov_b32_e32 v2, v47
	s_mov_b32 s2, exec_lo
	v_cmpx_lt_f32_e32 v1, v47
	s_cbranch_execz .LBB95_79
; %bb.78:
	v_dual_mov_b32 v83, v22 :: v_dual_mov_b32 v84, v24
	v_dual_mov_b32 v94, v9 :: v_dual_mov_b32 v95, v8
	;; [unrolled: 1-line block ×4, first 2 shown]
	v_mov_b32_e32 v86, v26
	v_dual_mov_b32 v46, v47 :: v_dual_mov_b32 v47, v1
	v_dual_mov_b32 v98, v12 :: v_dual_mov_b32 v63, v75
	;; [unrolled: 1-line block ×13, first 2 shown]
	v_mov_b32_e32 v62, v98
	v_mov_b32_e32 v2, v1
.LBB95_79:
	s_or_b32 exec_lo, exec_lo, s2
	s_delay_alu instid0(VALU_DEP_1)
	v_cmp_lt_f32_e32 vcc_lo, v2, v48
	v_dual_mov_b32 v1, v39 :: v_dual_mov_b32 v6, v44
	v_dual_mov_b32 v3, v41 :: v_dual_mov_b32 v8, v46
	s_waitcnt vmcnt(0)
	v_dual_cndmask_b32 v37, v72, v71 :: v_dual_mov_b32 v4, v42
	v_dual_cndmask_b32 v71, v71, v72 :: v_dual_cndmask_b32 v38, v60, v59
	v_dual_cndmask_b32 v59, v59, v60 :: v_dual_cndmask_b32 v10, v48, v2
	v_dual_cndmask_b32 v9, v47, v48 :: v_dual_mov_b32 v2, v40
	v_dual_mov_b32 v5, v43 :: v_dual_mov_b32 v12, v50
	v_mov_b32_e32 v7, v45
	v_mov_b32_e32 v11, v49
	s_mov_b32 s2, exec_lo
	v_cmpx_lt_f32_e32 v39, v40
	s_cbranch_execz .LBB95_81
; %bb.80:
	v_dual_mov_b32 v13, v2 :: v_dual_mov_b32 v14, v1
	v_dual_mov_b32 v15, v3 :: v_dual_mov_b32 v16, v4
	;; [unrolled: 1-line block ×6, first 2 shown]
	v_mov_b32_e32 v25, v63
	v_dual_mov_b32 v26, v51 :: v_dual_mov_b32 v1, v13
	v_swap_b32 v63, v64
	v_swap_b32 v51, v52
	v_dual_mov_b32 v2, v14 :: v_dual_mov_b32 v3, v15
	v_dual_mov_b32 v4, v16 :: v_dual_mov_b32 v5, v17
	;; [unrolled: 1-line block ×5, first 2 shown]
	v_mov_b32_e32 v12, v24
	v_mov_b32_e32 v40, v39
.LBB95_81:
	s_or_b32 exec_lo, exec_lo, s2
	v_mov_b32_e32 v60, v38
	v_dual_mov_b32 v72, v37 :: v_dual_mov_b32 v13, v51
	v_dual_mov_b32 v25, v63 :: v_dual_mov_b32 v98, v74
	;; [unrolled: 1-line block ×60, first 2 shown]
	s_mov_b32 s2, exec_lo
	v_dual_mov_b32 v96, v72 :: v_dual_mov_b32 v93, v69
	v_cmpx_lt_f32_e32 v40, v3
	s_cbranch_execz .LBB95_83
; %bb.82:
	v_dual_mov_b32 v134, v62 :: v_dual_mov_b32 v133, v61
	v_dual_mov_b32 v124, v52 :: v_dual_mov_b32 v123, v51
	v_mov_b32_e32 v124, v53
	v_dual_mov_b32 v128, v56 :: v_dual_mov_b32 v127, v55
	v_dual_mov_b32 v132, v60 :: v_dual_mov_b32 v131, v59
	;; [unrolled: 1-line block ×11, first 2 shown]
	v_mov_b32_e32 v141, v69
	v_dual_mov_b32 v136, v65 :: v_dual_mov_b32 v137, v64
	v_dual_mov_b32 v160, v124 :: v_dual_mov_b32 v159, v123
	;; [unrolled: 1-line block ×40, first 2 shown]
	v_mov_b32_e32 v22, v84
	v_dual_mov_b32 v22, v38 :: v_dual_mov_b32 v25, v87
	v_dual_mov_b32 v16, v78 :: v_dual_mov_b32 v19, v81
	;; [unrolled: 1-line block ×16, first 2 shown]
	v_mov_b32_e32 v35, v73
	v_dual_mov_b32 v34, v37 :: v_dual_mov_b32 v39, v40
	v_dual_mov_b32 v36, v74 :: v_dual_mov_b32 v65, v64
	v_mov_b32_e32 v53, v52
.LBB95_83:
	s_or_b32 exec_lo, exec_lo, s2
	v_mov_b32_e32 v40, v4
	s_mov_b32 s2, exec_lo
	v_cmpx_lt_f32_e32 v39, v4
	s_cbranch_execz .LBB95_85
; %bb.84:
	v_mov_b32_e32 v137, v66
	v_mov_b32_e32 v125, v54
	;; [unrolled: 1-line block ×4, first 2 shown]
	v_dual_mov_b32 v170, v134 :: v_dual_mov_b32 v169, v133
	v_dual_mov_b32 v168, v132 :: v_dual_mov_b32 v159, v123
	;; [unrolled: 1-line block ×9, first 2 shown]
	v_mov_b32_e32 v157, v145
	v_dual_mov_b32 v155, v143 :: v_dual_mov_b32 v152, v140
	v_mov_b32_e32 v162, v53
	v_mov_b32_e32 v149, v137
	v_dual_mov_b32 v150, v65 :: v_dual_mov_b32 v111, v159
	v_dual_mov_b32 v112, v160 :: v_dual_mov_b32 v99, v147
	;; [unrolled: 1-line block ×13, first 2 shown]
	v_mov_b32_e32 v115, v55
	v_dual_mov_b32 v87, v99 :: v_dual_mov_b32 v88, v100
	v_dual_mov_b32 v75, v111 :: v_dual_mov_b32 v78, v114
	;; [unrolled: 1-line block ×3, first 2 shown]
	s_delay_alu instid0(VALU_DEP_4)
	v_dual_mov_b32 v80, v116 :: v_dual_mov_b32 v79, v115
	v_dual_mov_b32 v82, v118 :: v_dual_mov_b32 v81, v117
	;; [unrolled: 1-line block ×6, first 2 shown]
	v_mov_b32_e32 v96, v108
	v_dual_mov_b32 v92, v104 :: v_dual_mov_b32 v93, v105
	v_dual_mov_b32 v98, v110 :: v_dual_mov_b32 v95, v107
	;; [unrolled: 1-line block ×21, first 2 shown]
	v_mov_b32_e32 v34, v37
	v_dual_mov_b32 v35, v73 :: v_dual_mov_b32 v36, v74
	v_mov_b32_e32 v40, v39
	v_mov_b32_e32 v66, v65
	v_mov_b32_e32 v54, v53
.LBB95_85:
	s_or_b32 exec_lo, exec_lo, s2
	v_mov_b32_e32 v39, v5
	s_mov_b32 s2, exec_lo
	v_cmpx_lt_f32_e32 v40, v5
	s_cbranch_execz .LBB95_87
; %bb.86:
	v_mov_b32_e32 v126, v55
	v_mov_b32_e32 v111, v123
	;; [unrolled: 1-line block ×3, first 2 shown]
	v_dual_mov_b32 v115, v54 :: v_dual_mov_b32 v116, v128
	v_dual_mov_b32 v138, v67 :: v_dual_mov_b32 v113, v125
	v_mov_b32_e32 v112, v124
	v_dual_mov_b32 v118, v130 :: v_dual_mov_b32 v119, v131
	v_dual_mov_b32 v120, v132 :: v_dual_mov_b32 v121, v133
	;; [unrolled: 1-line block ×24, first 2 shown]
	v_mov_b32_e32 v22, v84
	v_dual_mov_b32 v22, v38 :: v_dual_mov_b32 v25, v87
	v_dual_mov_b32 v16, v78 :: v_dual_mov_b32 v19, v81
	;; [unrolled: 1-line block ×18, first 2 shown]
	v_mov_b32_e32 v35, v73
	v_dual_mov_b32 v34, v37 :: v_dual_mov_b32 v155, v143
	v_dual_mov_b32 v36, v74 :: v_dual_mov_b32 v157, v145
	;; [unrolled: 1-line block ×12, first 2 shown]
	v_mov_b32_e32 v55, v54
.LBB95_87:
	s_or_b32 exec_lo, exec_lo, s2
	v_mov_b32_e32 v40, v6
	s_mov_b32 s2, exec_lo
	v_cmpx_lt_f32_e32 v39, v6
	s_cbranch_execz .LBB95_89
; %bb.88:
	v_mov_b32_e32 v163, v56
	v_dual_mov_b32 v75, v159 :: v_dual_mov_b32 v80, v164
	v_dual_mov_b32 v80, v55 :: v_dual_mov_b32 v81, v165
	;; [unrolled: 1-line block ×7, first 2 shown]
	v_mov_b32_e32 v85, v169
	v_dual_mov_b32 v89, v149 :: v_dual_mov_b32 v92, v152
	v_dual_mov_b32 v91, v151 :: v_dual_mov_b32 v94, v154
	;; [unrolled: 1-line block ×6, first 2 shown]
	v_mov_b32_e32 v88, v148
	v_mov_b32_e32 v6, v39
	s_delay_alu instid0(VALU_DEP_3) | instskip(NEXT) | instid1(VALU_DEP_3)
	v_dual_mov_b32 v13, v75 :: v_dual_mov_b32 v14, v76
	v_dual_mov_b32 v25, v87 :: v_dual_mov_b32 v26, v88
	v_dual_mov_b32 v19, v81 :: v_dual_mov_b32 v20, v82
	v_dual_mov_b32 v21, v83 :: v_dual_mov_b32 v22, v84
	v_dual_mov_b32 v23, v85 :: v_dual_mov_b32 v24, v86
	v_dual_mov_b32 v31, v93 :: v_dual_mov_b32 v32, v94
	v_dual_mov_b32 v33, v95 :: v_dual_mov_b32 v34, v96
	v_dual_mov_b32 v35, v97 :: v_dual_mov_b32 v36, v98
	v_dual_mov_b32 v99, v147 :: v_dual_mov_b32 v100, v148
	v_dual_mov_b32 v111, v159 :: v_dual_mov_b32 v112, v160
	v_dual_mov_b32 v15, v77 :: v_dual_mov_b32 v16, v78
	v_dual_mov_b32 v17, v79 :: v_dual_mov_b32 v18, v80
	v_dual_mov_b32 v19, v57 :: v_dual_mov_b32 v20, v58
	v_dual_mov_b32 v21, v59 :: v_dual_mov_b32 v22, v38
	v_dual_mov_b32 v23, v61 :: v_dual_mov_b32 v24, v62
	v_dual_mov_b32 v27, v89 :: v_dual_mov_b32 v28, v90
	v_dual_mov_b32 v29, v91 :: v_dual_mov_b32 v30, v92
	v_dual_mov_b32 v31, v69 :: v_dual_mov_b32 v32, v70
	v_dual_mov_b32 v33, v71 :: v_dual_mov_b32 v34, v37
	v_dual_mov_b32 v35, v73 :: v_dual_mov_b32 v36, v74
	v_dual_mov_b32 v101, v149 :: v_dual_mov_b32 v102, v150
	v_dual_mov_b32 v103, v151 :: v_dual_mov_b32 v104, v152
	v_dual_mov_b32 v105, v153 :: v_dual_mov_b32 v106, v154
	v_dual_mov_b32 v107, v155 :: v_dual_mov_b32 v108, v156
	v_dual_mov_b32 v109, v157 :: v_dual_mov_b32 v110, v158
	v_dual_mov_b32 v113, v161 :: v_dual_mov_b32 v114, v162
	v_dual_mov_b32 v115, v163 :: v_dual_mov_b32 v116, v164
	v_dual_mov_b32 v117, v165 :: v_dual_mov_b32 v118, v166
	v_dual_mov_b32 v119, v167 :: v_dual_mov_b32 v120, v168
	v_dual_mov_b32 v121, v169 :: v_dual_mov_b32 v122, v170
	v_mov_b32_e32 v40, v39
	v_mov_b32_e32 v68, v67
	;; [unrolled: 1-line block ×3, first 2 shown]
.LBB95_89:
	s_or_b32 exec_lo, exec_lo, s2
	v_mov_b32_e32 v39, v7
	s_mov_b32 s2, exec_lo
	v_cmpx_lt_f32_e32 v40, v7
	s_cbranch_execz .LBB95_91
; %bb.90:
	v_mov_b32_e32 v116, v57
	v_dual_mov_b32 v6, v7 :: v_dual_mov_b32 v7, v40
	v_dual_mov_b32 v104, v69 :: v_dual_mov_b32 v13, v111
	v_mov_b32_e32 v22, v120
	v_dual_mov_b32 v22, v38 :: v_dual_mov_b32 v25, v99
	v_mov_b32_e32 v34, v108
	v_dual_mov_b32 v34, v37 :: v_dual_mov_b32 v87, v99
	v_dual_mov_b32 v16, v114 :: v_dual_mov_b32 v19, v117
	;; [unrolled: 1-line block ×12, first 2 shown]
	v_mov_b32_e32 v23, v61
	v_dual_mov_b32 v21, v59 :: v_dual_mov_b32 v24, v62
	v_dual_mov_b32 v27, v101 :: v_dual_mov_b32 v26, v100
	;; [unrolled: 1-line block ×3, first 2 shown]
	v_mov_b32_e32 v35, v73
	v_dual_mov_b32 v33, v71 :: v_dual_mov_b32 v36, v74
	v_dual_mov_b32 v89, v101 :: v_dual_mov_b32 v88, v100
	;; [unrolled: 1-line block ×9, first 2 shown]
	v_mov_b32_e32 v39, v40
	v_mov_b32_e32 v69, v68
	v_dual_mov_b32 v57, v56 :: v_dual_mov_b32 v94, v106
	v_dual_mov_b32 v97, v109 :: v_dual_mov_b32 v82, v118
	;; [unrolled: 1-line block ×3, first 2 shown]
.LBB95_91:
	s_or_b32 exec_lo, exec_lo, s2
	v_mov_b32_e32 v40, v8
	s_mov_b32 s2, exec_lo
	v_cmpx_lt_f32_e32 v39, v8
	s_cbranch_execz .LBB95_93
; %bb.92:
	v_dual_mov_b32 v81, v58 :: v_dual_mov_b32 v82, v57
	v_dual_mov_b32 v83, v59 :: v_dual_mov_b32 v84, v38
	;; [unrolled: 1-line block ×19, first 2 shown]
	v_mov_b32_e32 v40, v39
.LBB95_93:
	s_or_b32 exec_lo, exec_lo, s2
	s_delay_alu instid0(VALU_DEP_1)
	v_cmp_lt_f32_e32 vcc_lo, v40, v9
	v_dual_mov_b32 v38, v2 :: v_dual_mov_b32 v41, v5
	v_dual_mov_b32 v42, v6 :: v_dual_mov_b32 v47, v11
	v_dual_cndmask_b32 v145, v33, v32 :: v_dual_cndmask_b32 v32, v32, v33
	v_dual_cndmask_b32 v146, v21, v20 :: v_dual_mov_b32 v39, v3
	v_dual_cndmask_b32 v20, v20, v21 :: v_dual_cndmask_b32 v45, v9, v40
	v_dual_cndmask_b32 v44, v8, v9 :: v_dual_mov_b32 v37, v1
	v_dual_mov_b32 v40, v4 :: v_dual_mov_b32 v43, v7
	v_mov_b32_e32 v46, v10
	v_mov_b32_e32 v48, v12
	s_mov_b32 s2, exec_lo
	v_cmpx_lt_f32_e32 v1, v2
	s_cbranch_execz .LBB95_95
; %bb.94:
	v_dual_mov_b32 v49, v38 :: v_dual_mov_b32 v50, v37
	v_dual_mov_b32 v51, v39 :: v_dual_mov_b32 v52, v40
	;; [unrolled: 1-line block ×6, first 2 shown]
	v_mov_b32_e32 v3, v25
	v_mov_b32_e32 v4, v13
	v_dual_mov_b32 v37, v49 :: v_dual_mov_b32 v40, v52
	v_swap_b32 v25, v26
	v_swap_b32 v13, v14
	v_dual_mov_b32 v38, v50 :: v_dual_mov_b32 v39, v51
	v_dual_mov_b32 v41, v53 :: v_dual_mov_b32 v42, v54
	;; [unrolled: 1-line block ×5, first 2 shown]
	v_mov_b32_e32 v2, v1
.LBB95_95:
	s_or_b32 exec_lo, exec_lo, s2
	v_mov_b32_e32 v21, v146
	v_dual_mov_b32 v33, v145 :: v_dual_mov_b32 v60, v24
	v_dual_mov_b32 v72, v36 :: v_dual_mov_b32 v61, v25
	;; [unrolled: 1-line block ×43, first 2 shown]
	v_mov_b32_e32 v97, v13
	v_mov_b32_e32 v1, v39
	s_mov_b32 s2, exec_lo
	v_dual_mov_b32 v95, v35 :: v_dual_mov_b32 v94, v34
	v_dual_mov_b32 v93, v33 :: v_dual_mov_b32 v92, v32
	;; [unrolled: 1-line block ×5, first 2 shown]
	v_cmpx_lt_f32_e32 v2, v39
	s_cbranch_execz .LBB95_97
; %bb.96:
	v_dual_mov_b32 v108, v24 :: v_dual_mov_b32 v107, v23
	v_dual_mov_b32 v98, v14 :: v_dual_mov_b32 v97, v13
	v_mov_b32_e32 v98, v15
	v_dual_mov_b32 v104, v20 :: v_dual_mov_b32 v103, v19
	v_dual_mov_b32 v100, v16 :: v_dual_mov_b32 v99, v15
	;; [unrolled: 1-line block ×26, first 2 shown]
	v_mov_b32_e32 v84, v144
	v_dual_mov_b32 v74, v134 :: v_dual_mov_b32 v77, v137
	v_mov_b32_e32 v75, v135
	v_dual_mov_b32 v38, v39 :: v_dual_mov_b32 v85, v121
	v_dual_mov_b32 v76, v136 :: v_dual_mov_b32 v79, v139
	v_dual_mov_b32 v78, v138 :: v_dual_mov_b32 v81, v141
	v_dual_mov_b32 v82, v142 :: v_dual_mov_b32 v77, v17
	v_dual_mov_b32 v88, v124 :: v_dual_mov_b32 v89, v125
	v_dual_mov_b32 v90, v126 :: v_dual_mov_b32 v91, v127
	v_dual_mov_b32 v92, v128 :: v_dual_mov_b32 v93, v129
	v_dual_mov_b32 v94, v130 :: v_dual_mov_b32 v95, v131
	v_dual_mov_b32 v96, v132 :: v_dual_mov_b32 v89, v29
	v_dual_mov_b32 v86, v122 :: v_dual_mov_b32 v87, v123
	v_mov_b32_e32 v39, v2
	v_dual_mov_b32 v49, v73 :: v_dual_mov_b32 v50, v74
	v_dual_mov_b32 v59, v83 :: v_dual_mov_b32 v60, v84
	v_dual_mov_b32 v60, v24 :: v_dual_mov_b32 v61, v85
	v_dual_mov_b32 v53, v77 :: v_dual_mov_b32 v54, v78
	v_dual_mov_b32 v55, v79 :: v_dual_mov_b32 v56, v80
	v_dual_mov_b32 v57, v81 :: v_dual_mov_b32 v58, v82
	v_dual_mov_b32 v66, v90 :: v_dual_mov_b32 v67, v91
	v_dual_mov_b32 v68, v92 :: v_dual_mov_b32 v69, v93
	v_dual_mov_b32 v70, v94 :: v_dual_mov_b32 v71, v95
	v_dual_mov_b32 v72, v96 :: v_dual_mov_b32 v67, v31
	v_dual_mov_b32 v51, v75 :: v_dual_mov_b32 v52, v76
	v_dual_mov_b32 v54, v18 :: v_dual_mov_b32 v55, v19
	v_dual_mov_b32 v56, v20 :: v_dual_mov_b32 v57, v146
	v_dual_mov_b32 v58, v22 :: v_dual_mov_b32 v59, v23
	v_dual_mov_b32 v62, v86 :: v_dual_mov_b32 v63, v87
	v_dual_mov_b32 v64, v88 :: v_dual_mov_b32 v65, v89
	v_dual_mov_b32 v66, v30 :: v_dual_mov_b32 v69, v145
	v_dual_mov_b32 v68, v32 :: v_dual_mov_b32 v71, v35
	v_mov_b32_e32 v70, v34
	v_dual_mov_b32 v72, v36 :: v_dual_mov_b32 v1, v2
	v_mov_b32_e32 v27, v26
	v_mov_b32_e32 v15, v14
.LBB95_97:
	s_or_b32 exec_lo, exec_lo, s2
	v_mov_b32_e32 v2, v40
	s_mov_b32 s2, exec_lo
	v_cmpx_lt_f32_e32 v1, v40
	s_cbranch_execz .LBB95_99
; %bb.98:
	v_mov_b32_e32 v99, v16
	v_mov_b32_e32 v144, v108
	;; [unrolled: 1-line block ×3, first 2 shown]
	v_dual_mov_b32 v136, v15 :: v_dual_mov_b32 v111, v28
	v_dual_mov_b32 v142, v106 :: v_dual_mov_b32 v133, v97
	v_dual_mov_b32 v132, v120 :: v_dual_mov_b32 v121, v109
	v_dual_mov_b32 v137, v101 :: v_dual_mov_b32 v134, v98
	v_mov_b32_e32 v135, v99
	v_dual_mov_b32 v125, v113 :: v_dual_mov_b32 v124, v112
	v_mov_b32_e32 v143, v107
	v_dual_mov_b32 v141, v105 :: v_dual_mov_b32 v140, v104
	v_dual_mov_b32 v139, v103 :: v_dual_mov_b32 v138, v102
	;; [unrolled: 1-line block ×18, first 2 shown]
	v_mov_b32_e32 v95, v131
	v_dual_mov_b32 v89, v29 :: v_dual_mov_b32 v88, v124
	v_dual_mov_b32 v49, v73 :: v_dual_mov_b32 v54, v78
	v_mov_b32_e32 v50, v74
	v_dual_mov_b32 v52, v76 :: v_dual_mov_b32 v61, v85
	s_delay_alu instid0(VALU_DEP_4)
	v_dual_mov_b32 v64, v88 :: v_dual_mov_b32 v51, v75
	v_dual_mov_b32 v56, v80 :: v_dual_mov_b32 v53, v77
	;; [unrolled: 1-line block ×12, first 2 shown]
	v_mov_b32_e32 v58, v22
	v_dual_mov_b32 v57, v146 :: v_dual_mov_b32 v60, v24
	v_dual_mov_b32 v59, v23 :: v_dual_mov_b32 v62, v86
	;; [unrolled: 1-line block ×5, first 2 shown]
	v_mov_b32_e32 v2, v1
	v_mov_b32_e32 v28, v27
	;; [unrolled: 1-line block ×3, first 2 shown]
.LBB95_99:
	s_or_b32 exec_lo, exec_lo, s2
	v_mov_b32_e32 v1, v41
	s_mov_b32 s2, exec_lo
	v_cmpx_lt_f32_e32 v2, v41
	s_cbranch_execz .LBB95_101
; %bb.100:
	v_mov_b32_e32 v100, v17
	v_mov_b32_e32 v73, v97
	;; [unrolled: 1-line block ×3, first 2 shown]
	v_dual_mov_b32 v77, v16 :: v_dual_mov_b32 v78, v102
	v_dual_mov_b32 v112, v29 :: v_dual_mov_b32 v75, v99
	;; [unrolled: 1-line block ×3, first 2 shown]
	v_mov_b32_e32 v84, v108
	v_dual_mov_b32 v74, v98 :: v_dual_mov_b32 v85, v109
	v_mov_b32_e32 v86, v110
	v_dual_mov_b32 v76, v100 :: v_dual_mov_b32 v79, v103
	v_dual_mov_b32 v80, v104 :: v_dual_mov_b32 v81, v105
	;; [unrolled: 1-line block ×8, first 2 shown]
	v_mov_b32_e32 v49, v73
	v_dual_mov_b32 v89, v28 :: v_dual_mov_b32 v50, v74
	v_dual_mov_b32 v59, v83 :: v_dual_mov_b32 v60, v84
	;; [unrolled: 1-line block ×32, first 2 shown]
	v_mov_b32_e32 v17, v16
.LBB95_101:
	s_or_b32 exec_lo, exec_lo, s2
	v_mov_b32_e32 v2, v42
	s_mov_b32 s2, exec_lo
	v_cmpx_lt_f32_e32 v1, v42
	s_cbranch_execz .LBB95_103
; %bb.102:
	v_mov_b32_e32 v137, v18
	v_mov_b32_e32 v125, v30
	v_dual_mov_b32 v41, v42 :: v_dual_mov_b32 v42, v1
	v_dual_mov_b32 v49, v133 :: v_dual_mov_b32 v50, v134
	;; [unrolled: 1-line block ×13, first 2 shown]
	v_mov_b32_e32 v66, v29
	v_dual_mov_b32 v85, v121 :: v_dual_mov_b32 v86, v122
	v_dual_mov_b32 v73, v133 :: v_dual_mov_b32 v74, v134
	v_dual_mov_b32 v52, v136 :: v_dual_mov_b32 v55, v19
	v_dual_mov_b32 v56, v20 :: v_dual_mov_b32 v57, v146
	v_mov_b32_e32 v64, v124
	v_dual_mov_b32 v58, v22 :: v_dual_mov_b32 v59, v23
	v_dual_mov_b32 v67, v31 :: v_dual_mov_b32 v68, v32
	;; [unrolled: 1-line block ×8, first 2 shown]
	v_mov_b32_e32 v2, v1
	v_mov_b32_e32 v30, v29
	v_dual_mov_b32 v18, v17 :: v_dual_mov_b32 v91, v127
	v_dual_mov_b32 v92, v128 :: v_dual_mov_b32 v93, v129
	;; [unrolled: 1-line block ×6, first 2 shown]
	v_mov_b32_e32 v84, v144
.LBB95_103:
	s_or_b32 exec_lo, exec_lo, s2
	v_mov_b32_e32 v1, v43
	s_mov_b32 s2, exec_lo
	v_cmpx_lt_f32_e32 v2, v43
	s_cbranch_execz .LBB95_105
; %bb.104:
	v_dual_mov_b32 v94, v34 :: v_dual_mov_b32 v95, v35
	v_dual_mov_b32 v78, v19 :: v_dual_mov_b32 v79, v18
	;; [unrolled: 1-line block ×6, first 2 shown]
	v_mov_b32_e32 v96, v36
	v_dual_mov_b32 v42, v43 :: v_dual_mov_b32 v43, v2
	v_dual_mov_b32 v84, v24 :: v_dual_mov_b32 v61, v85
	v_dual_mov_b32 v70, v94 :: v_dual_mov_b32 v49, v73
	v_dual_mov_b32 v62, v86 :: v_dual_mov_b32 v63, v87
	v_dual_mov_b32 v64, v88 :: v_dual_mov_b32 v67, v91
	v_dual_mov_b32 v65, v89 :: v_dual_mov_b32 v66, v90
	v_dual_mov_b32 v69, v93 :: v_dual_mov_b32 v68, v92
	v_dual_mov_b32 v71, v95 :: v_dual_mov_b32 v72, v96
	v_dual_mov_b32 v51, v75 :: v_dual_mov_b32 v50, v74
	v_dual_mov_b32 v53, v77 :: v_dual_mov_b32 v52, v76
	v_dual_mov_b32 v55, v79 :: v_dual_mov_b32 v54, v78
	v_dual_mov_b32 v57, v81 :: v_dual_mov_b32 v56, v80
	v_dual_mov_b32 v59, v83 :: v_dual_mov_b32 v58, v82
	v_dual_mov_b32 v60, v84 :: v_dual_mov_b32 v1, v2
.LBB95_105:
	s_or_b32 exec_lo, exec_lo, s2
	s_delay_alu instid0(VALU_DEP_1)
	v_cmp_lt_f32_e32 vcc_lo, v1, v44
	v_dual_mov_b32 v3, v39 :: v_dual_mov_b32 v10, v46
	v_dual_mov_b32 v5, v41 :: v_dual_mov_b32 v12, v48
	v_dual_cndmask_b32 v121, v68, v67 :: v_dual_mov_b32 v2, v38
	v_dual_cndmask_b32 v67, v67, v68 :: v_dual_cndmask_b32 v122, v56, v55
	v_dual_cndmask_b32 v55, v55, v56 :: v_dual_cndmask_b32 v8, v44, v1
	v_dual_cndmask_b32 v7, v43, v44 :: v_dual_mov_b32 v4, v40
	v_dual_mov_b32 v1, v37 :: v_dual_mov_b32 v6, v42
	v_mov_b32_e32 v9, v45
	v_mov_b32_e32 v11, v47
	s_mov_b32 s2, exec_lo
	v_cmpx_lt_f32_e32 v37, v38
	s_cbranch_execz .LBB95_107
; %bb.106:
	v_dual_mov_b32 v13, v2 :: v_dual_mov_b32 v14, v1
	v_dual_mov_b32 v15, v3 :: v_dual_mov_b32 v16, v4
	;; [unrolled: 1-line block ×6, first 2 shown]
	v_mov_b32_e32 v25, v61
	v_mov_b32_e32 v26, v49
	v_dual_mov_b32 v1, v13 :: v_dual_mov_b32 v4, v16
	v_swap_b32 v61, v62
	v_swap_b32 v49, v50
	v_dual_mov_b32 v2, v14 :: v_dual_mov_b32 v3, v15
	v_dual_mov_b32 v5, v17 :: v_dual_mov_b32 v6, v18
	;; [unrolled: 1-line block ×5, first 2 shown]
	v_mov_b32_e32 v38, v37
.LBB95_107:
	s_or_b32 exec_lo, exec_lo, s2
	v_mov_b32_e32 v56, v122
	v_mov_b32_e32 v68, v121
	;; [unrolled: 1-line block ×3, first 2 shown]
	v_dual_mov_b32 v27, v51 :: v_dual_mov_b32 v84, v72
	v_mov_b32_e32 v81, v69
	v_dual_mov_b32 v83, v71 :: v_dual_mov_b32 v96, v60
	v_dual_mov_b32 v91, v55 :: v_dual_mov_b32 v120, v72
	;; [unrolled: 1-line block ×31, first 2 shown]
	v_mov_b32_e32 v24, v60
	s_mov_b32 s2, exec_lo
	v_dual_mov_b32 v118, v70 :: v_dual_mov_b32 v115, v67
	v_dual_mov_b32 v116, v68 :: v_dual_mov_b32 v113, v65
	;; [unrolled: 1-line block ×3, first 2 shown]
	v_cmpx_lt_f32_e32 v38, v3
	s_cbranch_execz .LBB95_109
; %bb.108:
	v_dual_mov_b32 v13, v49 :: v_dual_mov_b32 v14, v50
	v_dual_mov_b32 v23, v59 :: v_dual_mov_b32 v24, v60
	;; [unrolled: 1-line block ×30, first 2 shown]
	v_mov_b32_e32 v112, v64
	v_dual_mov_b32 v34, v94 :: v_dual_mov_b32 v35, v95
	v_dual_mov_b32 v35, v59 :: v_dual_mov_b32 v34, v58
	;; [unrolled: 1-line block ×15, first 2 shown]
	v_mov_b32_e32 v81, v69
	v_dual_mov_b32 v80, v121 :: v_dual_mov_b32 v83, v71
	v_mov_b32_e32 v82, v70
	v_dual_mov_b32 v84, v72 :: v_dual_mov_b32 v37, v38
	v_mov_b32_e32 v63, v62
	v_mov_b32_e32 v51, v50
.LBB95_109:
	s_or_b32 exec_lo, exec_lo, s2
	v_mov_b32_e32 v38, v4
	s_mov_b32 s2, exec_lo
	v_cmpx_lt_f32_e32 v37, v4
	s_cbranch_execz .LBB95_111
; %bb.110:
	v_mov_b32_e32 v15, v52
	v_mov_b32_e32 v96, v24
	;; [unrolled: 1-line block ×3, first 2 shown]
	v_dual_mov_b32 v88, v51 :: v_dual_mov_b32 v99, v64
	v_dual_mov_b32 v94, v22 :: v_dual_mov_b32 v85, v13
	;; [unrolled: 1-line block ×3, first 2 shown]
	v_mov_b32_e32 v95, v23
	v_dual_mov_b32 v93, v21 :: v_dual_mov_b32 v92, v20
	v_dual_mov_b32 v91, v19 :: v_dual_mov_b32 v90, v18
	;; [unrolled: 1-line block ×7, first 2 shown]
	v_mov_b32_e32 v87, v15
	v_dual_mov_b32 v111, v99 :: v_dual_mov_b32 v110, v98
	v_dual_mov_b32 v112, v63 :: v_dual_mov_b32 v25, v85
	;; [unrolled: 1-line block ×3, first 2 shown]
	s_delay_alu instid0(VALU_DEP_3)
	v_dual_mov_b32 v74, v110 :: v_dual_mov_b32 v29, v89
	v_dual_mov_b32 v30, v90 :: v_dual_mov_b32 v31, v91
	;; [unrolled: 1-line block ×8, first 2 shown]
	v_mov_b32_e32 v84, v120
	v_dual_mov_b32 v3, v4 :: v_dual_mov_b32 v4, v37
	v_dual_mov_b32 v27, v87 :: v_dual_mov_b32 v28, v88
	;; [unrolled: 1-line block ×11, first 2 shown]
	v_mov_b32_e32 v38, v37
	v_mov_b32_e32 v64, v63
	;; [unrolled: 1-line block ×3, first 2 shown]
.LBB95_111:
	s_or_b32 exec_lo, exec_lo, s2
	v_mov_b32_e32 v16, v5
	s_mov_b32 s2, exec_lo
	v_cmpx_lt_f32_e32 v38, v5
	s_cbranch_execz .LBB95_113
; %bb.112:
	v_mov_b32_e32 v100, v65
	v_mov_b32_e32 v16, v53
	v_dual_mov_b32 v4, v5 :: v_dual_mov_b32 v5, v38
	v_dual_mov_b32 v36, v24 :: v_dual_mov_b32 v33, v21
	;; [unrolled: 1-line block ×3, first 2 shown]
	v_mov_b32_e32 v31, v19
	v_dual_mov_b32 v35, v59 :: v_dual_mov_b32 v34, v58
	v_dual_mov_b32 v73, v97 :: v_dual_mov_b32 v32, v20
	;; [unrolled: 1-line block ×8, first 2 shown]
	v_mov_b32_e32 v77, v64
	v_dual_mov_b32 v84, v108 :: v_dual_mov_b32 v79, v67
	v_dual_mov_b32 v120, v108 :: v_dual_mov_b32 v115, v103
	;; [unrolled: 1-line block ×19, first 2 shown]
	v_mov_b32_e32 v88, v16
	v_dual_mov_b32 v86, v14 :: v_dual_mov_b32 v65, v64
	v_dual_mov_b32 v16, v38 :: v_dual_mov_b32 v53, v52
	;; [unrolled: 1-line block ×3, first 2 shown]
.LBB95_113:
	s_or_b32 exec_lo, exec_lo, s2
	v_mov_b32_e32 v13, v6
	s_mov_b32 s2, exec_lo
	v_cmpx_lt_f32_e32 v16, v6
	s_cbranch_execz .LBB95_115
; %bb.114:
	v_dual_mov_b32 v89, v54 :: v_dual_mov_b32 v90, v53
	v_dual_mov_b32 v91, v55 :: v_dual_mov_b32 v92, v122
	;; [unrolled: 1-line block ×21, first 2 shown]
	v_mov_b32_e32 v13, v16
.LBB95_115:
	s_or_b32 exec_lo, exec_lo, s2
	s_delay_alu instid0(VALU_DEP_1)
	v_cmp_lt_f32_e32 vcc_lo, v13, v7
	v_dual_mov_b32 v14, v2 :: v_dual_mov_b32 v17, v5
	v_dual_mov_b32 v16, v4 :: v_dual_mov_b32 v21, v9
	v_dual_cndmask_b32 v37, v79, v78 :: v_dual_cndmask_b32 v78, v78, v79
	v_cndmask_b32_e32 v38, v31, v30, vcc_lo
	v_dual_cndmask_b32 v30, v30, v31 :: v_dual_cndmask_b32 v19, v7, v13
	v_dual_cndmask_b32 v18, v6, v7 :: v_dual_mov_b32 v15, v3
	v_dual_mov_b32 v13, v1 :: v_dual_mov_b32 v20, v8
	v_dual_mov_b32 v23, v11 :: v_dual_mov_b32 v22, v10
	v_mov_b32_e32 v24, v12
	s_mov_b32 s2, exec_lo
	v_cmpx_lt_f32_e32 v1, v2
	s_cbranch_execz .LBB95_117
; %bb.116:
	v_dual_mov_b32 v2, v14 :: v_dual_mov_b32 v3, v13
	v_dual_mov_b32 v12, v23 :: v_dual_mov_b32 v13, v24
	;; [unrolled: 1-line block ×6, first 2 shown]
	v_mov_b32_e32 v24, v13
	v_mov_b32_e32 v31, v73
	v_dual_mov_b32 v39, v25 :: v_dual_mov_b32 v18, v7
	v_swap_b32 v73, v74
	v_swap_b32 v25, v26
	v_dual_mov_b32 v23, v12 :: v_dual_mov_b32 v20, v9
	v_dual_mov_b32 v22, v11 :: v_dual_mov_b32 v21, v10
	;; [unrolled: 1-line block ×4, first 2 shown]
	v_mov_b32_e32 v15, v4
	v_dual_mov_b32 v13, v2 :: v_dual_mov_b32 v2, v1
.LBB95_117:
	s_or_b32 exec_lo, exec_lo, s2
	v_mov_b32_e32 v31, v38
	v_dual_mov_b32 v79, v37 :: v_dual_mov_b32 v50, v36
	v_dual_mov_b32 v51, v73 :: v_dual_mov_b32 v52, v74
	;; [unrolled: 1-line block ×24, first 2 shown]
	v_mov_b32_e32 v85, v25
	v_mov_b32_e32 v1, v15
	s_mov_b32 s2, exec_lo
	v_cmpx_lt_f32_e32 v2, v15
	s_cbranch_execz .LBB95_119
; %bb.118:
	v_dual_mov_b32 v96, v36 :: v_dual_mov_b32 v95, v35
	v_dual_mov_b32 v86, v26 :: v_dual_mov_b32 v85, v25
	;; [unrolled: 1-line block ×8, first 2 shown]
	v_mov_b32_e32 v105, v81
	v_dual_mov_b32 v43, v89 :: v_dual_mov_b32 v44, v90
	v_dual_mov_b32 v100, v76 :: v_dual_mov_b32 v97, v73
	;; [unrolled: 1-line block ×6, first 2 shown]
	v_mov_b32_e32 v98, v74
	v_dual_mov_b32 v98, v75 :: v_dual_mov_b32 v99, v74
	v_dual_mov_b32 v49, v95 :: v_dual_mov_b32 v50, v96
	;; [unrolled: 1-line block ×12, first 2 shown]
	v_mov_b32_e32 v40, v86
	v_dual_mov_b32 v42, v28 :: v_dual_mov_b32 v43, v29
	v_dual_mov_b32 v45, v38 :: v_dual_mov_b32 v46, v32
	;; [unrolled: 1-line block ×9, first 2 shown]
	v_mov_b32_e32 v75, v74
	v_mov_b32_e32 v27, v26
.LBB95_119:
	s_or_b32 exec_lo, exec_lo, s2
	v_mov_b32_e32 v2, v16
	s_mov_b32 s2, exec_lo
	v_cmpx_lt_f32_e32 v1, v16
	s_cbranch_execz .LBB95_121
; %bb.120:
	v_mov_b32_e32 v87, v28
	v_mov_b32_e32 v99, v76
	v_dual_mov_b32 v15, v16 :: v_dual_mov_b32 v16, v1
	v_dual_mov_b32 v39, v85 :: v_dual_mov_b32 v42, v88
	;; [unrolled: 1-line block ×13, first 2 shown]
	v_mov_b32_e32 v56, v78
	v_mov_b32_e32 v40, v86
	v_dual_mov_b32 v42, v27 :: v_dual_mov_b32 v43, v29
	v_dual_mov_b32 v45, v38 :: v_dual_mov_b32 v46, v32
	;; [unrolled: 1-line block ×8, first 2 shown]
	v_mov_b32_e32 v2, v1
	v_mov_b32_e32 v76, v75
	;; [unrolled: 1-line block ×3, first 2 shown]
.LBB95_121:
	s_or_b32 exec_lo, exec_lo, s2
	v_mov_b32_e32 v1, v17
	s_mov_b32 s2, exec_lo
	v_cmpx_lt_f32_e32 v2, v17
	s_cbranch_execz .LBB95_123
; %bb.122:
	v_dual_mov_b32 v106, v82 :: v_dual_mov_b32 v107, v83
	v_dual_mov_b32 v88, v29 :: v_dual_mov_b32 v89, v28
	;; [unrolled: 1-line block ×8, first 2 shown]
	v_mov_b32_e32 v108, v84
	v_dual_mov_b32 v16, v17 :: v_dual_mov_b32 v17, v2
	v_dual_mov_b32 v96, v36 :: v_dual_mov_b32 v51, v97
	;; [unrolled: 1-line block ×14, first 2 shown]
.LBB95_123:
	s_or_b32 exec_lo, exec_lo, s2
	s_delay_alu instid0(VALU_DEP_1)
	v_cmp_lt_f32_e32 vcc_lo, v1, v18
	v_dual_mov_b32 v27, v13 :: v_dual_mov_b32 v34, v20
	v_dual_mov_b32 v29, v15 :: v_dual_mov_b32 v36, v22
	v_dual_cndmask_b32 v63, v56, v55 :: v_dual_cndmask_b32 v32, v18, v1
	v_dual_cndmask_b32 v55, v55, v56 :: v_dual_cndmask_b32 v64, v44, v43
	v_dual_cndmask_b32 v43, v43, v44 :: v_dual_mov_b32 v28, v14
	v_dual_cndmask_b32 v31, v17, v18 :: v_dual_mov_b32 v30, v16
	v_dual_mov_b32 v33, v19 :: v_dual_mov_b32 v38, v24
	v_mov_b32_e32 v35, v21
	v_mov_b32_e32 v37, v23
	s_mov_b32 s2, exec_lo
	v_cmpx_lt_f32_e32 v13, v14
	s_cbranch_execz .LBB95_125
; %bb.124:
	s_delay_alu instid0(VALU_DEP_2)
	v_dual_mov_b32 v11, v37 :: v_dual_mov_b32 v12, v38
	v_dual_mov_b32 v1, v28 :: v_dual_mov_b32 v2, v27
	;; [unrolled: 1-line block ×7, first 2 shown]
	s_delay_alu instid0(VALU_DEP_2)
	v_dual_mov_b32 v16, v39 :: v_dual_mov_b32 v35, v9
	v_swap_b32 v51, v52
	v_swap_b32 v39, v40
	v_dual_mov_b32 v37, v11 :: v_dual_mov_b32 v36, v10
	v_dual_mov_b32 v34, v8 :: v_dual_mov_b32 v33, v7
	;; [unrolled: 1-line block ×5, first 2 shown]
	v_mov_b32_e32 v14, v13
.LBB95_125:
	s_or_b32 exec_lo, exec_lo, s2
	v_mov_b32_e32 v44, v64
	v_mov_b32_e32 v56, v63
	;; [unrolled: 1-line block ×4, first 2 shown]
	v_dual_mov_b32 v15, v51 :: v_dual_mov_b32 v2, v40
	v_dual_mov_b32 v16, v52 :: v_dual_mov_b32 v17, v53
	;; [unrolled: 1-line block ×11, first 2 shown]
	v_mov_b32_e32 v12, v50
	s_mov_b32 s2, exec_lo
	v_cmpx_lt_f32_e32 v14, v29
	s_cbranch_execz .LBB95_127
; %bb.126:
	v_dual_mov_b32 v1, v39 :: v_dual_mov_b32 v2, v40
	v_dual_mov_b32 v11, v49 :: v_dual_mov_b32 v12, v50
	;; [unrolled: 1-line block ×25, first 2 shown]
	v_mov_b32_e32 v41, v40
.LBB95_127:
	s_or_b32 exec_lo, exec_lo, s2
	v_mov_b32_e32 v39, v30
	s_mov_b32 s2, exec_lo
	v_cmpx_lt_f32_e32 v13, v30
	s_cbranch_execz .LBB95_129
; %bb.128:
	v_dual_mov_b32 v29, v30 :: v_dual_mov_b32 v30, v13
	v_dual_mov_b32 v3, v42 :: v_dual_mov_b32 v4, v41
	;; [unrolled: 1-line block ×11, first 2 shown]
	v_mov_b32_e32 v39, v13
.LBB95_129:
	s_or_b32 exec_lo, exec_lo, s2
	s_delay_alu instid0(VALU_DEP_1)
	v_cmp_lt_f32_e32 vcc_lo, v39, v31
	v_dual_mov_b32 v40, v28 :: v_dual_mov_b32 v45, v33
	v_dual_mov_b32 v44, v32 :: v_dual_mov_b32 v47, v35
	v_dual_cndmask_b32 v13, v19, v18 :: v_dual_cndmask_b32 v18, v18, v19
	v_dual_cndmask_b32 v14, v5, v4 :: v_dual_cndmask_b32 v43, v31, v39
	v_dual_cndmask_b32 v4, v4, v5 :: v_dual_mov_b32 v39, v27
	v_dual_cndmask_b32 v42, v30, v31 :: v_dual_mov_b32 v41, v29
	v_dual_mov_b32 v46, v34 :: v_dual_mov_b32 v49, v37
	v_mov_b32_e32 v48, v36
	v_mov_b32_e32 v50, v38
	s_mov_b32 s2, exec_lo
	v_cmpx_lt_f32_e32 v27, v28
	s_cbranch_execz .LBB95_131
; %bb.130:
	v_dual_mov_b32 v28, v40 :: v_dual_mov_b32 v29, v39
	v_dual_mov_b32 v38, v49 :: v_dual_mov_b32 v39, v50
	;; [unrolled: 1-line block ×7, first 2 shown]
	v_mov_b32_e32 v5, v15
	v_swap_b32 v15, v16
	s_delay_alu instid0(VALU_DEP_4)
	v_mov_b32_e32 v48, v37
	v_swap_b32 v1, v2
	v_dual_mov_b32 v49, v38 :: v_dual_mov_b32 v46, v35
	v_dual_mov_b32 v47, v36 :: v_dual_mov_b32 v44, v33
	;; [unrolled: 1-line block ×4, first 2 shown]
	v_mov_b32_e32 v41, v30
	v_dual_mov_b32 v39, v28 :: v_dual_mov_b32 v28, v27
.LBB95_131:
	s_or_b32 exec_lo, exec_lo, s2
	v_mov_b32_e32 v5, v14
	v_mov_b32_e32 v19, v13
	;; [unrolled: 1-line block ×3, first 2 shown]
	s_mov_b32 s2, exec_lo
	v_cmpx_lt_f32_e32 v28, v41
	s_cbranch_execz .LBB95_133
; %bb.132:
	v_dual_mov_b32 v74, v26 :: v_dual_mov_b32 v73, v25
	v_dual_mov_b32 v62, v12 :: v_dual_mov_b32 v61, v11
	;; [unrolled: 1-line block ×22, first 2 shown]
	v_mov_b32_e32 v74, v26
	v_dual_mov_b32 v40, v41 :: v_dual_mov_b32 v41, v28
	v_dual_mov_b32 v62, v12 :: v_dual_mov_b32 v15, v63
	;; [unrolled: 1-line block ×14, first 2 shown]
.LBB95_133:
	s_or_b32 exec_lo, exec_lo, s2
	s_delay_alu instid0(VALU_DEP_1)
	v_cmp_lt_f32_e32 vcc_lo, v27, v42
	v_dual_mov_b32 v29, v24 :: v_dual_mov_b32 v32, v5
	v_dual_mov_b32 v31, v26 :: v_dual_mov_b32 v34, v7
	v_dual_cndmask_b32 v13, v18, v17 :: v_dual_cndmask_b32 v14, v4, v3
	v_cndmask_b32_e32 v51, v17, v18, vcc_lo
	v_dual_cndmask_b32 v59, v3, v4 :: v_dual_cndmask_b32 v60, v41, v42
	v_dual_cndmask_b32 v3, v42, v27 :: v_dual_mov_b32 v18, v21
	v_cmp_lt_f32_e32 vcc_lo, v39, v40
	v_dual_mov_b32 v4, v19 :: v_dual_mov_b32 v17, v20
	v_dual_mov_b32 v28, v23 :: v_dual_mov_b32 v27, v22
	;; [unrolled: 1-line block ×7, first 2 shown]
	v_mov_b32_e32 v58, v50
	v_dual_mov_b32 v52, v44 :: v_dual_mov_b32 v53, v45
	v_dual_mov_b32 v55, v47 :: v_dual_mov_b32 v56, v48
	v_mov_b32_e32 v57, v49
	s_and_saveexec_b32 s2, vcc_lo
	s_cbranch_execz .LBB95_135
; %bb.134:
	v_dual_mov_b32 v42, v40 :: v_dual_mov_b32 v27, v22
	v_dual_mov_b32 v4, v15 :: v_dual_mov_b32 v17, v20
	;; [unrolled: 1-line block ×3, first 2 shown]
	v_swap_b32 v15, v16
	v_swap_b32 v1, v2
	v_dual_mov_b32 v40, v39 :: v_dual_mov_b32 v29, v24
	v_dual_mov_b32 v4, v19 :: v_dual_mov_b32 v31, v26
	;; [unrolled: 1-line block ×10, first 2 shown]
	v_mov_b32_e32 v52, v44
	v_mov_b32_e32 v54, v46
	;; [unrolled: 1-line block ×4, first 2 shown]
.LBB95_135:
	s_or_b32 exec_lo, exec_lo, s2
	s_clause 0x1
	s_load_b32 s8, s[0:1], 0x28
	s_load_b128 s[4:7], s[0:1], 0x10
	v_mov_b32_e32 v6, 0
	s_waitcnt lgkmcnt(0)
	s_cmp_lt_i32 s8, 1
	s_cbranch_scc1 .LBB95_141
; %bb.136:
	v_cmp_lt_f32_e32 vcc_lo, v40, v60
	v_mov_b32_e32 v7, 0
	s_mov_b32 s9, 0x76543210
	s_mov_b32 s10, s8
	v_mov_b32_e32 v6, 0
	v_cndmask_b32_e32 v8, v60, v40, vcc_lo
	v_cndmask_b32_e32 v19, v61, v60, vcc_lo
	v_dual_cndmask_b32 v5, v59, v2 :: v_dual_cndmask_b32 v2, v2, v59
	v_dual_cndmask_b32 v9, v51, v16 :: v_dual_cndmask_b32 v20, v16, v51
	s_delay_alu instid0(VALU_DEP_3) | instskip(NEXT) | instid1(VALU_DEP_1)
	v_cmp_lt_f32_e64 s2, v39, v19
	v_cndmask_b32_e64 v10, v2, v1, s2
	v_cndmask_b32_e64 v11, v1, v2, s2
	;; [unrolled: 1-line block ×6, first 2 shown]
	v_dual_mov_b32 v20, v0 :: v_dual_mov_b32 v1, 0
	v_mov_b32_e32 v2, 0
.LBB95_137:                             ; =>This Inner Loop Header: Depth=1
	v_cmp_eq_u32_e32 vcc_lo, 1, v7
	v_cmp_eq_u32_e64 s2, 2, v7
	v_dual_cndmask_b32 v21, v16, v12 :: v_dual_cndmask_b32 v22, v11, v10
	s_delay_alu instid0(VALU_DEP_1) | instskip(NEXT) | instid1(VALU_DEP_2)
	v_cndmask_b32_e64 v21, v21, v8, s2
	v_cndmask_b32_e64 v22, v22, v5, s2
	v_cndmask_b32_e32 v23, v15, v19, vcc_lo
	v_cmp_eq_u32_e32 vcc_lo, 3, v7
	s_delay_alu instid0(VALU_DEP_3) | instskip(NEXT) | instid1(VALU_DEP_3)
	v_cndmask_b32_e32 v22, v22, v14, vcc_lo
	v_cndmask_b32_e64 v23, v23, v9, s2
	v_cmp_eq_u32_e64 s2, 4, v7
	s_delay_alu instid0(VALU_DEP_2) | instskip(NEXT) | instid1(VALU_DEP_2)
	v_cndmask_b32_e32 v23, v23, v13, vcc_lo
	v_cndmask_b32_e64 v22, v22, v32, s2
	v_cndmask_b32_e32 v21, v21, v3, vcc_lo
	v_cmp_eq_u32_e32 vcc_lo, 5, v7
	s_delay_alu instid0(VALU_DEP_4) | instskip(NEXT) | instid1(VALU_DEP_4)
	v_cndmask_b32_e64 v23, v23, v4, s2
	v_cndmask_b32_e32 v22, v22, v33, vcc_lo
	s_delay_alu instid0(VALU_DEP_4) | instskip(SKIP_1) | instid1(VALU_DEP_4)
	v_cndmask_b32_e64 v21, v21, v42, s2
	v_cmp_eq_u32_e64 s2, 6, v7
	v_cndmask_b32_e32 v23, v23, v17, vcc_lo
	s_delay_alu instid0(VALU_DEP_3) | instskip(SKIP_1) | instid1(VALU_DEP_4)
	v_cndmask_b32_e32 v21, v21, v52, vcc_lo
	v_cmp_eq_u32_e32 vcc_lo, 7, v7
	v_cndmask_b32_e64 v22, v22, v34, s2
	s_delay_alu instid0(VALU_DEP_4) | instskip(NEXT) | instid1(VALU_DEP_4)
	v_cndmask_b32_e64 v23, v23, v18, s2
	v_cndmask_b32_e64 v21, v21, v53, s2
	v_cmp_eq_u32_e64 s2, 8, v7
	s_delay_alu instid0(VALU_DEP_4) | instskip(NEXT) | instid1(VALU_DEP_4)
	v_cndmask_b32_e32 v22, v22, v35, vcc_lo
	v_cndmask_b32_e32 v23, v23, v27, vcc_lo
	s_delay_alu instid0(VALU_DEP_4) | instskip(SKIP_1) | instid1(VALU_DEP_4)
	v_cndmask_b32_e32 v21, v21, v54, vcc_lo
	v_cmp_eq_u32_e32 vcc_lo, 9, v7
	v_cndmask_b32_e64 v22, v22, v36, s2
	s_delay_alu instid0(VALU_DEP_4) | instskip(NEXT) | instid1(VALU_DEP_4)
	v_cndmask_b32_e64 v23, v23, v28, s2
	v_cndmask_b32_e64 v21, v21, v55, s2
	v_cmp_eq_u32_e64 s2, 10, v7
	s_delay_alu instid0(VALU_DEP_4) | instskip(NEXT) | instid1(VALU_DEP_4)
	v_cndmask_b32_e32 v22, v22, v37, vcc_lo
	v_cndmask_b32_e32 v23, v23, v29, vcc_lo
	s_delay_alu instid0(VALU_DEP_4) | instskip(SKIP_1) | instid1(VALU_DEP_4)
	v_cndmask_b32_e32 v21, v21, v56, vcc_lo
	v_cmp_eq_u32_e32 vcc_lo, 11, v7
	v_cndmask_b32_e64 v22, v22, v38, s2
	s_delay_alu instid0(VALU_DEP_4) | instskip(NEXT) | instid1(VALU_DEP_4)
	v_cndmask_b32_e64 v23, v23, v30, s2
	v_cndmask_b32_e64 v21, v21, v57, s2
	v_cmp_gt_u32_e64 s2, 12, v7
	s_delay_alu instid0(VALU_DEP_2) | instskip(NEXT) | instid1(VALU_DEP_1)
	v_dual_cndmask_b32 v22, v22, v41 :: v_dual_cndmask_b32 v21, v21, v58
	v_cndmask_b32_e64 v24, 0, v22, s2
	s_delay_alu instid0(VALU_DEP_2)
	v_cndmask_b32_e64 v21, 0xff800000, v21, s2
	;;#ASMSTART
	v_max_f32 v25, v21, v21 quad_perm:[1,0,3,2] row_mask:0xf bank_mask:0xf bound_ctrl:1
	;;#ASMEND
	;;#ASMSTART
	v_max_f32 v26, v25, v25 quad_perm:[2,3,0,1] row_mask:0xf bank_mask:0xf bound_ctrl:1
	;;#ASMEND
	;;#ASMSTART
	v_max_f32 v25, v26, v26 row_half_mirror row_mask:0xf bank_mask:0xf bound_ctrl:1
	;;#ASMEND
	;;#ASMSTART
	v_max_f32 v26, v25, v25 row_mirror row_mask:0xf bank_mask:0xf bound_ctrl:1
	;;#ASMEND
	v_permlanex16_b32 v25, v26, s9, 0xfedcba98 op_sel:[1,1]
	s_delay_alu instid0(VALU_DEP_1) | instskip(NEXT) | instid1(VALU_DEP_1)
	v_dual_max_f32 v26, v26, v26 :: v_dual_max_f32 v25, v25, v25
	v_max_f32_e32 v25, v26, v25
	s_delay_alu instid0(VALU_DEP_1) | instskip(SKIP_1) | instid1(VALU_DEP_2)
	v_cmp_eq_f32_e64 s3, v21, v25
	v_cndmask_b32_e32 v21, v23, v31, vcc_lo
	s_ctz_i32_b32 s11, s3
	s_cmp_lg_u32 s3, 0
	s_cselect_b32 s3, s11, 0
	s_add_i32 s10, s10, -1
	v_readlane_b32 s3, v24, s3
	s_delay_alu instid0(VALU_DEP_1)
	v_cmp_eq_u32_e32 vcc_lo, s3, v22
	s_and_b32 vcc_lo, s2, vcc_lo
	s_and_b32 s2, s3, 31
	v_cndmask_b32_e32 v21, 0, v21, vcc_lo
	v_add_co_ci_u32_e32 v7, vcc_lo, 0, v7, vcc_lo
	s_cmp_eq_u32 s10, 0
	s_delay_alu instid0(VALU_DEP_2) | instskip(SKIP_2) | instid1(VALU_DEP_3)
	v_readlane_b32 s11, v21, s2
	v_cmp_eq_u32_e64 s2, 0, v20
	v_add_nc_u32_e32 v20, -1, v20
	v_add_f32_e32 v6, s11, v6
	s_delay_alu instid0(VALU_DEP_3)
	v_cndmask_b32_e64 v2, v2, s11, s2
	v_cndmask_b32_e64 v1, v1, s3, s2
	s_cbranch_scc0 .LBB95_137
; %bb.138:
	s_mov_b32 s2, exec_lo
	v_cmpx_gt_i32_e64 s8, v0
	s_cbranch_execz .LBB95_140
.LBB95_139:
	s_load_b32 s2, s[0:1], 0x30
	v_max_f32_e32 v0, v6, v6
	s_load_b64 s[0:1], s[0:1], 0x20
	s_ashr_i32 s3, s15, 31
	s_delay_alu instid0(VALU_DEP_1) | instskip(SKIP_1) | instid1(VALU_DEP_1)
	v_max_f32_e32 v0, 0x1e3ce508, v0
	s_waitcnt lgkmcnt(0)
	v_div_scale_f32 v3, null, v0, v0, s2
	v_div_scale_f32 v6, vcc_lo, s2, v0, s2
	s_mul_i32 s1, s15, s1
	s_delay_alu instid0(VALU_DEP_2)
	v_rcp_f32_e32 v4, v3
	s_mul_hi_u32 s8, s15, s0
	s_mul_i32 s3, s3, s0
	s_add_i32 s1, s8, s1
	s_mul_i32 s0, s15, s0
	s_add_i32 s1, s1, s3
	s_delay_alu instid0(SALU_CYCLE_1) | instskip(SKIP_2) | instid1(VALU_DEP_1)
	s_lshl_b64 s[0:1], s[0:1], 2
	s_waitcnt_depctr 0xfff
	v_fma_f32 v5, -v3, v4, 1.0
	v_fmac_f32_e32 v4, v5, v4
	s_delay_alu instid0(VALU_DEP_1) | instskip(NEXT) | instid1(VALU_DEP_1)
	v_mul_f32_e32 v5, v6, v4
	v_fma_f32 v7, -v3, v5, v6
	s_delay_alu instid0(VALU_DEP_1) | instskip(NEXT) | instid1(VALU_DEP_1)
	v_fmac_f32_e32 v5, v7, v4
	v_fma_f32 v3, -v3, v5, v6
	s_delay_alu instid0(VALU_DEP_1) | instskip(NEXT) | instid1(VALU_DEP_1)
	v_div_fmas_f32 v3, v3, v4, v5
	v_div_fixup_f32 v0, v3, v0, s2
	s_add_u32 s2, s4, s0
	s_addc_u32 s3, s5, s1
	s_add_u32 s0, s6, s0
	s_addc_u32 s1, s7, s1
	v_mul_f32_e32 v0, v2, v0
	s_clause 0x1
	global_store_b32 v183, v0, s[2:3]
	global_store_b32 v183, v1, s[0:1]
.LBB95_140:
	s_endpgm
.LBB95_141:
	v_dual_mov_b32 v1, 0 :: v_dual_mov_b32 v2, 0
	s_mov_b32 s2, exec_lo
	v_cmpx_gt_i32_e64 s8, v0
	s_cbranch_execnz .LBB95_139
	s_branch .LBB95_140
	.section	.rodata,"a",@progbits
	.p2align	6, 0x0
	.amdhsa_kernel _ZN5aiter24topk_softplus_kernel_optIf12hip_bfloat16Li384ELb1ELi0EEEvPKT_PKT0_PfPimiif
		.amdhsa_group_segment_fixed_size 0
		.amdhsa_private_segment_fixed_size 196
		.amdhsa_kernarg_size 52
		.amdhsa_user_sgpr_count 15
		.amdhsa_user_sgpr_dispatch_ptr 0
		.amdhsa_user_sgpr_queue_ptr 0
		.amdhsa_user_sgpr_kernarg_segment_ptr 1
		.amdhsa_user_sgpr_dispatch_id 0
		.amdhsa_user_sgpr_private_segment_size 0
		.amdhsa_wavefront_size32 1
		.amdhsa_uses_dynamic_stack 0
		.amdhsa_enable_private_segment 1
		.amdhsa_system_sgpr_workgroup_id_x 1
		.amdhsa_system_sgpr_workgroup_id_y 0
		.amdhsa_system_sgpr_workgroup_id_z 0
		.amdhsa_system_sgpr_workgroup_info 0
		.amdhsa_system_vgpr_workitem_id 0
		.amdhsa_next_free_vgpr 184
		.amdhsa_next_free_sgpr 16
		.amdhsa_reserve_vcc 1
		.amdhsa_float_round_mode_32 0
		.amdhsa_float_round_mode_16_64 0
		.amdhsa_float_denorm_mode_32 3
		.amdhsa_float_denorm_mode_16_64 3
		.amdhsa_dx10_clamp 1
		.amdhsa_ieee_mode 1
		.amdhsa_fp16_overflow 0
		.amdhsa_workgroup_processor_mode 1
		.amdhsa_memory_ordered 1
		.amdhsa_forward_progress 0
		.amdhsa_shared_vgpr_count 0
		.amdhsa_exception_fp_ieee_invalid_op 0
		.amdhsa_exception_fp_denorm_src 0
		.amdhsa_exception_fp_ieee_div_zero 0
		.amdhsa_exception_fp_ieee_overflow 0
		.amdhsa_exception_fp_ieee_underflow 0
		.amdhsa_exception_fp_ieee_inexact 0
		.amdhsa_exception_int_div_zero 0
	.end_amdhsa_kernel
	.section	.text._ZN5aiter24topk_softplus_kernel_optIf12hip_bfloat16Li384ELb1ELi0EEEvPKT_PKT0_PfPimiif,"axG",@progbits,_ZN5aiter24topk_softplus_kernel_optIf12hip_bfloat16Li384ELb1ELi0EEEvPKT_PKT0_PfPimiif,comdat
.Lfunc_end95:
	.size	_ZN5aiter24topk_softplus_kernel_optIf12hip_bfloat16Li384ELb1ELi0EEEvPKT_PKT0_PfPimiif, .Lfunc_end95-_ZN5aiter24topk_softplus_kernel_optIf12hip_bfloat16Li384ELb1ELi0EEEvPKT_PKT0_PfPimiif
                                        ; -- End function
	.section	.AMDGPU.csdata,"",@progbits
; Kernel info:
; codeLenInByte = 30508
; NumSgprs: 18
; NumVgprs: 184
; ScratchSize: 196
; MemoryBound: 0
; FloatMode: 240
; IeeeMode: 1
; LDSByteSize: 0 bytes/workgroup (compile time only)
; SGPRBlocks: 2
; VGPRBlocks: 22
; NumSGPRsForWavesPerEU: 18
; NumVGPRsForWavesPerEU: 184
; Occupancy: 8
; WaveLimiterHint : 0
; COMPUTE_PGM_RSRC2:SCRATCH_EN: 1
; COMPUTE_PGM_RSRC2:USER_SGPR: 15
; COMPUTE_PGM_RSRC2:TRAP_HANDLER: 0
; COMPUTE_PGM_RSRC2:TGID_X_EN: 1
; COMPUTE_PGM_RSRC2:TGID_Y_EN: 0
; COMPUTE_PGM_RSRC2:TGID_Z_EN: 0
; COMPUTE_PGM_RSRC2:TIDIG_COMP_CNT: 0
	.section	.text._ZN5aiter24topk_softplus_kernel_optIf12hip_bfloat16Li384ELb0ELi0EEEvPKT_PKT0_PfPimiif,"axG",@progbits,_ZN5aiter24topk_softplus_kernel_optIf12hip_bfloat16Li384ELb0ELi0EEEvPKT_PKT0_PfPimiif,comdat
	.protected	_ZN5aiter24topk_softplus_kernel_optIf12hip_bfloat16Li384ELb0ELi0EEEvPKT_PKT0_PfPimiif ; -- Begin function _ZN5aiter24topk_softplus_kernel_optIf12hip_bfloat16Li384ELb0ELi0EEEvPKT_PKT0_PfPimiif
	.globl	_ZN5aiter24topk_softplus_kernel_optIf12hip_bfloat16Li384ELb0ELi0EEEvPKT_PKT0_PfPimiif
	.p2align	8
	.type	_ZN5aiter24topk_softplus_kernel_optIf12hip_bfloat16Li384ELb0ELi0EEEvPKT_PKT0_PfPimiif,@function
_ZN5aiter24topk_softplus_kernel_optIf12hip_bfloat16Li384ELb0ELi0EEEvPKT_PKT0_PfPimiif: ; @_ZN5aiter24topk_softplus_kernel_optIf12hip_bfloat16Li384ELb0ELi0EEEvPKT_PKT0_PfPimiif
; %bb.0:
	s_load_b128 s[4:7], s[0:1], 0x0
	s_mul_i32 s2, s15, 0x180
	v_lshlrev_b32_e32 v183, 2, v0
	s_ashr_i32 s3, s2, 31
	s_delay_alu instid0(SALU_CYCLE_1)
	s_lshl_b64 s[2:3], s[2:3], 2
	s_waitcnt lgkmcnt(0)
	s_add_u32 s4, s4, s2
	s_addc_u32 s5, s5, s3
	s_cmp_lg_u64 s[6:7], 0
	global_load_b32 v1, v183, s[4:5]
	s_cselect_b32 s3, -1, 0
	s_waitcnt vmcnt(0)
	v_mul_f32_e32 v2, 0x3fb8aa3b, v1
	s_delay_alu instid0(VALU_DEP_1) | instskip(SKIP_2) | instid1(VALU_DEP_2)
	v_cmp_gt_f32_e32 vcc_lo, 0xc2fc0000, v2
	v_cndmask_b32_e64 v2, 0, 0x42800000, vcc_lo
	v_cndmask_b32_e64 v3, 1.0, 0x1f800000, vcc_lo
	v_fmac_f32_e32 v2, 0x3fb8aa3b, v1
	s_delay_alu instid0(VALU_DEP_1) | instskip(SKIP_2) | instid1(VALU_DEP_1)
	v_exp_f32_e32 v2, v2
	s_waitcnt_depctr 0xfff
	v_fma_f32 v2, v2, v3, 1.0
	v_cmp_gt_f32_e32 vcc_lo, 0x800000, v2
	v_cndmask_b32_e64 v3, 1.0, 0x4f800000, vcc_lo
	s_delay_alu instid0(VALU_DEP_1) | instskip(SKIP_2) | instid1(VALU_DEP_3)
	v_mul_f32_e32 v2, v2, v3
	v_cndmask_b32_e64 v3, 0, 0x42000000, vcc_lo
	v_cmp_lt_f32_e32 vcc_lo, 0x41a00000, v1
	v_log_f32_e32 v2, v2
	s_waitcnt_depctr 0xfff
	v_sub_f32_e32 v2, v2, v3
	s_delay_alu instid0(VALU_DEP_1) | instskip(NEXT) | instid1(VALU_DEP_1)
	v_mul_f32_e32 v2, 0x3f317218, v2
	v_cndmask_b32_e32 v1, v2, v1, vcc_lo
	s_delay_alu instid0(VALU_DEP_1) | instskip(SKIP_1) | instid1(VALU_DEP_2)
	v_mul_f32_e32 v2, 0x4f800000, v1
	v_cmp_gt_f32_e32 vcc_lo, 0xf800000, v1
	v_cndmask_b32_e32 v1, v1, v2, vcc_lo
	s_delay_alu instid0(VALU_DEP_1) | instskip(SKIP_3) | instid1(VALU_DEP_2)
	v_sqrt_f32_e32 v2, v1
	s_waitcnt_depctr 0xfff
	v_add_nc_u32_e32 v3, -1, v2
	v_add_nc_u32_e32 v4, 1, v2
	v_fma_f32 v5, -v3, v2, v1
	s_delay_alu instid0(VALU_DEP_2) | instskip(NEXT) | instid1(VALU_DEP_2)
	v_fma_f32 v6, -v4, v2, v1
	v_cmp_ge_f32_e64 s2, 0, v5
	s_delay_alu instid0(VALU_DEP_1) | instskip(NEXT) | instid1(VALU_DEP_3)
	v_cndmask_b32_e64 v2, v2, v3, s2
	v_cmp_lt_f32_e64 s2, 0, v6
	s_delay_alu instid0(VALU_DEP_1) | instskip(SKIP_1) | instid1(VALU_DEP_1)
	v_cndmask_b32_e64 v2, v2, v4, s2
	v_add_co_u32 v12, s2, s4, v183
	v_add_co_ci_u32_e64 v13, null, s5, 0, s2
	s_delay_alu instid0(VALU_DEP_3) | instskip(NEXT) | instid1(VALU_DEP_1)
	v_mul_f32_e32 v3, 0x37800000, v2
	v_cndmask_b32_e32 v2, v2, v3, vcc_lo
	v_cmp_class_f32_e64 vcc_lo, v1, 0x260
	s_delay_alu instid0(VALU_DEP_2) | instskip(SKIP_2) | instid1(VALU_DEP_2)
	v_cndmask_b32_e32 v49, v2, v1, vcc_lo
	v_lshlrev_b32_e32 v1, 1, v0
	s_and_b32 vcc_lo, exec_lo, s3
	v_mov_b32_e32 v37, v49
	s_cbranch_vccz .LBB96_2
; %bb.1:
	global_load_u16 v2, v1, s[6:7]
	s_waitcnt vmcnt(0)
	v_lshlrev_b32_e32 v2, 16, v2
	s_delay_alu instid0(VALU_DEP_1)
	v_add_f32_e32 v37, v49, v2
.LBB96_2:
	global_load_b32 v2, v[12:13], off offset:128
	v_cndmask_b32_e64 v14, 0, 1, s3
	s_waitcnt vmcnt(0)
	v_mul_f32_e32 v3, 0x3fb8aa3b, v2
	s_delay_alu instid0(VALU_DEP_1) | instskip(SKIP_2) | instid1(VALU_DEP_2)
	v_cmp_gt_f32_e32 vcc_lo, 0xc2fc0000, v3
	v_cndmask_b32_e64 v4, 0, 0x42800000, vcc_lo
	v_cndmask_b32_e64 v3, 1.0, 0x1f800000, vcc_lo
	v_fmac_f32_e32 v4, 0x3fb8aa3b, v2
	s_delay_alu instid0(VALU_DEP_1) | instskip(SKIP_2) | instid1(VALU_DEP_1)
	v_exp_f32_e32 v4, v4
	s_waitcnt_depctr 0xfff
	v_fma_f32 v3, v4, v3, 1.0
	v_cmp_gt_f32_e32 vcc_lo, 0x800000, v3
	v_cndmask_b32_e64 v4, 1.0, 0x4f800000, vcc_lo
	s_delay_alu instid0(VALU_DEP_1) | instskip(SKIP_2) | instid1(VALU_DEP_3)
	v_mul_f32_e32 v3, v3, v4
	v_cndmask_b32_e64 v4, 0, 0x42000000, vcc_lo
	v_cmp_lt_f32_e32 vcc_lo, 0x41a00000, v2
	v_log_f32_e32 v3, v3
	s_waitcnt_depctr 0xfff
	v_sub_f32_e32 v3, v3, v4
	s_delay_alu instid0(VALU_DEP_1) | instskip(NEXT) | instid1(VALU_DEP_1)
	v_mul_f32_e32 v3, 0x3f317218, v3
	v_cndmask_b32_e32 v2, v3, v2, vcc_lo
	s_delay_alu instid0(VALU_DEP_1) | instskip(SKIP_1) | instid1(VALU_DEP_2)
	v_mul_f32_e32 v3, 0x4f800000, v2
	v_cmp_gt_f32_e32 vcc_lo, 0xf800000, v2
	v_cndmask_b32_e32 v2, v2, v3, vcc_lo
	s_delay_alu instid0(VALU_DEP_1) | instskip(SKIP_3) | instid1(VALU_DEP_2)
	v_sqrt_f32_e32 v3, v2
	s_waitcnt_depctr 0xfff
	v_add_nc_u32_e32 v4, -1, v3
	v_add_nc_u32_e32 v5, 1, v3
	v_fma_f32 v6, -v4, v3, v2
	s_delay_alu instid0(VALU_DEP_2) | instskip(NEXT) | instid1(VALU_DEP_2)
	v_fma_f32 v7, -v5, v3, v2
	v_cmp_ge_f32_e64 s2, 0, v6
	s_delay_alu instid0(VALU_DEP_1) | instskip(NEXT) | instid1(VALU_DEP_3)
	v_cndmask_b32_e64 v3, v3, v4, s2
	v_cmp_lt_f32_e64 s2, 0, v7
	s_delay_alu instid0(VALU_DEP_1) | instskip(NEXT) | instid1(VALU_DEP_1)
	v_cndmask_b32_e64 v3, v3, v5, s2
	v_mul_f32_e32 v4, 0x37800000, v3
	s_delay_alu instid0(VALU_DEP_1) | instskip(SKIP_1) | instid1(VALU_DEP_2)
	v_cndmask_b32_e32 v3, v3, v4, vcc_lo
	v_cmp_class_f32_e64 vcc_lo, v2, 0x260
	v_cndmask_b32_e32 v2, v3, v2, vcc_lo
	s_and_not1_b32 vcc_lo, exec_lo, s3
	s_delay_alu instid0(VALU_DEP_1)
	v_mov_b32_e32 v38, v2
	s_cbranch_vccnz .LBB96_4
; %bb.3:
	global_load_u16 v3, v1, s[6:7] offset:64
	s_waitcnt vmcnt(0)
	v_lshlrev_b32_e32 v3, 16, v3
	s_delay_alu instid0(VALU_DEP_1)
	v_add_f32_e32 v38, v2, v3
.LBB96_4:
	global_load_b32 v3, v[12:13], off offset:256
	s_waitcnt vmcnt(0)
	v_mul_f32_e32 v4, 0x3fb8aa3b, v3
	s_delay_alu instid0(VALU_DEP_1) | instskip(SKIP_2) | instid1(VALU_DEP_2)
	v_cmp_gt_f32_e32 vcc_lo, 0xc2fc0000, v4
	v_cndmask_b32_e64 v5, 0, 0x42800000, vcc_lo
	v_cndmask_b32_e64 v4, 1.0, 0x1f800000, vcc_lo
	v_fmac_f32_e32 v5, 0x3fb8aa3b, v3
	s_delay_alu instid0(VALU_DEP_1) | instskip(SKIP_2) | instid1(VALU_DEP_1)
	v_exp_f32_e32 v5, v5
	s_waitcnt_depctr 0xfff
	v_fma_f32 v4, v5, v4, 1.0
	v_cmp_gt_f32_e32 vcc_lo, 0x800000, v4
	v_cndmask_b32_e64 v5, 1.0, 0x4f800000, vcc_lo
	s_delay_alu instid0(VALU_DEP_1) | instskip(SKIP_2) | instid1(VALU_DEP_3)
	v_mul_f32_e32 v4, v4, v5
	v_cndmask_b32_e64 v5, 0, 0x42000000, vcc_lo
	v_cmp_lt_f32_e32 vcc_lo, 0x41a00000, v3
	v_log_f32_e32 v4, v4
	s_waitcnt_depctr 0xfff
	v_sub_f32_e32 v4, v4, v5
	s_delay_alu instid0(VALU_DEP_1) | instskip(NEXT) | instid1(VALU_DEP_1)
	v_mul_f32_e32 v4, 0x3f317218, v4
	v_cndmask_b32_e32 v3, v4, v3, vcc_lo
	s_delay_alu instid0(VALU_DEP_1) | instskip(SKIP_1) | instid1(VALU_DEP_2)
	v_mul_f32_e32 v4, 0x4f800000, v3
	v_cmp_gt_f32_e32 vcc_lo, 0xf800000, v3
	v_cndmask_b32_e32 v3, v3, v4, vcc_lo
	s_delay_alu instid0(VALU_DEP_1) | instskip(SKIP_3) | instid1(VALU_DEP_2)
	v_sqrt_f32_e32 v4, v3
	s_waitcnt_depctr 0xfff
	v_add_nc_u32_e32 v5, -1, v4
	v_add_nc_u32_e32 v6, 1, v4
	v_fma_f32 v7, -v5, v4, v3
	s_delay_alu instid0(VALU_DEP_2) | instskip(NEXT) | instid1(VALU_DEP_2)
	v_fma_f32 v8, -v6, v4, v3
	v_cmp_ge_f32_e64 s2, 0, v7
	s_delay_alu instid0(VALU_DEP_1) | instskip(NEXT) | instid1(VALU_DEP_3)
	v_cndmask_b32_e64 v4, v4, v5, s2
	v_cmp_lt_f32_e64 s2, 0, v8
	s_delay_alu instid0(VALU_DEP_1) | instskip(NEXT) | instid1(VALU_DEP_1)
	v_cndmask_b32_e64 v4, v4, v6, s2
	v_mul_f32_e32 v5, 0x37800000, v4
	s_delay_alu instid0(VALU_DEP_1) | instskip(SKIP_1) | instid1(VALU_DEP_2)
	v_cndmask_b32_e32 v4, v4, v5, vcc_lo
	v_cmp_class_f32_e64 vcc_lo, v3, 0x260
	v_cndmask_b32_e32 v3, v4, v3, vcc_lo
	v_cmp_ne_u32_e32 vcc_lo, 1, v14
	s_delay_alu instid0(VALU_DEP_2)
	v_mov_b32_e32 v39, v3
	s_cbranch_vccnz .LBB96_6
; %bb.5:
	global_load_u16 v4, v1, s[6:7] offset:128
	s_waitcnt vmcnt(0)
	v_lshlrev_b32_e32 v4, 16, v4
	s_delay_alu instid0(VALU_DEP_1)
	v_add_f32_e32 v39, v3, v4
.LBB96_6:
	global_load_b32 v4, v[12:13], off offset:384
	s_waitcnt vmcnt(0)
	v_mul_f32_e32 v5, 0x3fb8aa3b, v4
	s_delay_alu instid0(VALU_DEP_1) | instskip(SKIP_2) | instid1(VALU_DEP_2)
	v_cmp_gt_f32_e32 vcc_lo, 0xc2fc0000, v5
	v_cndmask_b32_e64 v6, 0, 0x42800000, vcc_lo
	v_cndmask_b32_e64 v5, 1.0, 0x1f800000, vcc_lo
	v_fmac_f32_e32 v6, 0x3fb8aa3b, v4
	s_delay_alu instid0(VALU_DEP_1) | instskip(SKIP_2) | instid1(VALU_DEP_1)
	v_exp_f32_e32 v6, v6
	s_waitcnt_depctr 0xfff
	v_fma_f32 v5, v6, v5, 1.0
	v_cmp_gt_f32_e32 vcc_lo, 0x800000, v5
	v_cndmask_b32_e64 v6, 1.0, 0x4f800000, vcc_lo
	s_delay_alu instid0(VALU_DEP_1) | instskip(SKIP_2) | instid1(VALU_DEP_3)
	v_mul_f32_e32 v5, v5, v6
	v_cndmask_b32_e64 v6, 0, 0x42000000, vcc_lo
	v_cmp_lt_f32_e32 vcc_lo, 0x41a00000, v4
	v_log_f32_e32 v5, v5
	s_waitcnt_depctr 0xfff
	v_sub_f32_e32 v5, v5, v6
	s_delay_alu instid0(VALU_DEP_1) | instskip(NEXT) | instid1(VALU_DEP_1)
	v_mul_f32_e32 v5, 0x3f317218, v5
	v_cndmask_b32_e32 v4, v5, v4, vcc_lo
	s_delay_alu instid0(VALU_DEP_1) | instskip(SKIP_1) | instid1(VALU_DEP_2)
	v_mul_f32_e32 v5, 0x4f800000, v4
	v_cmp_gt_f32_e32 vcc_lo, 0xf800000, v4
	v_cndmask_b32_e32 v4, v4, v5, vcc_lo
	s_delay_alu instid0(VALU_DEP_1) | instskip(SKIP_3) | instid1(VALU_DEP_2)
	v_sqrt_f32_e32 v5, v4
	s_waitcnt_depctr 0xfff
	v_add_nc_u32_e32 v6, -1, v5
	v_add_nc_u32_e32 v7, 1, v5
	v_fma_f32 v8, -v6, v5, v4
	s_delay_alu instid0(VALU_DEP_2) | instskip(NEXT) | instid1(VALU_DEP_2)
	v_fma_f32 v9, -v7, v5, v4
	v_cmp_ge_f32_e64 s2, 0, v8
	s_delay_alu instid0(VALU_DEP_1) | instskip(NEXT) | instid1(VALU_DEP_3)
	v_cndmask_b32_e64 v5, v5, v6, s2
	v_cmp_lt_f32_e64 s2, 0, v9
	s_delay_alu instid0(VALU_DEP_1) | instskip(NEXT) | instid1(VALU_DEP_1)
	v_cndmask_b32_e64 v5, v5, v7, s2
	v_mul_f32_e32 v6, 0x37800000, v5
	s_delay_alu instid0(VALU_DEP_1) | instskip(SKIP_1) | instid1(VALU_DEP_2)
	v_cndmask_b32_e32 v5, v5, v6, vcc_lo
	v_cmp_class_f32_e64 vcc_lo, v4, 0x260
	v_cndmask_b32_e32 v4, v5, v4, vcc_lo
	v_cmp_ne_u32_e32 vcc_lo, 1, v14
	s_delay_alu instid0(VALU_DEP_2)
	;; [unrolled: 58-line block ×9, first 2 shown]
	v_mov_b32_e32 v47, v11
	s_cbranch_vccnz .LBB96_22
; %bb.21:
	global_load_u16 v15, v1, s[6:7] offset:640
	s_waitcnt vmcnt(0)
	v_lshlrev_b32_e32 v15, 16, v15
	s_delay_alu instid0(VALU_DEP_1)
	v_add_f32_e32 v47, v11, v15
.LBB96_22:
	global_load_b32 v12, v[12:13], off offset:1408
	s_waitcnt vmcnt(0)
	v_mul_f32_e32 v13, 0x3fb8aa3b, v12
	s_delay_alu instid0(VALU_DEP_1) | instskip(SKIP_2) | instid1(VALU_DEP_2)
	v_cmp_gt_f32_e32 vcc_lo, 0xc2fc0000, v13
	v_cndmask_b32_e64 v15, 0, 0x42800000, vcc_lo
	v_cndmask_b32_e64 v13, 1.0, 0x1f800000, vcc_lo
	v_fmac_f32_e32 v15, 0x3fb8aa3b, v12
	s_delay_alu instid0(VALU_DEP_1) | instskip(SKIP_2) | instid1(VALU_DEP_1)
	v_exp_f32_e32 v15, v15
	s_waitcnt_depctr 0xfff
	v_fma_f32 v13, v15, v13, 1.0
	v_cmp_gt_f32_e32 vcc_lo, 0x800000, v13
	v_cndmask_b32_e64 v15, 1.0, 0x4f800000, vcc_lo
	s_delay_alu instid0(VALU_DEP_1) | instskip(SKIP_2) | instid1(VALU_DEP_3)
	v_mul_f32_e32 v13, v13, v15
	v_cndmask_b32_e64 v15, 0, 0x42000000, vcc_lo
	v_cmp_lt_f32_e32 vcc_lo, 0x41a00000, v12
	v_log_f32_e32 v13, v13
	s_waitcnt_depctr 0xfff
	v_sub_f32_e32 v13, v13, v15
	s_delay_alu instid0(VALU_DEP_1) | instskip(NEXT) | instid1(VALU_DEP_1)
	v_mul_f32_e32 v13, 0x3f317218, v13
	v_cndmask_b32_e32 v12, v13, v12, vcc_lo
	s_delay_alu instid0(VALU_DEP_1) | instskip(SKIP_1) | instid1(VALU_DEP_2)
	v_mul_f32_e32 v13, 0x4f800000, v12
	v_cmp_gt_f32_e32 vcc_lo, 0xf800000, v12
	v_cndmask_b32_e32 v12, v12, v13, vcc_lo
	s_delay_alu instid0(VALU_DEP_1) | instskip(SKIP_3) | instid1(VALU_DEP_2)
	v_sqrt_f32_e32 v13, v12
	s_waitcnt_depctr 0xfff
	v_add_nc_u32_e32 v15, -1, v13
	v_add_nc_u32_e32 v16, 1, v13
	v_fma_f32 v17, -v15, v13, v12
	s_delay_alu instid0(VALU_DEP_2) | instskip(NEXT) | instid1(VALU_DEP_2)
	v_fma_f32 v18, -v16, v13, v12
	v_cmp_ge_f32_e64 s2, 0, v17
	s_delay_alu instid0(VALU_DEP_1) | instskip(NEXT) | instid1(VALU_DEP_3)
	v_cndmask_b32_e64 v13, v13, v15, s2
	v_cmp_lt_f32_e64 s2, 0, v18
	s_delay_alu instid0(VALU_DEP_1) | instskip(NEXT) | instid1(VALU_DEP_1)
	v_cndmask_b32_e64 v13, v13, v16, s2
	v_mul_f32_e32 v15, 0x37800000, v13
	s_delay_alu instid0(VALU_DEP_1) | instskip(SKIP_1) | instid1(VALU_DEP_2)
	v_cndmask_b32_e32 v13, v13, v15, vcc_lo
	v_cmp_class_f32_e64 vcc_lo, v12, 0x260
	v_cndmask_b32_e32 v12, v13, v12, vcc_lo
	v_cmp_ne_u32_e32 vcc_lo, 1, v14
	s_cbranch_vccnz .LBB96_24
; %bb.23:
	global_load_u16 v1, v1, s[6:7] offset:704
	s_waitcnt vmcnt(0)
	v_lshlrev_b32_e32 v1, 16, v1
	s_delay_alu instid0(VALU_DEP_1)
	v_add_f32_e32 v48, v12, v1
	s_branch .LBB96_25
.LBB96_24:
	s_delay_alu instid0(VALU_DEP_2)
	v_mov_b32_e32 v48, v12
.LBB96_25:
	v_dual_mov_b32 v13, v37 :: v_dual_add_nc_u32 v26, 32, v0
	v_dual_mov_b32 v14, v38 :: v_dual_add_nc_u32 v27, 64, v0
	;; [unrolled: 1-line block ×11, first 2 shown]
	v_dual_mov_b32 v24, v48 :: v_dual_mov_b32 v1, v49
	v_mov_b32_e32 v25, v0
	s_mov_b32 s2, exec_lo
	v_cmpx_lt_f32_e32 v37, v38
	s_xor_b32 s2, exec_lo, s2
; %bb.26:
	v_dual_mov_b32 v13, v38 :: v_dual_mov_b32 v14, v37
	v_dual_mov_b32 v15, v39 :: v_dual_mov_b32 v16, v40
	;; [unrolled: 1-line block ×8, first 2 shown]
	v_mov_b32_e32 v26, v0
; %bb.27:
	s_or_b32 exec_lo, exec_lo, s2
	v_dual_mov_b32 v37, v15 :: v_dual_mov_b32 v86, v12
	v_dual_mov_b32 v75, v1 :: v_dual_mov_b32 v146, v12
	;; [unrolled: 1-line block ×36, first 2 shown]
	s_clause 0x8
	scratch_store_b128 off, v[1:4], off
	scratch_store_b128 off, v[5:8], off offset:16
	scratch_store_b128 off, v[9:12], off offset:32
	;; [unrolled: 1-line block ×8, first 2 shown]
	v_dual_mov_b32 v73, v35 :: v_dual_mov_b32 v72, v34
	v_dual_mov_b32 v71, v33 :: v_dual_mov_b32 v70, v32
	;; [unrolled: 1-line block ×30, first 2 shown]
	v_mov_b32_e32 v159, v25
	s_clause 0x2
	scratch_store_b128 off, v[25:28], off offset:144
	scratch_store_b128 off, v[29:32], off offset:160
	;; [unrolled: 1-line block ×3, first 2 shown]
	s_mov_b32 s2, exec_lo
	v_dual_mov_b32 v182, v36 :: v_dual_mov_b32 v181, v35
	v_dual_mov_b32 v180, v34 :: v_dual_mov_b32 v179, v33
	;; [unrolled: 1-line block ×6, first 2 shown]
	v_cmpx_lt_f32_e32 v38, v15
	s_cbranch_execz .LBB96_29
; %bb.28:
	v_dual_mov_b32 v37, v38 :: v_dual_mov_b32 v182, v36
	v_dual_mov_b32 v173, v27 :: v_dual_mov_b32 v172, v26
	;; [unrolled: 1-line block ×14, first 2 shown]
	v_mov_b32_e32 v125, v2
	v_dual_mov_b32 v159, v171 :: v_dual_mov_b32 v162, v174
	v_dual_mov_b32 v161, v173 :: v_dual_mov_b32 v164, v176
	;; [unrolled: 1-line block ×6, first 2 shown]
	v_mov_b32_e32 v162, v28
	s_clause 0x2
	scratch_store_b128 off, v[123:126], off offset:96
	scratch_store_b128 off, v[127:130], off offset:112
	;; [unrolled: 1-line block ×3, first 2 shown]
	v_dual_mov_b32 v14, v15 :: v_dual_mov_b32 v15, v38
	v_dual_mov_b32 v43, v164 :: v_dual_mov_b32 v44, v165
	;; [unrolled: 1-line block ×7, first 2 shown]
	s_clause 0x2
	scratch_store_b128 off, v[38:41], off offset:144
	scratch_store_b128 off, v[42:45], off offset:160
	;; [unrolled: 1-line block ×3, first 2 shown]
	v_mov_b32_e32 v163, v29
	v_mov_b32_e32 v27, v26
	v_dual_mov_b32 v43, v128 :: v_dual_mov_b32 v44, v129
	v_dual_mov_b32 v47, v132 :: v_dual_mov_b32 v38, v123
	v_dual_mov_b32 v45, v130 :: v_dual_mov_b32 v48, v133
	v_dual_mov_b32 v46, v131 :: v_dual_mov_b32 v49, v134
	v_dual_mov_b32 v40, v125 :: v_dual_mov_b32 v39, v124
	v_mov_b32_e32 v41, v126
	v_dual_mov_b32 v147, v159 :: v_dual_mov_b32 v154, v166
	v_mov_b32_e32 v148, v160
	v_mov_b32_e32 v150, v162
	s_clause 0x2
	scratch_store_b128 off, v[38:41], off offset:48
	scratch_store_b128 off, v[42:45], off offset:64
	;; [unrolled: 1-line block ×3, first 2 shown]
	v_dual_mov_b32 v127, v5 :: v_dual_mov_b32 v152, v164
	v_dual_mov_b32 v153, v165 :: v_dual_mov_b32 v152, v30
	;; [unrolled: 1-line block ×7, first 2 shown]
	v_mov_b32_e32 v41, v126
	v_dual_mov_b32 v128, v6 :: v_dual_mov_b32 v99, v147
	v_dual_mov_b32 v105, v153 :: v_dual_mov_b32 v106, v154
	;; [unrolled: 1-line block ×3, first 2 shown]
	v_mov_b32_e32 v105, v31
	v_dual_mov_b32 v103, v151 :: v_dual_mov_b32 v104, v152
	v_dual_mov_b32 v107, v155 :: v_dual_mov_b32 v108, v156
	;; [unrolled: 1-line block ×6, first 2 shown]
	v_mov_b32_e32 v60, v132
	v_dual_mov_b32 v52, v124 :: v_dual_mov_b32 v55, v127
	v_dual_mov_b32 v58, v130 :: v_dual_mov_b32 v61, v133
	v_mov_b32_e32 v57, v7
	v_dual_mov_b32 v53, v125 :: v_dual_mov_b32 v56, v128
	s_clause 0x2
	scratch_store_b128 off, v[38:41], off
	scratch_store_b128 off, v[42:45], off offset:16
	scratch_store_b128 off, v[46:49], off offset:32
	v_dual_mov_b32 v39, v99 :: v_dual_mov_b32 v44, v104
	v_dual_mov_b32 v45, v105 :: v_dual_mov_b32 v50, v110
	;; [unrolled: 1-line block ×6, first 2 shown]
	v_mov_b32_e32 v122, v62
	v_dual_mov_b32 v46, v32 :: v_dual_mov_b32 v111, v51
	v_dual_mov_b32 v121, v61 :: v_dual_mov_b32 v120, v60
	;; [unrolled: 1-line block ×6, first 2 shown]
	v_mov_b32_e32 v118, v8
	v_dual_mov_b32 v98, v50 :: v_dual_mov_b32 v97, v49
	v_dual_mov_b32 v96, v48 :: v_dual_mov_b32 v95, v47
	;; [unrolled: 1-line block ×7, first 2 shown]
	v_mov_b32_e32 v135, v111
	v_dual_mov_b32 v3, v2 :: v_dual_mov_b32 v144, v120
	v_dual_mov_b32 v145, v121 :: v_dual_mov_b32 v142, v118
	v_dual_mov_b32 v143, v119 :: v_dual_mov_b32 v140, v116
	v_dual_mov_b32 v141, v117 :: v_dual_mov_b32 v138, v114
	v_dual_mov_b32 v139, v115 :: v_dual_mov_b32 v136, v112
	v_mov_b32_e32 v137, v113
	v_mov_b32_e32 v143, v9
	v_dual_mov_b32 v63, v87 :: v_dual_mov_b32 v70, v94
	v_mov_b32_e32 v64, v88
	v_mov_b32_e32 v66, v90
	v_dual_mov_b32 v68, v92 :: v_dual_mov_b32 v75, v135
	v_dual_mov_b32 v80, v140 :: v_dual_mov_b32 v65, v89
	;; [unrolled: 1-line block ×13, first 2 shown]
.LBB96_29:
	s_or_b32 exec_lo, exec_lo, s2
	v_mov_b32_e32 v1, v16
	s_mov_b32 s2, exec_lo
	v_cmpx_lt_f32_e32 v37, v16
	s_cbranch_execz .LBB96_31
; %bb.30:
	s_clause 0x2
	scratch_load_b128 v[38:41], off, off offset:96
	scratch_load_b128 v[42:45], off, off offset:112
	;; [unrolled: 1-line block ×3, first 2 shown]
	v_mov_b32_e32 v173, v28
	v_dual_mov_b32 v15, v16 :: v_dual_mov_b32 v16, v37
	v_dual_mov_b32 v1, v37 :: v_dual_mov_b32 v28, v27
	s_waitcnt vmcnt(2)
	v_dual_mov_b32 v124, v39 :: v_dual_mov_b32 v123, v38
	s_waitcnt vmcnt(0)
	v_dual_mov_b32 v134, v49 :: v_dual_mov_b32 v125, v4
	v_dual_mov_b32 v159, v171 :: v_dual_mov_b32 v160, v172
	v_mov_b32_e32 v162, v174
	v_dual_mov_b32 v38, v123 :: v_dual_mov_b32 v39, v124
	v_dual_mov_b32 v161, v173 :: v_dual_mov_b32 v164, v176
	;; [unrolled: 1-line block ×10, first 2 shown]
	v_mov_b32_e32 v126, v41
	s_clause 0x2
	scratch_store_b128 off, v[38:41], off offset:96
	scratch_store_b128 off, v[42:45], off offset:112
	;; [unrolled: 1-line block ×3, first 2 shown]
	v_dual_mov_b32 v43, v164 :: v_dual_mov_b32 v38, v159
	v_dual_mov_b32 v41, v162 :: v_dual_mov_b32 v126, v3
	;; [unrolled: 1-line block ×7, first 2 shown]
	s_clause 0x2
	scratch_store_b128 off, v[38:41], off offset:144
	scratch_store_b128 off, v[42:45], off offset:160
	;; [unrolled: 1-line block ×3, first 2 shown]
	v_dual_mov_b32 v43, v128 :: v_dual_mov_b32 v46, v131
	v_dual_mov_b32 v49, v134 :: v_dual_mov_b32 v38, v123
	;; [unrolled: 1-line block ×5, first 2 shown]
	v_mov_b32_e32 v41, v126
	v_dual_mov_b32 v147, v159 :: v_dual_mov_b32 v152, v164
	v_dual_mov_b32 v148, v160 :: v_dual_mov_b32 v127, v5
	;; [unrolled: 1-line block ×7, first 2 shown]
	s_clause 0x2
	scratch_store_b128 off, v[38:41], off offset:48
	scratch_store_b128 off, v[42:45], off offset:64
	;; [unrolled: 1-line block ×3, first 2 shown]
	v_dual_mov_b32 v38, v123 :: v_dual_mov_b32 v39, v124
	v_dual_mov_b32 v40, v125 :: v_dual_mov_b32 v41, v126
	v_mov_b32_e32 v42, v127
	v_dual_mov_b32 v128, v6 :: v_dual_mov_b32 v99, v147
	v_dual_mov_b32 v106, v154 :: v_dual_mov_b32 v107, v155
	;; [unrolled: 1-line block ×3, first 2 shown]
	v_mov_b32_e32 v52, v124
	v_dual_mov_b32 v100, v148 :: v_dual_mov_b32 v101, v149
	v_dual_mov_b32 v102, v150 :: v_dual_mov_b32 v103, v151
	;; [unrolled: 1-line block ×6, first 2 shown]
	v_mov_b32_e32 v105, v31
	v_dual_mov_b32 v57, v129 :: v_dual_mov_b32 v58, v130
	v_dual_mov_b32 v53, v125 :: v_dual_mov_b32 v54, v126
	;; [unrolled: 1-line block ×3, first 2 shown]
	v_mov_b32_e32 v57, v7
	s_clause 0x2
	scratch_store_b128 off, v[38:41], off
	scratch_store_b128 off, v[42:45], off offset:16
	scratch_store_b128 off, v[46:49], off offset:32
	v_dual_mov_b32 v39, v99 :: v_dual_mov_b32 v42, v102
	v_dual_mov_b32 v47, v107 :: v_dual_mov_b32 v50, v110
	;; [unrolled: 1-line block ×9, first 2 shown]
	v_mov_b32_e32 v46, v32
	v_dual_mov_b32 v118, v58 :: v_dual_mov_b32 v117, v57
	v_dual_mov_b32 v116, v56 :: v_dual_mov_b32 v115, v55
	v_dual_mov_b32 v114, v54 :: v_dual_mov_b32 v113, v53
	v_mov_b32_e32 v118, v8
	v_dual_mov_b32 v98, v50 :: v_dual_mov_b32 v95, v47
	v_dual_mov_b32 v97, v49 :: v_dual_mov_b32 v90, v42
	;; [unrolled: 1-line block ×9, first 2 shown]
	v_mov_b32_e32 v89, v41
	v_dual_mov_b32 v143, v9 :: v_dual_mov_b32 v142, v118
	v_dual_mov_b32 v141, v117 :: v_dual_mov_b32 v140, v116
	;; [unrolled: 1-line block ×3, first 2 shown]
	v_mov_b32_e32 v137, v113
	v_dual_mov_b32 v63, v87 :: v_dual_mov_b32 v66, v90
	v_dual_mov_b32 v64, v88 :: v_dual_mov_b32 v75, v135
	;; [unrolled: 1-line block ×13, first 2 shown]
	v_mov_b32_e32 v82, v142
	v_dual_mov_b32 v84, v10 :: v_dual_mov_b32 v85, v11
	v_mov_b32_e32 v86, v12
.LBB96_31:
	s_or_b32 exec_lo, exec_lo, s2
	v_mov_b32_e32 v2, v17
	s_mov_b32 s2, exec_lo
	v_cmpx_lt_f32_e32 v1, v17
	s_cbranch_execz .LBB96_33
; %bb.32:
	s_clause 0x2
	scratch_load_b128 v[37:40], off, off offset:96
	scratch_load_b128 v[41:44], off, off offset:112
	;; [unrolled: 1-line block ×3, first 2 shown]
	v_mov_b32_e32 v174, v29
	v_dual_mov_b32 v2, v1 :: v_dual_mov_b32 v29, v28
	v_mov_b32_e32 v16, v17
	s_waitcnt vmcnt(0)
	v_dual_mov_b32 v74, v48 :: v_dual_mov_b32 v71, v45
	v_dual_mov_b32 v68, v42 :: v_dual_mov_b32 v65, v39
	;; [unrolled: 1-line block ×18, first 2 shown]
	v_mov_b32_e32 v125, v65
	v_mov_b32_e32 v127, v4
	v_dual_mov_b32 v147, v159 :: v_dual_mov_b32 v148, v160
	v_dual_mov_b32 v153, v165 :: v_dual_mov_b32 v156, v168
	;; [unrolled: 1-line block ×3, first 2 shown]
	v_mov_b32_e32 v157, v169
	v_dual_mov_b32 v151, v163 :: v_dual_mov_b32 v154, v166
	v_dual_mov_b32 v149, v161 :: v_dual_mov_b32 v152, v164
	;; [unrolled: 1-line block ×4, first 2 shown]
	v_mov_b32_e32 v38, v124
	v_dual_mov_b32 v152, v30 :: v_dual_mov_b32 v45, v131
	v_dual_mov_b32 v46, v132 :: v_dual_mov_b32 v47, v133
	;; [unrolled: 1-line block ×13, first 2 shown]
	s_clause 0x2
	scratch_store_b128 off, v[37:40], off
	scratch_store_b128 off, v[41:44], off offset:16
	scratch_store_b128 off, v[45:48], off offset:32
	v_dual_mov_b32 v57, v129 :: v_dual_mov_b32 v60, v132
	v_dual_mov_b32 v55, v127 :: v_dual_mov_b32 v58, v130
	v_mov_b32_e32 v61, v133
	v_mov_b32_e32 v57, v7
	v_dual_mov_b32 v39, v99 :: v_dual_mov_b32 v44, v104
	v_dual_mov_b32 v17, v1 :: v_dual_mov_b32 v52, v124
	;; [unrolled: 1-line block ×8, first 2 shown]
	v_mov_b32_e32 v122, v62
	v_dual_mov_b32 v46, v32 :: v_dual_mov_b32 v119, v59
	v_dual_mov_b32 v118, v58 :: v_dual_mov_b32 v111, v51
	;; [unrolled: 1-line block ×6, first 2 shown]
	v_mov_b32_e32 v112, v52
	v_dual_mov_b32 v98, v50 :: v_dual_mov_b32 v97, v49
	v_dual_mov_b32 v96, v48 :: v_dual_mov_b32 v95, v47
	;; [unrolled: 1-line block ×8, first 2 shown]
	v_mov_b32_e32 v135, v111
	v_dual_mov_b32 v145, v121 :: v_dual_mov_b32 v144, v120
	v_dual_mov_b32 v141, v117 :: v_dual_mov_b32 v140, v116
	v_mov_b32_e32 v143, v9
	v_dual_mov_b32 v139, v115 :: v_dual_mov_b32 v138, v114
	v_dual_mov_b32 v137, v113 :: v_dual_mov_b32 v136, v112
	s_clause 0x5
	scratch_store_b128 off, v[63:66], off offset:48
	scratch_store_b128 off, v[67:70], off offset:64
	;; [unrolled: 1-line block ×6, first 2 shown]
	v_dual_mov_b32 v63, v87 :: v_dual_mov_b32 v68, v92
	v_mov_b32_e32 v64, v88
	v_dual_mov_b32 v66, v90 :: v_dual_mov_b32 v75, v135
	v_dual_mov_b32 v78, v138 :: v_dual_mov_b32 v67, v91
	;; [unrolled: 1-line block ×14, first 2 shown]
.LBB96_33:
	s_or_b32 exec_lo, exec_lo, s2
	v_mov_b32_e32 v1, v18
	s_mov_b32 s2, exec_lo
	v_cmpx_lt_f32_e32 v2, v18
	s_cbranch_execz .LBB96_35
; %bb.34:
	s_clause 0x2
	scratch_load_b128 v[37:40], off, off offset:144
	scratch_load_b128 v[41:44], off, off offset:160
	;; [unrolled: 1-line block ×3, first 2 shown]
	s_waitcnt vmcnt(0)
	v_dual_mov_b32 v17, v18 :: v_dual_mov_b32 v170, v48
	v_dual_mov_b32 v169, v47 :: v_dual_mov_b32 v162, v40
	;; [unrolled: 1-line block ×6, first 2 shown]
	s_clause 0x2
	scratch_load_b128 v[37:40], off, off offset:48
	scratch_load_b128 v[41:44], off, off offset:64
	;; [unrolled: 1-line block ×3, first 2 shown]
	v_dual_mov_b32 v163, v30 :: v_dual_mov_b32 v30, v29
	s_waitcnt vmcnt(0)
	v_mov_b32_e32 v74, v48
	v_dual_mov_b32 v66, v40 :: v_dual_mov_b32 v63, v37
	v_dual_mov_b32 v73, v47 :: v_dual_mov_b32 v64, v38
	;; [unrolled: 1-line block ×5, first 2 shown]
	v_mov_b32_e32 v69, v43
	v_dual_mov_b32 v67, v6 :: v_dual_mov_b32 v148, v160
	v_dual_mov_b32 v134, v74 :: v_dual_mov_b32 v133, v73
	;; [unrolled: 1-line block ×12, first 2 shown]
	v_mov_b32_e32 v128, v5
	v_dual_mov_b32 v152, v29 :: v_dual_mov_b32 v51, v123
	v_dual_mov_b32 v99, v147 :: v_dual_mov_b32 v108, v156
	;; [unrolled: 1-line block ×13, first 2 shown]
	v_mov_b32_e32 v57, v7
	v_dual_mov_b32 v39, v99 :: v_dual_mov_b32 v40, v100
	v_dual_mov_b32 v49, v109 :: v_dual_mov_b32 v50, v110
	s_delay_alu instid0(VALU_DEP_4)
	v_dual_mov_b32 v122, v62 :: v_dual_mov_b32 v121, v61
	v_dual_mov_b32 v43, v103 :: v_dual_mov_b32 v44, v104
	;; [unrolled: 1-line block ×10, first 2 shown]
	v_mov_b32_e32 v46, v32
	v_mov_b32_e32 v118, v8
	v_dual_mov_b32 v98, v50 :: v_dual_mov_b32 v93, v45
	v_dual_mov_b32 v97, v49 :: v_dual_mov_b32 v146, v122
	;; [unrolled: 1-line block ×13, first 2 shown]
	v_mov_b32_e32 v137, v113
	s_clause 0x2
	scratch_store_b128 off, v[63:66], off
	scratch_store_b128 off, v[67:70], off offset:16
	scratch_store_b128 off, v[71:74], off offset:32
	v_dual_mov_b32 v63, v87 :: v_dual_mov_b32 v66, v90
	v_dual_mov_b32 v75, v135 :: v_dual_mov_b32 v78, v138
	;; [unrolled: 1-line block ×15, first 2 shown]
	v_mov_b32_e32 v86, v12
	v_mov_b32_e32 v6, v5
.LBB96_35:
	s_or_b32 exec_lo, exec_lo, s2
	v_mov_b32_e32 v2, v19
	s_mov_b32 s2, exec_lo
	v_cmpx_lt_f32_e32 v1, v19
	s_cbranch_execz .LBB96_37
; %bb.36:
	s_clause 0x2
	scratch_load_b128 v[37:40], off, off
	scratch_load_b128 v[41:44], off, off offset:16
	scratch_load_b128 v[45:48], off, off offset:32
	v_mov_b32_e32 v164, v31
	v_dual_mov_b32 v2, v1 :: v_dual_mov_b32 v31, v30
	v_mov_b32_e32 v18, v19
	s_waitcnt vmcnt(0)
	v_dual_mov_b32 v134, v48 :: v_dual_mov_b32 v133, v47
	v_dual_mov_b32 v130, v44 :: v_dual_mov_b32 v127, v41
	v_dual_mov_b32 v124, v38 :: v_dual_mov_b32 v123, v37
	v_dual_mov_b32 v132, v46 :: v_dual_mov_b32 v129, v43
	v_dual_mov_b32 v131, v45 :: v_dual_mov_b32 v128, v7
	v_dual_mov_b32 v126, v40 :: v_dual_mov_b32 v125, v39
	v_dual_mov_b32 v99, v159 :: v_dual_mov_b32 v100, v160
	v_dual_mov_b32 v101, v161 :: v_dual_mov_b32 v110, v170
	v_dual_mov_b32 v51, v123 :: v_dual_mov_b32 v104, v164
	v_dual_mov_b32 v105, v165 :: v_dual_mov_b32 v56, v128
	v_dual_mov_b32 v57, v129 :: v_dual_mov_b32 v102, v162
	v_dual_mov_b32 v103, v163 :: v_dual_mov_b32 v106, v166
	v_dual_mov_b32 v107, v167 :: v_dual_mov_b32 v108, v168
	v_dual_mov_b32 v109, v169 :: v_dual_mov_b32 v52, v124
	v_dual_mov_b32 v53, v125 :: v_dual_mov_b32 v54, v126
	v_dual_mov_b32 v55, v127 :: v_dual_mov_b32 v58, v130
	v_dual_mov_b32 v59, v131 :: v_dual_mov_b32 v60, v132
	v_mov_b32_e32 v61, v133
	v_mov_b32_e32 v57, v6
	;; [unrolled: 1-line block ×3, first 2 shown]
	v_dual_mov_b32 v62, v134 :: v_dual_mov_b32 v39, v99
	v_dual_mov_b32 v147, v159 :: v_dual_mov_b32 v148, v160
	s_delay_alu instid0(VALU_DEP_2)
	v_dual_mov_b32 v149, v161 :: v_dual_mov_b32 v122, v62
	v_dual_mov_b32 v120, v60 :: v_dual_mov_b32 v49, v109
	v_mov_b32_e32 v50, v110
	v_dual_mov_b32 v40, v100 :: v_dual_mov_b32 v119, v59
	v_dual_mov_b32 v118, v58 :: v_dual_mov_b32 v115, v55
	v_dual_mov_b32 v114, v54 :: v_dual_mov_b32 v111, v51
	v_dual_mov_b32 v41, v101 :: v_dual_mov_b32 v42, v102
	v_dual_mov_b32 v47, v107 :: v_dual_mov_b32 v48, v108
	v_dual_mov_b32 v45, v105 :: v_dual_mov_b32 v46, v106
	v_mov_b32_e32 v121, v61
	v_dual_mov_b32 v117, v57 :: v_dual_mov_b32 v116, v56
	v_dual_mov_b32 v113, v53 :: v_dual_mov_b32 v112, v52
	;; [unrolled: 1-line block ×3, first 2 shown]
	v_mov_b32_e32 v46, v32
	v_mov_b32_e32 v118, v8
	v_dual_mov_b32 v98, v50 :: v_dual_mov_b32 v95, v47
	v_dual_mov_b32 v97, v49 :: v_dual_mov_b32 v146, v122
	;; [unrolled: 1-line block ×4, first 2 shown]
	v_mov_b32_e32 v87, v39
	v_dual_mov_b32 v143, v9 :: v_dual_mov_b32 v96, v48
	v_dual_mov_b32 v93, v45 :: v_dual_mov_b32 v88, v40
	;; [unrolled: 1-line block ×8, first 2 shown]
	v_mov_b32_e32 v137, v113
	v_dual_mov_b32 v75, v135 :: v_dual_mov_b32 v78, v138
	v_dual_mov_b32 v63, v87 :: v_dual_mov_b32 v66, v90
	;; [unrolled: 1-line block ×14, first 2 shown]
	v_mov_b32_e32 v74, v36
	v_dual_mov_b32 v84, v10 :: v_dual_mov_b32 v85, v11
	v_dual_mov_b32 v150, v162 :: v_dual_mov_b32 v151, v163
	;; [unrolled: 1-line block ×5, first 2 shown]
	v_mov_b32_e32 v158, v170
	v_mov_b32_e32 v7, v6
.LBB96_37:
	s_or_b32 exec_lo, exec_lo, s2
	v_mov_b32_e32 v1, v20
	s_mov_b32 s2, exec_lo
	v_cmpx_lt_f32_e32 v2, v20
	s_cbranch_execz .LBB96_39
; %bb.38:
	v_mov_b32_e32 v129, v8
	v_mov_b32_e32 v153, v32
	v_dual_mov_b32 v111, v123 :: v_dual_mov_b32 v114, v126
	v_dual_mov_b32 v39, v147 :: v_dual_mov_b32 v40, v148
	;; [unrolled: 1-line block ×10, first 2 shown]
	v_mov_b32_e32 v120, v132
	v_dual_mov_b32 v116, v128 :: v_dual_mov_b32 v121, v133
	v_mov_b32_e32 v46, v31
	v_dual_mov_b32 v119, v131 :: v_dual_mov_b32 v98, v50
	v_dual_mov_b32 v118, v7 :: v_dual_mov_b32 v97, v49
	;; [unrolled: 1-line block ×13, first 2 shown]
	v_mov_b32_e32 v95, v33
	v_dual_mov_b32 v19, v20 :: v_dual_mov_b32 v20, v2
	v_mov_b32_e32 v143, v9
	v_dual_mov_b32 v63, v87 :: v_dual_mov_b32 v68, v92
	v_dual_mov_b32 v64, v88 :: v_dual_mov_b32 v75, v135
	;; [unrolled: 1-line block ×11, first 2 shown]
	v_mov_b32_e32 v70, v94
	v_dual_mov_b32 v66, v90 :: v_dual_mov_b32 v71, v95
	v_dual_mov_b32 v76, v136 :: v_dual_mov_b32 v77, v137
	;; [unrolled: 1-line block ×15, first 2 shown]
	v_mov_b32_e32 v110, v158
	v_dual_mov_b32 v1, v2 :: v_dual_mov_b32 v8, v7
	v_mov_b32_e32 v32, v31
.LBB96_39:
	s_or_b32 exec_lo, exec_lo, s2
	v_mov_b32_e32 v2, v21
	s_mov_b32 s2, exec_lo
	v_cmpx_lt_f32_e32 v1, v21
	s_cbranch_execz .LBB96_41
; %bb.40:
	v_mov_b32_e32 v58, v9
	v_mov_b32_e32 v106, v33
	v_dual_mov_b32 v146, v62 :: v_dual_mov_b32 v143, v59
	v_mov_b32_e32 v87, v99
	s_delay_alu instid0(VALU_DEP_3)
	v_dual_mov_b32 v141, v57 :: v_dual_mov_b32 v94, v106
	v_dual_mov_b32 v95, v107 :: v_dual_mov_b32 v140, v56
	;; [unrolled: 1-line block ×6, first 2 shown]
	v_mov_b32_e32 v95, v32
	v_dual_mov_b32 v143, v8 :: v_dual_mov_b32 v20, v21
	v_dual_mov_b32 v88, v100 :: v_dual_mov_b32 v89, v101
	;; [unrolled: 1-line block ×7, first 2 shown]
	s_delay_alu instid0(VALU_DEP_2)
	v_dual_mov_b32 v75, v135 :: v_dual_mov_b32 v76, v136
	v_dual_mov_b32 v122, v62 :: v_dual_mov_b32 v117, v57
	;; [unrolled: 1-line block ×25, first 2 shown]
	v_mov_b32_e32 v48, v108
	v_dual_mov_b32 v50, v110 :: v_dual_mov_b32 v9, v8
	v_dual_mov_b32 v2, v1 :: v_dual_mov_b32 v33, v32
.LBB96_41:
	s_or_b32 exec_lo, exec_lo, s2
	v_mov_b32_e32 v3, v22
	s_mov_b32 s2, exec_lo
	s_delay_alu instid0(VALU_DEP_2)
	v_cmpx_lt_f32_e32 v2, v22
	s_cbranch_execz .LBB96_43
; %bb.42:
	v_mov_b32_e32 v47, v34
	v_mov_b32_e32 v74, v50
	v_dual_mov_b32 v21, v22 :: v_dual_mov_b32 v72, v48
	v_dual_mov_b32 v72, v33 :: v_dual_mov_b32 v119, v10
	;; [unrolled: 1-line block ×3, first 2 shown]
	v_mov_b32_e32 v78, v114
	v_dual_mov_b32 v22, v2 :: v_dual_mov_b32 v73, v49
	v_dual_mov_b32 v81, v117 :: v_dual_mov_b32 v84, v120
	;; [unrolled: 1-line block ×7, first 2 shown]
	v_mov_b32_e32 v69, v45
	v_dual_mov_b32 v67, v43 :: v_dual_mov_b32 v66, v42
	v_dual_mov_b32 v65, v41 :: v_dual_mov_b32 v64, v40
	;; [unrolled: 1-line block ×18, first 2 shown]
	v_mov_b32_e32 v34, v33
.LBB96_43:
	s_or_b32 exec_lo, exec_lo, s2
	v_mov_b32_e32 v1, v23
	s_mov_b32 s2, exec_lo
	v_cmpx_lt_f32_e32 v3, v23
	s_cbranch_execz .LBB96_45
; %bb.44:
	v_dual_mov_b32 v144, v11 :: v_dual_mov_b32 v145, v10
	v_dual_mov_b32 v96, v35 :: v_dual_mov_b32 v97, v34
	v_mov_b32_e32 v146, v12
	v_mov_b32_e32 v22, v23
	v_dual_mov_b32 v23, v3 :: v_dual_mov_b32 v98, v36
	v_dual_mov_b32 v75, v135 :: v_dual_mov_b32 v84, v144
	;; [unrolled: 1-line block ×3, first 2 shown]
	v_mov_b32_e32 v79, v139
	v_dual_mov_b32 v77, v137 :: v_dual_mov_b32 v78, v138
	v_dual_mov_b32 v81, v141 :: v_dual_mov_b32 v80, v140
	;; [unrolled: 1-line block ×10, first 2 shown]
.LBB96_45:
	s_or_b32 exec_lo, exec_lo, s2
	s_delay_alu instid0(VALU_DEP_1)
	v_cmp_lt_f32_e32 vcc_lo, v1, v24
	v_mov_b32_e32 v42, v78
	v_cmp_lt_f32_e64 s2, v13, v14
	v_dual_mov_b32 v40, v76 :: v_dual_mov_b32 v41, v77
	v_dual_cndmask_b32 v12, v24, v1 :: v_dual_mov_b32 v43, v79
	v_dual_cndmask_b32 v23, v23, v24 :: v_dual_cndmask_b32 v50, v86, v85
	s_delay_alu instid0(VALU_DEP_2) | instskip(SKIP_2) | instid1(VALU_DEP_3)
	v_dual_mov_b32 v39, v75 :: v_dual_mov_b32 v24, v12
	v_dual_cndmask_b32 v49, v85, v86 :: v_dual_mov_b32 v44, v80
	v_dual_cndmask_b32 v61, v73, v74 :: v_dual_cndmask_b32 v62, v74, v73
	v_dual_mov_b32 v38, v24 :: v_dual_mov_b32 v35, v21
	v_dual_mov_b32 v37, v23 :: v_dual_mov_b32 v36, v22
	;; [unrolled: 1-line block ×13, first 2 shown]
	s_and_saveexec_b32 s3, s2
	s_delay_alu instid0(SALU_CYCLE_1)
	s_xor_b32 s2, exec_lo, s3
	s_cbranch_execz .LBB96_47
; %bb.46:
	v_dual_mov_b32 v1, v14 :: v_dual_mov_b32 v2, v13
	v_dual_mov_b32 v3, v15 :: v_dual_mov_b32 v4, v16
	;; [unrolled: 1-line block ×6, first 2 shown]
	s_delay_alu instid0(VALU_DEP_2) | instskip(NEXT) | instid1(VALU_DEP_2)
	v_dual_mov_b32 v38, v12 :: v_dual_mov_b32 v35, v9
	v_dual_mov_b32 v36, v10 :: v_dual_mov_b32 v37, v11
	;; [unrolled: 1-line block ×16, first 2 shown]
.LBB96_47:
	s_or_b32 exec_lo, exec_lo, s2
	v_dual_mov_b32 v13, v29 :: v_dual_mov_b32 v122, v50
	v_dual_mov_b32 v15, v39 :: v_dual_mov_b32 v16, v40
	;; [unrolled: 1-line block ×30, first 2 shown]
	v_mov_b32_e32 v135, v39
	s_clause 0x2
	scratch_store_b128 off, v[39:42], off offset:48
	scratch_store_b128 off, v[43:46], off offset:64
	scratch_store_b128 off, v[47:50], off offset:80
	v_dual_mov_b32 v1, v51 :: v_dual_mov_b32 v4, v54
	v_dual_mov_b32 v11, v61 :: v_dual_mov_b32 v74, v62
	;; [unrolled: 1-line block ×34, first 2 shown]
	v_mov_b32_e32 v159, v51
	s_mov_b32 s2, exec_lo
	v_dual_mov_b32 v73, v61 :: v_dual_mov_b32 v72, v60
	v_mov_b32_e32 v2, v52
	s_clause 0x2
	scratch_store_b128 off, v[51:54], off
	scratch_store_b128 off, v[55:58], off offset:16
	scratch_store_b128 off, v[59:62], off offset:32
	v_dual_mov_b32 v182, v50 :: v_dual_mov_b32 v181, v49
	v_dual_mov_b32 v180, v48 :: v_dual_mov_b32 v179, v47
	;; [unrolled: 1-line block ×6, first 2 shown]
	v_cmpx_lt_f32_e32 v14, v29
	s_cbranch_execz .LBB96_49
; %bb.48:
	v_dual_mov_b32 v170, v62 :: v_dual_mov_b32 v169, v61
	v_dual_mov_b32 v162, v54 :: v_dual_mov_b32 v161, v53
	;; [unrolled: 1-line block ×7, first 2 shown]
	s_clause 0x2
	scratch_store_b128 off, v[159:162], off
	scratch_store_b128 off, v[163:166], off offset:16
	scratch_store_b128 off, v[167:170], off offset:32
	v_dual_mov_b32 v182, v50 :: v_dual_mov_b32 v181, v49
	v_dual_mov_b32 v172, v40 :: v_dual_mov_b32 v171, v39
	;; [unrolled: 1-line block ×8, first 2 shown]
	s_delay_alu instid0(VALU_DEP_3)
	v_dual_mov_b32 v140, v176 :: v_dual_mov_b32 v141, v177
	v_dual_mov_b32 v138, v174 :: v_dual_mov_b32 v139, v175
	;; [unrolled: 1-line block ×3, first 2 shown]
	v_mov_b32_e32 v146, v182
	v_dual_mov_b32 v136, v172 :: v_dual_mov_b32 v137, v173
	v_mov_b32_e32 v138, v42
	v_dual_mov_b32 v142, v178 :: v_dual_mov_b32 v143, v179
	v_mov_b32_e32 v53, v52
	v_mov_b32_e32 v139, v43
	;; [unrolled: 1-line block ×3, first 2 shown]
	v_dual_mov_b32 v147, v159 :: v_dual_mov_b32 v148, v160
	v_mov_b32_e32 v151, v163
	v_dual_mov_b32 v149, v161 :: v_dual_mov_b32 v150, v162
	v_dual_mov_b32 v153, v165 :: v_dual_mov_b32 v152, v164
	;; [unrolled: 1-line block ×16, first 2 shown]
	v_mov_b32_e32 v122, v146
	v_dual_mov_b32 v114, v138 :: v_dual_mov_b32 v117, v141
	v_dual_mov_b32 v116, v140 :: v_dual_mov_b32 v119, v143
	;; [unrolled: 1-line block ×14, first 2 shown]
	v_mov_b32_e32 v82, v118
	v_dual_mov_b32 v76, v112 :: v_dual_mov_b32 v81, v117
	v_dual_mov_b32 v80, v116 :: v_dual_mov_b32 v85, v121
	v_dual_mov_b32 v84, v120 :: v_dual_mov_b32 v63, v87
	v_dual_mov_b32 v8, v142 :: v_dual_mov_b32 v11, v145
	v_dual_mov_b32 v12, v146 :: v_dual_mov_b32 v3, v137
	v_dual_mov_b32 v28, v29 :: v_dual_mov_b32 v79, v115
	v_mov_b32_e32 v81, v45
	v_dual_mov_b32 v65, v89 :: v_dual_mov_b32 v72, v96
	v_mov_b32_e32 v29, v14
	s_delay_alu instid0(VALU_DEP_3)
	v_dual_mov_b32 v110, v86 :: v_dual_mov_b32 v105, v81
	v_dual_mov_b32 v70, v94 :: v_dual_mov_b32 v73, v97
	v_dual_mov_b32 v106, v82 :: v_dual_mov_b32 v103, v79
	v_dual_mov_b32 v102, v78 :: v_dual_mov_b32 v99, v75
	v_dual_mov_b32 v64, v88 :: v_dual_mov_b32 v67, v91
	v_dual_mov_b32 v66, v90 :: v_dual_mov_b32 v69, v93
	v_dual_mov_b32 v68, v92 :: v_dual_mov_b32 v71, v95
	v_dual_mov_b32 v74, v98 :: v_dual_mov_b32 v109, v85
	v_dual_mov_b32 v70, v58 :: v_dual_mov_b32 v107, v83
	v_dual_mov_b32 v13, v14 :: v_dual_mov_b32 v108, v84
	v_dual_mov_b32 v104, v80 :: v_dual_mov_b32 v101, v77
	v_mov_b32_e32 v106, v46
	s_clause 0x2
	scratch_store_b128 off, v[1:4], off offset:48
	scratch_store_b128 off, v[5:8], off offset:64
	;; [unrolled: 1-line block ×3, first 2 shown]
	v_dual_mov_b32 v100, v76 :: v_dual_mov_b32 v1, v63
	v_dual_mov_b32 v10, v72 :: v_dual_mov_b32 v3, v65
	;; [unrolled: 1-line block ×16, first 2 shown]
	v_mov_b32_e32 v26, v50
.LBB96_49:
	s_or_b32 exec_lo, exec_lo, s2
	v_mov_b32_e32 v14, v30
	s_mov_b32 s2, exec_lo
	v_cmpx_lt_f32_e32 v13, v30
	s_cbranch_execz .LBB96_51
; %bb.50:
	s_clause 0x2
	scratch_load_b128 v[1:4], off, off
	scratch_load_b128 v[5:8], off, off offset:16
	scratch_load_b128 v[9:12], off, off offset:32
	v_mov_b32_e32 v161, v54
	v_dual_mov_b32 v29, v30 :: v_dual_mov_b32 v30, v13
	v_mov_b32_e32 v54, v53
	s_waitcnt vmcnt(0)
	v_dual_mov_b32 v170, v12 :: v_dual_mov_b32 v169, v11
	v_mov_b32_e32 v162, v4
	v_dual_mov_b32 v162, v53 :: v_dual_mov_b32 v173, v42
	v_dual_mov_b32 v160, v2 :: v_dual_mov_b32 v135, v171
	;; [unrolled: 1-line block ×4, first 2 shown]
	v_mov_b32_e32 v165, v7
	s_delay_alu instid0(VALU_DEP_3)
	v_dual_mov_b32 v1, v159 :: v_dual_mov_b32 v2, v160
	v_dual_mov_b32 v136, v172 :: v_dual_mov_b32 v3, v161
	v_mov_b32_e32 v138, v174
	v_dual_mov_b32 v164, v6 :: v_dual_mov_b32 v163, v5
	s_clause 0x2
	scratch_store_b128 off, v[1:4], off
	scratch_store_b128 off, v[5:8], off offset:16
	scratch_store_b128 off, v[9:12], off offset:32
	v_dual_mov_b32 v137, v173 :: v_dual_mov_b32 v140, v176
	v_dual_mov_b32 v138, v41 :: v_dual_mov_b32 v147, v159
	;; [unrolled: 1-line block ×12, first 2 shown]
	v_mov_b32_e32 v139, v43
	v_dual_mov_b32 v123, v147 :: v_dual_mov_b32 v126, v150
	v_dual_mov_b32 v124, v148 :: v_dual_mov_b32 v111, v135
	;; [unrolled: 1-line block ×3, first 2 shown]
	s_delay_alu instid0(VALU_DEP_4)
	v_dual_mov_b32 v128, v152 :: v_dual_mov_b32 v115, v139
	v_dual_mov_b32 v116, v140 :: v_dual_mov_b32 v121, v145
	;; [unrolled: 1-line block ×6, first 2 shown]
	v_mov_b32_e32 v128, v56
	v_dual_mov_b32 v116, v44 :: v_dual_mov_b32 v87, v123
	v_dual_mov_b32 v113, v137 :: v_dual_mov_b32 v114, v138
	v_dual_mov_b32 v117, v141 :: v_dual_mov_b32 v118, v142
	v_dual_mov_b32 v119, v143 :: v_dual_mov_b32 v120, v144
	v_dual_mov_b32 v75, v111 :: v_dual_mov_b32 v76, v112
	v_dual_mov_b32 v88, v124 :: v_dual_mov_b32 v89, v125
	v_dual_mov_b32 v85, v121 :: v_dual_mov_b32 v86, v122
	v_dual_mov_b32 v90, v126 :: v_dual_mov_b32 v91, v127
	v_dual_mov_b32 v92, v128 :: v_dual_mov_b32 v93, v129
	v_dual_mov_b32 v94, v130 :: v_dual_mov_b32 v95, v131
	v_dual_mov_b32 v98, v134 :: v_dual_mov_b32 v93, v57
	v_dual_mov_b32 v79, v115 :: v_dual_mov_b32 v80, v116
	v_dual_mov_b32 v96, v132 :: v_dual_mov_b32 v97, v133
	v_dual_mov_b32 v77, v113 :: v_dual_mov_b32 v78, v114
	v_dual_mov_b32 v81, v117 :: v_dual_mov_b32 v82, v118
	v_dual_mov_b32 v83, v119 :: v_dual_mov_b32 v84, v120
	v_dual_mov_b32 v1, v135 :: v_dual_mov_b32 v2, v136
	v_mov_b32_e32 v81, v45
	v_dual_mov_b32 v7, v141 :: v_dual_mov_b32 v8, v142
	v_dual_mov_b32 v9, v143 :: v_dual_mov_b32 v10, v144
	;; [unrolled: 1-line block ×5, first 2 shown]
	v_mov_b32_e32 v64, v88
	v_dual_mov_b32 v110, v86 :: v_dual_mov_b32 v109, v85
	v_dual_mov_b32 v65, v89 :: v_dual_mov_b32 v68, v92
	;; [unrolled: 1-line block ×10, first 2 shown]
	v_mov_b32_e32 v102, v78
	v_dual_mov_b32 v42, v41 :: v_dual_mov_b32 v103, v79
	v_mov_b32_e32 v100, v76
	v_mov_b32_e32 v106, v46
	s_clause 0x2
	scratch_store_b128 off, v[1:4], off offset:48
	scratch_store_b128 off, v[5:8], off offset:64
	;; [unrolled: 1-line block ×3, first 2 shown]
	v_mov_b32_e32 v1, v63
	v_mov_b32_e32 v5, v67
	v_dual_mov_b32 v3, v65 :: v_dual_mov_b32 v12, v74
	v_dual_mov_b32 v15, v99 :: v_dual_mov_b32 v4, v66
	;; [unrolled: 1-line block ×14, first 2 shown]
	v_mov_b32_e32 v24, v48
	v_mov_b32_e32 v26, v50
.LBB96_51:
	s_or_b32 exec_lo, exec_lo, s2
	v_mov_b32_e32 v13, v31
	s_mov_b32 s2, exec_lo
	v_cmpx_lt_f32_e32 v14, v31
	s_cbranch_execz .LBB96_53
; %bb.52:
	s_clause 0x2
	scratch_load_b128 v[1:4], off, off
	scratch_load_b128 v[5:8], off, off offset:16
	scratch_load_b128 v[9:12], off, off offset:32
	v_dual_mov_b32 v30, v31 :: v_dual_mov_b32 v31, v14
	v_dual_mov_b32 v13, v14 :: v_dual_mov_b32 v162, v55
	v_mov_b32_e32 v55, v54
	s_waitcnt vmcnt(2)
	v_dual_mov_b32 v161, v3 :: v_dual_mov_b32 v160, v2
	s_waitcnt vmcnt(0)
	v_dual_mov_b32 v159, v1 :: v_dual_mov_b32 v170, v12
	v_dual_mov_b32 v169, v11 :: v_dual_mov_b32 v168, v10
	;; [unrolled: 1-line block ×8, first 2 shown]
	s_delay_alu instid0(VALU_DEP_4)
	v_dual_mov_b32 v151, v163 :: v_dual_mov_b32 v156, v168
	v_dual_mov_b32 v157, v169 :: v_dual_mov_b32 v136, v172
	;; [unrolled: 1-line block ×8, first 2 shown]
	v_mov_b32_e32 v145, v181
	v_mov_b32_e32 v139, v42
	;; [unrolled: 1-line block ×3, first 2 shown]
	v_dual_mov_b32 v146, v182 :: v_dual_mov_b32 v123, v147
	v_dual_mov_b32 v111, v135 :: v_dual_mov_b32 v112, v136
	;; [unrolled: 1-line block ×3, first 2 shown]
	s_delay_alu instid0(VALU_DEP_4)
	v_dual_mov_b32 v124, v148 :: v_dual_mov_b32 v127, v151
	v_dual_mov_b32 v128, v152 :: v_dual_mov_b32 v131, v155
	;; [unrolled: 1-line block ×9, first 2 shown]
	v_mov_b32_e32 v120, v144
	v_dual_mov_b32 v116, v44 :: v_dual_mov_b32 v87, v123
	v_mov_b32_e32 v114, v138
	v_dual_mov_b32 v98, v134 :: v_dual_mov_b32 v75, v111
	v_dual_mov_b32 v88, v124 :: v_dual_mov_b32 v89, v125
	;; [unrolled: 1-line block ×3, first 2 shown]
	v_mov_b32_e32 v86, v122
	v_dual_mov_b32 v90, v126 :: v_dual_mov_b32 v91, v127
	v_dual_mov_b32 v92, v128 :: v_dual_mov_b32 v93, v129
	;; [unrolled: 1-line block ×8, first 2 shown]
	v_mov_b32_e32 v79, v115
	v_mov_b32_e32 v81, v45
	v_dual_mov_b32 v63, v87 :: v_dual_mov_b32 v66, v90
	v_dual_mov_b32 v64, v88 :: v_dual_mov_b32 v73, v97
	;; [unrolled: 1-line block ×9, first 2 shown]
	v_mov_b32_e32 v108, v84
	v_dual_mov_b32 v106, v46 :: v_dual_mov_b32 v1, v63
	v_dual_mov_b32 v105, v81 :: v_dual_mov_b32 v104, v80
	;; [unrolled: 1-line block ×19, first 2 shown]
	v_mov_b32_e32 v26, v50
	v_mov_b32_e32 v43, v42
	s_clause 0x2
	scratch_store_b128 off, v[171:174], off offset:48
	scratch_store_b128 off, v[175:178], off offset:64
	;; [unrolled: 1-line block ×3, first 2 shown]
.LBB96_53:
	s_or_b32 exec_lo, exec_lo, s2
	v_mov_b32_e32 v14, v32
	s_mov_b32 s2, exec_lo
	v_cmpx_lt_f32_e32 v13, v32
	s_cbranch_execz .LBB96_55
; %bb.54:
	s_clause 0x2
	scratch_load_b128 v[1:4], off, off offset:48
	scratch_load_b128 v[5:8], off, off offset:64
	;; [unrolled: 1-line block ×3, first 2 shown]
	v_dual_mov_b32 v163, v56 :: v_dual_mov_b32 v14, v13
	v_dual_mov_b32 v56, v55 :: v_dual_mov_b32 v31, v32
	s_waitcnt vmcnt(2)
	v_dual_mov_b32 v138, v4 :: v_dual_mov_b32 v137, v3
	s_waitcnt vmcnt(0)
	v_dual_mov_b32 v146, v12 :: v_dual_mov_b32 v145, v11
	v_dual_mov_b32 v136, v2 :: v_dual_mov_b32 v135, v1
	;; [unrolled: 1-line block ×17, first 2 shown]
	v_mov_b32_e32 v120, v144
	v_mov_b32_e32 v116, v43
	v_dual_mov_b32 v87, v123 :: v_dual_mov_b32 v88, v124
	v_dual_mov_b32 v89, v125 :: v_dual_mov_b32 v98, v134
	;; [unrolled: 1-line block ×12, first 2 shown]
	v_mov_b32_e32 v79, v115
	v_mov_b32_e32 v81, v45
	v_dual_mov_b32 v63, v87 :: v_dual_mov_b32 v66, v90
	v_dual_mov_b32 v64, v88 :: v_dual_mov_b32 v73, v97
	;; [unrolled: 1-line block ×8, first 2 shown]
	v_mov_b32_e32 v70, v58
	v_dual_mov_b32 v106, v46 :: v_dual_mov_b32 v65, v89
	v_dual_mov_b32 v68, v92 :: v_dual_mov_b32 v105, v81
	;; [unrolled: 1-line block ×4, first 2 shown]
	v_mov_b32_e32 v100, v76
	v_dual_mov_b32 v32, v13 :: v_dual_mov_b32 v1, v63
	v_dual_mov_b32 v12, v74 :: v_dual_mov_b32 v15, v99
	v_mov_b32_e32 v26, v110
	v_dual_mov_b32 v8, v70 :: v_dual_mov_b32 v9, v71
	v_dual_mov_b32 v10, v72 :: v_dual_mov_b32 v11, v73
	;; [unrolled: 1-line block ×20, first 2 shown]
	v_mov_b32_e32 v44, v43
.LBB96_55:
	s_or_b32 exec_lo, exec_lo, s2
	v_mov_b32_e32 v13, v33
	s_mov_b32 s2, exec_lo
	v_cmpx_lt_f32_e32 v14, v33
	s_cbranch_execz .LBB96_57
; %bb.56:
	v_mov_b32_e32 v140, v45
	v_dual_mov_b32 v152, v57 :: v_dual_mov_b32 v75, v135
	v_dual_mov_b32 v87, v147 :: v_dual_mov_b32 v90, v150
	v_dual_mov_b32 v91, v151 :: v_dual_mov_b32 v86, v146
	s_delay_alu instid0(VALU_DEP_3)
	v_dual_mov_b32 v92, v152 :: v_dual_mov_b32 v93, v153
	v_dual_mov_b32 v76, v136 :: v_dual_mov_b32 v79, v139
	;; [unrolled: 1-line block ×6, first 2 shown]
	v_mov_b32_e32 v93, v56
	v_dual_mov_b32 v84, v144 :: v_dual_mov_b32 v63, v87
	v_dual_mov_b32 v78, v138 :: v_dual_mov_b32 v81, v141
	;; [unrolled: 1-line block ×5, first 2 shown]
	s_delay_alu instid0(VALU_DEP_3) | instskip(SKIP_1) | instid1(VALU_DEP_4)
	v_dual_mov_b32 v110, v86 :: v_dual_mov_b32 v109, v85
	v_dual_mov_b32 v100, v76 :: v_dual_mov_b32 v99, v75
	;; [unrolled: 1-line block ×11, first 2 shown]
	v_mov_b32_e32 v106, v46
	v_dual_mov_b32 v70, v58 :: v_dual_mov_b32 v15, v99
	v_dual_mov_b32 v1, v63 :: v_dual_mov_b32 v24, v108
	v_dual_mov_b32 v24, v48 :: v_dual_mov_b32 v111, v135
	s_delay_alu instid0(VALU_DEP_3)
	v_dual_mov_b32 v8, v70 :: v_dual_mov_b32 v9, v71
	v_dual_mov_b32 v10, v72 :: v_dual_mov_b32 v11, v73
	;; [unrolled: 1-line block ×26, first 2 shown]
	v_mov_b32_e32 v13, v14
	v_dual_mov_b32 v134, v158 :: v_dual_mov_b32 v45, v44
	v_mov_b32_e32 v57, v56
.LBB96_57:
	s_or_b32 exec_lo, exec_lo, s2
	v_mov_b32_e32 v14, v34
	s_mov_b32 s2, exec_lo
	v_cmpx_lt_f32_e32 v13, v34
	s_cbranch_execz .LBB96_59
; %bb.58:
	v_mov_b32_e32 v129, v58
	v_dual_mov_b32 v63, v123 :: v_dual_mov_b32 v70, v130
	v_dual_mov_b32 v70, v57 :: v_dual_mov_b32 v71, v131
	;; [unrolled: 1-line block ×22, first 2 shown]
	v_mov_b32_e32 v34, v13
	v_dual_mov_b32 v3, v65 :: v_dual_mov_b32 v4, v66
	v_dual_mov_b32 v5, v67 :: v_dual_mov_b32 v6, v68
	;; [unrolled: 1-line block ×20, first 2 shown]
	v_mov_b32_e32 v14, v13
	v_mov_b32_e32 v46, v45
	;; [unrolled: 1-line block ×3, first 2 shown]
.LBB96_59:
	s_or_b32 exec_lo, exec_lo, s2
	v_mov_b32_e32 v13, v35
	s_mov_b32 s2, exec_lo
	v_cmpx_lt_f32_e32 v14, v35
	s_cbranch_execz .LBB96_61
; %bb.60:
	v_mov_b32_e32 v94, v59
	v_dual_mov_b32 v34, v35 :: v_dual_mov_b32 v35, v14
	v_mov_b32_e32 v82, v47
	v_dual_mov_b32 v1, v87 :: v_dual_mov_b32 v2, v88
	v_dual_mov_b32 v10, v96 :: v_dual_mov_b32 v7, v93
	;; [unrolled: 1-line block ×13, first 2 shown]
	v_mov_b32_e32 v5, v91
	v_mov_b32_e32 v9, v58
	v_dual_mov_b32 v12, v62 :: v_dual_mov_b32 v17, v77
	v_dual_mov_b32 v16, v76 :: v_dual_mov_b32 v19, v79
	;; [unrolled: 1-line block ×14, first 2 shown]
	v_mov_b32_e32 v47, v46
	v_mov_b32_e32 v59, v58
	;; [unrolled: 1-line block ×3, first 2 shown]
.LBB96_61:
	s_or_b32 exec_lo, exec_lo, s2
	v_mov_b32_e32 v39, v36
	s_mov_b32 s2, exec_lo
	v_cmpx_lt_f32_e32 v13, v36
	s_cbranch_execz .LBB96_63
; %bb.62:
	v_dual_mov_b32 v71, v60 :: v_dual_mov_b32 v72, v59
	v_dual_mov_b32 v73, v61 :: v_dual_mov_b32 v108, v47
	v_dual_mov_b32 v107, v48 :: v_dual_mov_b32 v110, v50
	v_dual_mov_b32 v109, v49 :: v_dual_mov_b32 v74, v62
	v_dual_mov_b32 v15, v99 :: v_dual_mov_b32 v16, v100
	v_dual_mov_b32 v1, v63 :: v_dual_mov_b32 v2, v64
	v_dual_mov_b32 v35, v36 :: v_dual_mov_b32 v36, v13
	v_dual_mov_b32 v17, v101 :: v_dual_mov_b32 v18, v102
	v_dual_mov_b32 v19, v103 :: v_dual_mov_b32 v20, v104
	v_dual_mov_b32 v21, v105 :: v_dual_mov_b32 v22, v106
	v_dual_mov_b32 v23, v107 :: v_dual_mov_b32 v24, v108
	v_dual_mov_b32 v25, v109 :: v_dual_mov_b32 v26, v110
	v_dual_mov_b32 v3, v65 :: v_dual_mov_b32 v4, v66
	v_dual_mov_b32 v5, v67 :: v_dual_mov_b32 v6, v68
	v_dual_mov_b32 v7, v69 :: v_dual_mov_b32 v8, v70
	v_dual_mov_b32 v9, v71 :: v_dual_mov_b32 v10, v72
	v_dual_mov_b32 v11, v73 :: v_dual_mov_b32 v12, v74
	v_mov_b32_e32 v39, v13
.LBB96_63:
	s_or_b32 exec_lo, exec_lo, s2
	s_delay_alu instid0(VALU_DEP_1)
	v_cmp_lt_f32_e32 vcc_lo, v39, v37
	v_dual_mov_b32 v40, v28 :: v_dual_mov_b32 v43, v31
	v_dual_mov_b32 v42, v30 :: v_dual_mov_b32 v45, v33
	v_dual_cndmask_b32 v13, v25, v24 :: v_dual_cndmask_b32 v24, v24, v25
	v_dual_cndmask_b32 v14, v11, v10 :: v_dual_cndmask_b32 v49, v37, v39
	v_dual_cndmask_b32 v10, v10, v11 :: v_dual_mov_b32 v39, v27
	v_dual_cndmask_b32 v48, v36, v37 :: v_dual_mov_b32 v41, v29
	v_dual_mov_b32 v44, v32 :: v_dual_mov_b32 v47, v35
	v_mov_b32_e32 v46, v34
	v_mov_b32_e32 v50, v38
	s_mov_b32 s2, exec_lo
	v_cmpx_lt_f32_e32 v27, v28
	s_cbranch_execz .LBB96_65
; %bb.64:
	v_dual_mov_b32 v28, v40 :: v_dual_mov_b32 v29, v39
	v_dual_mov_b32 v38, v49 :: v_dual_mov_b32 v39, v50
	;; [unrolled: 1-line block ×7, first 2 shown]
	v_mov_b32_e32 v11, v15
	v_swap_b32 v15, v16
	s_delay_alu instid0(VALU_DEP_4)
	v_mov_b32_e32 v48, v37
	v_swap_b32 v1, v2
	v_dual_mov_b32 v49, v38 :: v_dual_mov_b32 v46, v35
	v_dual_mov_b32 v47, v36 :: v_dual_mov_b32 v44, v33
	v_dual_mov_b32 v45, v34 :: v_dual_mov_b32 v42, v31
	v_dual_mov_b32 v43, v32 :: v_dual_mov_b32 v40, v29
	v_mov_b32_e32 v41, v30
	v_dual_mov_b32 v39, v28 :: v_dual_mov_b32 v28, v27
.LBB96_65:
	s_or_b32 exec_lo, exec_lo, s2
	v_mov_b32_e32 v11, v14
	v_dual_mov_b32 v25, v13 :: v_dual_mov_b32 v62, v12
	v_dual_mov_b32 v74, v26 :: v_dual_mov_b32 v63, v15
	v_mov_b32_e32 v86, v26
	v_dual_mov_b32 v72, v24 :: v_dual_mov_b32 v75, v15
	v_dual_mov_b32 v110, v26 :: v_dual_mov_b32 v53, v3
	;; [unrolled: 1-line block ×61, first 2 shown]
	v_mov_b32_e32 v149, v3
	v_mov_b32_e32 v147, v1
	;; [unrolled: 1-line block ×3, first 2 shown]
	s_mov_b32 s2, exec_lo
	v_dual_mov_b32 v85, v25 :: v_dual_mov_b32 v84, v24
	v_dual_mov_b32 v83, v23 :: v_dual_mov_b32 v82, v22
	s_clause 0x2
	scratch_store_b128 off, v[1:4], off
	scratch_store_b128 off, v[5:8], off offset:16
	scratch_store_b128 off, v[9:12], off offset:32
	v_cmpx_lt_f32_e32 v28, v41
	s_cbranch_execz .LBB96_67
; %bb.66:
	v_dual_mov_b32 v158, v12 :: v_dual_mov_b32 v157, v11
	v_dual_mov_b32 v150, v4 :: v_dual_mov_b32 v149, v3
	;; [unrolled: 1-line block ×7, first 2 shown]
	s_clause 0x2
	scratch_store_b128 off, v[147:150], off
	scratch_store_b128 off, v[151:154], off offset:16
	scratch_store_b128 off, v[155:158], off offset:32
	v_dual_mov_b32 v182, v26 :: v_dual_mov_b32 v181, v25
	v_dual_mov_b32 v172, v16 :: v_dual_mov_b32 v171, v15
	v_dual_mov_b32 v176, v20 :: v_dual_mov_b32 v175, v19
	v_dual_mov_b32 v174, v18 :: v_dual_mov_b32 v173, v17
	v_dual_mov_b32 v172, v17 :: v_dual_mov_b32 v173, v16
	v_dual_mov_b32 v180, v24 :: v_dual_mov_b32 v179, v23
	v_dual_mov_b32 v178, v22 :: v_dual_mov_b32 v177, v21
	v_dual_mov_b32 v150, v4 :: v_dual_mov_b32 v159, v171
	s_delay_alu instid0(VALU_DEP_4) | instskip(SKIP_1) | instid1(VALU_DEP_4)
	v_dual_mov_b32 v160, v172 :: v_dual_mov_b32 v161, v173
	v_dual_mov_b32 v162, v174 :: v_dual_mov_b32 v163, v175
	;; [unrolled: 1-line block ×4, first 2 shown]
	v_mov_b32_e32 v170, v182
	v_dual_mov_b32 v166, v178 :: v_dual_mov_b32 v167, v179
	v_mov_b32_e32 v162, v18
	v_dual_mov_b32 v40, v41 :: v_dual_mov_b32 v41, v28
	v_mov_b32_e32 v3, v2
	v_mov_b32_e32 v17, v16
	;; [unrolled: 1-line block ×3, first 2 shown]
	v_dual_mov_b32 v137, v149 :: v_dual_mov_b32 v144, v156
	v_dual_mov_b32 v123, v159 :: v_dual_mov_b32 v136, v148
	;; [unrolled: 1-line block ×12, first 2 shown]
	v_mov_b32_e32 v133, v169
	v_dual_mov_b32 v111, v135 :: v_dual_mov_b32 v112, v136
	v_dual_mov_b32 v99, v123 :: v_dual_mov_b32 v100, v124
	;; [unrolled: 1-line block ×12, first 2 shown]
	v_mov_b32_e32 v104, v20
	v_dual_mov_b32 v116, v6 :: v_dual_mov_b32 v75, v99
	v_mov_b32_e32 v87, v111
	v_dual_mov_b32 v93, v117 :: v_dual_mov_b32 v78, v102
	s_delay_alu instid0(VALU_DEP_3)
	v_dual_mov_b32 v81, v105 :: v_dual_mov_b32 v92, v116
	v_dual_mov_b32 v90, v114 :: v_dual_mov_b32 v91, v115
	;; [unrolled: 1-line block ×11, first 2 shown]
	v_mov_b32_e32 v51, v87
	v_dual_mov_b32 v63, v75 :: v_dual_mov_b32 v66, v78
	v_dual_mov_b32 v55, v91 :: v_dual_mov_b32 v58, v94
	;; [unrolled: 1-line block ×13, first 2 shown]
	v_mov_b32_e32 v60, v10
	v_dual_mov_b32 v61, v14 :: v_dual_mov_b32 v62, v12
	v_dual_mov_b32 v70, v22 :: v_dual_mov_b32 v71, v23
	;; [unrolled: 1-line block ×3, first 2 shown]
	v_mov_b32_e32 v74, v26
.LBB96_67:
	s_or_b32 exec_lo, exec_lo, s2
	v_mov_b32_e32 v1, v42
	v_cmp_lt_f32_e32 vcc_lo, v11, v42
	s_mov_b32 s2, exec_lo
	s_clause 0x2
	scratch_load_b128 v[27:30], off, off
	scratch_load_b128 v[31:34], off, off offset:16
	scratch_load_b128 v[35:38], off, off offset:32
	s_and_b32 s3, s2, vcc_lo
	s_delay_alu instid0(SALU_CYCLE_1)
	s_mov_b32 exec_lo, s3
	s_cbranch_execz .LBB96_69
; %bb.68:
	v_mov_b32_e32 v173, v18
	s_waitcnt vmcnt(2)
	v_mov_b32_e32 v29, v4
	v_dual_mov_b32 v159, v171 :: v_dual_mov_b32 v162, v174
	s_waitcnt vmcnt(0)
	v_dual_mov_b32 v158, v38 :: v_dual_mov_b32 v157, v37
	v_dual_mov_b32 v156, v36 :: v_dual_mov_b32 v147, v27
	;; [unrolled: 1-line block ×6, first 2 shown]
	v_mov_b32_e32 v168, v180
	v_dual_mov_b32 v164, v176 :: v_dual_mov_b32 v165, v177
	v_dual_mov_b32 v170, v182 :: v_dual_mov_b32 v155, v35
	;; [unrolled: 1-line block ×4, first 2 shown]
	v_mov_b32_e32 v162, v17
	v_dual_mov_b32 v169, v181 :: v_dual_mov_b32 v150, v3
	v_dual_mov_b32 v123, v159 :: v_dual_mov_b32 v124, v160
	;; [unrolled: 1-line block ×3, first 2 shown]
	s_delay_alu instid0(VALU_DEP_3)
	v_dual_mov_b32 v137, v149 :: v_dual_mov_b32 v138, v150
	v_dual_mov_b32 v139, v151 :: v_dual_mov_b32 v140, v152
	;; [unrolled: 1-line block ×10, first 2 shown]
	v_mov_b32_e32 v127, v19
	v_mov_b32_e32 v139, v5
	v_dual_mov_b32 v99, v123 :: v_dual_mov_b32 v100, v124
	v_dual_mov_b32 v111, v135 :: v_dual_mov_b32 v114, v138
	;; [unrolled: 1-line block ×4, first 2 shown]
	v_mov_b32_e32 v120, v144
	v_dual_mov_b32 v104, v128 :: v_dual_mov_b32 v105, v129
	v_dual_mov_b32 v110, v134 :: v_dual_mov_b32 v115, v139
	v_dual_mov_b32 v118, v142 :: v_dual_mov_b32 v119, v143
	v_dual_mov_b32 v122, v146 :: v_dual_mov_b32 v121, v145
	v_dual_mov_b32 v102, v126 :: v_dual_mov_b32 v101, v125
	v_dual_mov_b32 v106, v130 :: v_dual_mov_b32 v103, v127
	v_dual_mov_b32 v108, v132 :: v_dual_mov_b32 v107, v131
	v_dual_mov_b32 v116, v6 :: v_dual_mov_b32 v109, v133
	v_dual_mov_b32 v104, v20 :: v_dual_mov_b32 v87, v111
	v_dual_mov_b32 v88, v112 :: v_dual_mov_b32 v75, v99
	v_dual_mov_b32 v76, v100 :: v_dual_mov_b32 v93, v117
	v_dual_mov_b32 v94, v118 :: v_dual_mov_b32 v81, v105
	v_dual_mov_b32 v82, v106 :: v_dual_mov_b32 v89, v113
	v_dual_mov_b32 v90, v114 :: v_dual_mov_b32 v91, v115
	v_dual_mov_b32 v92, v116 :: v_dual_mov_b32 v95, v119
	v_dual_mov_b32 v96, v120 :: v_dual_mov_b32 v97, v121
	v_dual_mov_b32 v98, v122 :: v_dual_mov_b32 v77, v101
	v_dual_mov_b32 v78, v102 :: v_dual_mov_b32 v79, v103
	v_dual_mov_b32 v80, v104 :: v_dual_mov_b32 v83, v107
	v_dual_mov_b32 v84, v108 :: v_dual_mov_b32 v85, v109
	v_dual_mov_b32 v86, v110 :: v_dual_mov_b32 v81, v21
	v_dual_mov_b32 v41, v42 :: v_dual_mov_b32 v42, v11
	v_mov_b32_e32 v93, v7
	v_dual_mov_b32 v63, v75 :: v_dual_mov_b32 v68, v80
	v_dual_mov_b32 v64, v76 :: v_dual_mov_b32 v51, v87
	;; [unrolled: 1-line block ×3, first 2 shown]
	s_delay_alu instid0(VALU_DEP_4)
	v_dual_mov_b32 v58, v94 :: v_dual_mov_b32 v57, v93
	v_dual_mov_b32 v60, v96 :: v_dual_mov_b32 v59, v95
	;; [unrolled: 1-line block ×8, first 2 shown]
	v_mov_b32_e32 v60, v10
	v_dual_mov_b32 v52, v88 :: v_dual_mov_b32 v53, v89
	v_dual_mov_b32 v56, v92 :: v_dual_mov_b32 v59, v9
	;; [unrolled: 1-line block ×3, first 2 shown]
	v_mov_b32_e32 v72, v24
	v_dual_mov_b32 v70, v22 :: v_dual_mov_b32 v71, v23
	v_dual_mov_b32 v73, v13 :: v_dual_mov_b32 v74, v26
	;; [unrolled: 1-line block ×3, first 2 shown]
	v_mov_b32_e32 v4, v3
.LBB96_69:
	s_or_b32 exec_lo, exec_lo, s2
	v_mov_b32_e32 v2, v43
	s_mov_b32 s2, exec_lo
	v_cmpx_lt_f32_e32 v1, v43
	s_cbranch_execz .LBB96_71
; %bb.70:
	v_mov_b32_e32 v174, v19
	s_waitcnt vmcnt(2)
	v_dual_mov_b32 v30, v5 :: v_dual_mov_b32 v123, v171
	s_waitcnt vmcnt(0)
	v_dual_mov_b32 v146, v38 :: v_dual_mov_b32 v143, v35
	v_dual_mov_b32 v145, v37 :: v_dual_mov_b32 v142, v34
	s_delay_alu instid0(VALU_DEP_3)
	v_dual_mov_b32 v139, v31 :: v_dual_mov_b32 v138, v30
	v_dual_mov_b32 v135, v27 :: v_dual_mov_b32 v124, v172
	;; [unrolled: 1-line block ×5, first 2 shown]
	v_mov_b32_e32 v127, v18
	v_dual_mov_b32 v134, v182 :: v_dual_mov_b32 v139, v4
	v_dual_mov_b32 v144, v36 :: v_dual_mov_b32 v141, v33
	;; [unrolled: 1-line block ×5, first 2 shown]
	s_delay_alu instid0(VALU_DEP_3)
	v_dual_mov_b32 v111, v135 :: v_dual_mov_b32 v112, v136
	v_dual_mov_b32 v99, v123 :: v_dual_mov_b32 v100, v124
	;; [unrolled: 1-line block ×12, first 2 shown]
	v_mov_b32_e32 v104, v20
	v_dual_mov_b32 v116, v6 :: v_dual_mov_b32 v75, v99
	v_mov_b32_e32 v87, v111
	v_dual_mov_b32 v93, v117 :: v_dual_mov_b32 v78, v102
	s_delay_alu instid0(VALU_DEP_3)
	v_dual_mov_b32 v81, v105 :: v_dual_mov_b32 v92, v116
	v_dual_mov_b32 v80, v104 :: v_dual_mov_b32 v83, v107
	;; [unrolled: 1-line block ×11, first 2 shown]
	v_mov_b32_e32 v63, v75
	s_delay_alu instid0(VALU_DEP_4)
	v_dual_mov_b32 v51, v87 :: v_dual_mov_b32 v52, v88
	v_dual_mov_b32 v71, v83 :: v_dual_mov_b32 v72, v84
	;; [unrolled: 1-line block ×14, first 2 shown]
	v_mov_b32_e32 v68, v80
	v_dual_mov_b32 v58, v8 :: v_dual_mov_b32 v59, v9
	v_dual_mov_b32 v60, v10 :: v_dual_mov_b32 v71, v23
	;; [unrolled: 1-line block ×16, first 2 shown]
	v_mov_b32_e32 v2, v1
.LBB96_71:
	s_or_b32 exec_lo, exec_lo, s2
	v_mov_b32_e32 v1, v44
	s_mov_b32 s2, exec_lo
	s_delay_alu instid0(VALU_DEP_2)
	v_cmpx_lt_f32_e32 v2, v44
	s_cbranch_execz .LBB96_73
; %bb.72:
	v_mov_b32_e32 v163, v20
	v_mov_b32_e32 v151, v6
	v_dual_mov_b32 v99, v159 :: v_dual_mov_b32 v100, v160
	v_dual_mov_b32 v111, v147 :: v_dual_mov_b32 v112, v148
	;; [unrolled: 1-line block ×10, first 2 shown]
	v_mov_b32_e32 v108, v168
	v_dual_mov_b32 v104, v164 :: v_dual_mov_b32 v107, v167
	v_mov_b32_e32 v116, v5
	v_dual_mov_b32 v109, v169 :: v_dual_mov_b32 v104, v19
	v_dual_mov_b32 v87, v111 :: v_dual_mov_b32 v88, v112
	;; [unrolled: 1-line block ×13, first 2 shown]
	v_mov_b32_e32 v93, v7
	v_dual_mov_b32 v43, v44 :: v_dual_mov_b32 v44, v2
	v_mov_b32_e32 v81, v21
	v_dual_mov_b32 v51, v87 :: v_dual_mov_b32 v56, v92
	v_dual_mov_b32 v52, v88 :: v_dual_mov_b32 v63, v75
	;; [unrolled: 1-line block ×14, first 2 shown]
	v_mov_b32_e32 v136, v148
	v_dual_mov_b32 v54, v90 :: v_dual_mov_b32 v59, v9
	v_dual_mov_b32 v62, v12 :: v_dual_mov_b32 v61, v14
	v_mov_b32_e32 v72, v24
	v_dual_mov_b32 v70, v22 :: v_dual_mov_b32 v71, v23
	v_dual_mov_b32 v73, v13 :: v_dual_mov_b32 v74, v26
	;; [unrolled: 1-line block ×13, first 2 shown]
	v_mov_b32_e32 v6, v5
.LBB96_73:
	s_or_b32 exec_lo, exec_lo, s2
	v_mov_b32_e32 v2, v45
	s_mov_b32 s2, exec_lo
	v_cmpx_lt_f32_e32 v1, v45
	s_cbranch_execz .LBB96_75
; %bb.74:
	v_mov_b32_e32 v140, v7
	v_dual_mov_b32 v128, v21 :: v_dual_mov_b32 v87, v135
	v_mov_b32_e32 v93, v141
	v_mov_b32_e32 v93, v6
	;; [unrolled: 1-line block ×3, first 2 shown]
	v_dual_mov_b32 v92, v140 :: v_dual_mov_b32 v95, v143
	v_dual_mov_b32 v96, v144 :: v_dual_mov_b32 v97, v145
	;; [unrolled: 1-line block ×42, first 2 shown]
	v_mov_b32_e32 v2, v1
.LBB96_75:
	s_or_b32 exec_lo, exec_lo, s2
	v_mov_b32_e32 v1, v46
	s_mov_b32 s2, exec_lo
	s_delay_alu instid0(VALU_DEP_2)
	v_cmpx_lt_f32_e32 v2, v46
	s_cbranch_execz .LBB96_77
; %bb.76:
	v_mov_b32_e32 v117, v8
	v_mov_b32_e32 v45, v46
	v_mov_b32_e32 v46, v2
	v_mov_b32_e32 v105, v22
	v_dual_mov_b32 v51, v111 :: v_dual_mov_b32 v54, v114
	v_dual_mov_b32 v56, v116 :: v_dual_mov_b32 v63, v99
	v_dual_mov_b32 v66, v102 :: v_dual_mov_b32 v53, v113
	v_dual_mov_b32 v58, v118 :: v_dual_mov_b32 v55, v115
	v_dual_mov_b32 v60, v120 :: v_dual_mov_b32 v57, v117
	v_dual_mov_b32 v62, v122 :: v_dual_mov_b32 v59, v119
	v_dual_mov_b32 v60, v10 :: v_dual_mov_b32 v61, v121
	v_mov_b32_e32 v58, v7
	v_dual_mov_b32 v67, v103 :: v_dual_mov_b32 v70, v106
	v_dual_mov_b32 v69, v105 :: v_dual_mov_b32 v72, v108
	v_dual_mov_b32 v71, v107 :: v_dual_mov_b32 v74, v110
	v_dual_mov_b32 v73, v109 :: v_dual_mov_b32 v72, v24
	v_dual_mov_b32 v75, v99 :: v_dual_mov_b32 v76, v100
	v_dual_mov_b32 v87, v111 :: v_dual_mov_b32 v88, v112
	v_dual_mov_b32 v52, v112 :: v_dual_mov_b32 v59, v9
	v_dual_mov_b32 v62, v12 :: v_dual_mov_b32 v61, v14
	v_dual_mov_b32 v64, v100 :: v_dual_mov_b32 v65, v101
	v_mov_b32_e32 v68, v104
	v_dual_mov_b32 v70, v21 :: v_dual_mov_b32 v71, v23
	v_dual_mov_b32 v73, v13 :: v_dual_mov_b32 v74, v26
	;; [unrolled: 10-line block ×3, first 2 shown]
	v_dual_mov_b32 v95, v119 :: v_dual_mov_b32 v96, v120
	v_dual_mov_b32 v97, v121 :: v_dual_mov_b32 v98, v122
.LBB96_77:
	s_or_b32 exec_lo, exec_lo, s2
	v_mov_b32_e32 v2, v47
	s_mov_b32 s2, exec_lo
	v_cmpx_lt_f32_e32 v1, v47
	s_cbranch_execz .LBB96_79
; %bb.78:
	v_dual_mov_b32 v83, v22 :: v_dual_mov_b32 v84, v24
	v_dual_mov_b32 v94, v9 :: v_dual_mov_b32 v95, v8
	;; [unrolled: 1-line block ×4, first 2 shown]
	v_mov_b32_e32 v86, v26
	v_dual_mov_b32 v46, v47 :: v_dual_mov_b32 v47, v1
	v_dual_mov_b32 v98, v12 :: v_dual_mov_b32 v63, v75
	;; [unrolled: 1-line block ×13, first 2 shown]
	v_mov_b32_e32 v62, v98
	v_mov_b32_e32 v2, v1
.LBB96_79:
	s_or_b32 exec_lo, exec_lo, s2
	s_delay_alu instid0(VALU_DEP_1)
	v_cmp_lt_f32_e32 vcc_lo, v2, v48
	v_dual_mov_b32 v1, v39 :: v_dual_mov_b32 v6, v44
	v_dual_mov_b32 v3, v41 :: v_dual_mov_b32 v8, v46
	s_waitcnt vmcnt(0)
	v_dual_cndmask_b32 v37, v72, v71 :: v_dual_mov_b32 v4, v42
	v_dual_cndmask_b32 v71, v71, v72 :: v_dual_cndmask_b32 v38, v60, v59
	v_dual_cndmask_b32 v59, v59, v60 :: v_dual_cndmask_b32 v10, v48, v2
	v_dual_cndmask_b32 v9, v47, v48 :: v_dual_mov_b32 v2, v40
	v_dual_mov_b32 v5, v43 :: v_dual_mov_b32 v12, v50
	v_mov_b32_e32 v7, v45
	v_mov_b32_e32 v11, v49
	s_mov_b32 s2, exec_lo
	v_cmpx_lt_f32_e32 v39, v40
	s_cbranch_execz .LBB96_81
; %bb.80:
	v_dual_mov_b32 v13, v2 :: v_dual_mov_b32 v14, v1
	v_dual_mov_b32 v15, v3 :: v_dual_mov_b32 v16, v4
	;; [unrolled: 1-line block ×6, first 2 shown]
	v_mov_b32_e32 v25, v63
	v_dual_mov_b32 v26, v51 :: v_dual_mov_b32 v1, v13
	v_swap_b32 v63, v64
	v_swap_b32 v51, v52
	v_dual_mov_b32 v2, v14 :: v_dual_mov_b32 v3, v15
	v_dual_mov_b32 v4, v16 :: v_dual_mov_b32 v5, v17
	;; [unrolled: 1-line block ×5, first 2 shown]
	v_mov_b32_e32 v12, v24
	v_mov_b32_e32 v40, v39
.LBB96_81:
	s_or_b32 exec_lo, exec_lo, s2
	v_mov_b32_e32 v60, v38
	v_dual_mov_b32 v72, v37 :: v_dual_mov_b32 v13, v51
	v_dual_mov_b32 v25, v63 :: v_dual_mov_b32 v98, v74
	;; [unrolled: 1-line block ×60, first 2 shown]
	s_mov_b32 s2, exec_lo
	v_dual_mov_b32 v96, v72 :: v_dual_mov_b32 v93, v69
	v_cmpx_lt_f32_e32 v40, v3
	s_cbranch_execz .LBB96_83
; %bb.82:
	v_dual_mov_b32 v134, v62 :: v_dual_mov_b32 v133, v61
	v_dual_mov_b32 v124, v52 :: v_dual_mov_b32 v123, v51
	v_mov_b32_e32 v124, v53
	v_dual_mov_b32 v128, v56 :: v_dual_mov_b32 v127, v55
	v_dual_mov_b32 v132, v60 :: v_dual_mov_b32 v131, v59
	;; [unrolled: 1-line block ×11, first 2 shown]
	v_mov_b32_e32 v141, v69
	v_dual_mov_b32 v136, v65 :: v_dual_mov_b32 v137, v64
	v_dual_mov_b32 v160, v124 :: v_dual_mov_b32 v159, v123
	;; [unrolled: 1-line block ×40, first 2 shown]
	v_mov_b32_e32 v22, v84
	v_dual_mov_b32 v22, v38 :: v_dual_mov_b32 v25, v87
	v_dual_mov_b32 v16, v78 :: v_dual_mov_b32 v19, v81
	;; [unrolled: 1-line block ×16, first 2 shown]
	v_mov_b32_e32 v35, v73
	v_dual_mov_b32 v34, v37 :: v_dual_mov_b32 v39, v40
	v_dual_mov_b32 v36, v74 :: v_dual_mov_b32 v65, v64
	v_mov_b32_e32 v53, v52
.LBB96_83:
	s_or_b32 exec_lo, exec_lo, s2
	v_mov_b32_e32 v40, v4
	s_mov_b32 s2, exec_lo
	v_cmpx_lt_f32_e32 v39, v4
	s_cbranch_execz .LBB96_85
; %bb.84:
	v_mov_b32_e32 v137, v66
	v_mov_b32_e32 v125, v54
	;; [unrolled: 1-line block ×4, first 2 shown]
	v_dual_mov_b32 v170, v134 :: v_dual_mov_b32 v169, v133
	v_dual_mov_b32 v168, v132 :: v_dual_mov_b32 v159, v123
	;; [unrolled: 1-line block ×9, first 2 shown]
	v_mov_b32_e32 v157, v145
	v_dual_mov_b32 v155, v143 :: v_dual_mov_b32 v152, v140
	v_mov_b32_e32 v162, v53
	v_mov_b32_e32 v149, v137
	v_dual_mov_b32 v150, v65 :: v_dual_mov_b32 v111, v159
	v_dual_mov_b32 v112, v160 :: v_dual_mov_b32 v99, v147
	;; [unrolled: 1-line block ×13, first 2 shown]
	v_mov_b32_e32 v115, v55
	v_dual_mov_b32 v87, v99 :: v_dual_mov_b32 v88, v100
	v_dual_mov_b32 v75, v111 :: v_dual_mov_b32 v78, v114
	;; [unrolled: 1-line block ×3, first 2 shown]
	s_delay_alu instid0(VALU_DEP_4)
	v_dual_mov_b32 v80, v116 :: v_dual_mov_b32 v79, v115
	v_dual_mov_b32 v82, v118 :: v_dual_mov_b32 v81, v117
	;; [unrolled: 1-line block ×6, first 2 shown]
	v_mov_b32_e32 v96, v108
	v_dual_mov_b32 v92, v104 :: v_dual_mov_b32 v93, v105
	v_dual_mov_b32 v98, v110 :: v_dual_mov_b32 v95, v107
	;; [unrolled: 1-line block ×21, first 2 shown]
	v_mov_b32_e32 v34, v37
	v_dual_mov_b32 v35, v73 :: v_dual_mov_b32 v36, v74
	v_mov_b32_e32 v40, v39
	v_mov_b32_e32 v66, v65
	;; [unrolled: 1-line block ×3, first 2 shown]
.LBB96_85:
	s_or_b32 exec_lo, exec_lo, s2
	v_mov_b32_e32 v39, v5
	s_mov_b32 s2, exec_lo
	v_cmpx_lt_f32_e32 v40, v5
	s_cbranch_execz .LBB96_87
; %bb.86:
	v_mov_b32_e32 v126, v55
	v_mov_b32_e32 v111, v123
	;; [unrolled: 1-line block ×3, first 2 shown]
	v_dual_mov_b32 v115, v54 :: v_dual_mov_b32 v116, v128
	v_dual_mov_b32 v138, v67 :: v_dual_mov_b32 v113, v125
	v_mov_b32_e32 v112, v124
	v_dual_mov_b32 v118, v130 :: v_dual_mov_b32 v119, v131
	v_dual_mov_b32 v120, v132 :: v_dual_mov_b32 v121, v133
	;; [unrolled: 1-line block ×24, first 2 shown]
	v_mov_b32_e32 v22, v84
	v_dual_mov_b32 v22, v38 :: v_dual_mov_b32 v25, v87
	v_dual_mov_b32 v16, v78 :: v_dual_mov_b32 v19, v81
	;; [unrolled: 1-line block ×18, first 2 shown]
	v_mov_b32_e32 v35, v73
	v_dual_mov_b32 v34, v37 :: v_dual_mov_b32 v155, v143
	v_dual_mov_b32 v36, v74 :: v_dual_mov_b32 v157, v145
	;; [unrolled: 1-line block ×12, first 2 shown]
	v_mov_b32_e32 v55, v54
.LBB96_87:
	s_or_b32 exec_lo, exec_lo, s2
	v_mov_b32_e32 v40, v6
	s_mov_b32 s2, exec_lo
	v_cmpx_lt_f32_e32 v39, v6
	s_cbranch_execz .LBB96_89
; %bb.88:
	v_mov_b32_e32 v163, v56
	v_dual_mov_b32 v75, v159 :: v_dual_mov_b32 v80, v164
	v_dual_mov_b32 v80, v55 :: v_dual_mov_b32 v81, v165
	;; [unrolled: 1-line block ×7, first 2 shown]
	v_mov_b32_e32 v85, v169
	v_dual_mov_b32 v89, v149 :: v_dual_mov_b32 v92, v152
	v_dual_mov_b32 v91, v151 :: v_dual_mov_b32 v94, v154
	;; [unrolled: 1-line block ×6, first 2 shown]
	v_mov_b32_e32 v88, v148
	v_mov_b32_e32 v6, v39
	s_delay_alu instid0(VALU_DEP_3) | instskip(NEXT) | instid1(VALU_DEP_3)
	v_dual_mov_b32 v13, v75 :: v_dual_mov_b32 v14, v76
	v_dual_mov_b32 v25, v87 :: v_dual_mov_b32 v26, v88
	v_dual_mov_b32 v19, v81 :: v_dual_mov_b32 v20, v82
	v_dual_mov_b32 v21, v83 :: v_dual_mov_b32 v22, v84
	v_dual_mov_b32 v23, v85 :: v_dual_mov_b32 v24, v86
	v_dual_mov_b32 v31, v93 :: v_dual_mov_b32 v32, v94
	v_dual_mov_b32 v33, v95 :: v_dual_mov_b32 v34, v96
	v_dual_mov_b32 v35, v97 :: v_dual_mov_b32 v36, v98
	v_dual_mov_b32 v99, v147 :: v_dual_mov_b32 v100, v148
	v_dual_mov_b32 v111, v159 :: v_dual_mov_b32 v112, v160
	v_dual_mov_b32 v15, v77 :: v_dual_mov_b32 v16, v78
	v_dual_mov_b32 v17, v79 :: v_dual_mov_b32 v18, v80
	v_dual_mov_b32 v19, v57 :: v_dual_mov_b32 v20, v58
	v_dual_mov_b32 v21, v59 :: v_dual_mov_b32 v22, v38
	v_dual_mov_b32 v23, v61 :: v_dual_mov_b32 v24, v62
	v_dual_mov_b32 v27, v89 :: v_dual_mov_b32 v28, v90
	v_dual_mov_b32 v29, v91 :: v_dual_mov_b32 v30, v92
	v_dual_mov_b32 v31, v69 :: v_dual_mov_b32 v32, v70
	v_dual_mov_b32 v33, v71 :: v_dual_mov_b32 v34, v37
	v_dual_mov_b32 v35, v73 :: v_dual_mov_b32 v36, v74
	v_dual_mov_b32 v101, v149 :: v_dual_mov_b32 v102, v150
	v_dual_mov_b32 v103, v151 :: v_dual_mov_b32 v104, v152
	v_dual_mov_b32 v105, v153 :: v_dual_mov_b32 v106, v154
	v_dual_mov_b32 v107, v155 :: v_dual_mov_b32 v108, v156
	v_dual_mov_b32 v109, v157 :: v_dual_mov_b32 v110, v158
	v_dual_mov_b32 v113, v161 :: v_dual_mov_b32 v114, v162
	v_dual_mov_b32 v115, v163 :: v_dual_mov_b32 v116, v164
	v_dual_mov_b32 v117, v165 :: v_dual_mov_b32 v118, v166
	v_dual_mov_b32 v119, v167 :: v_dual_mov_b32 v120, v168
	v_dual_mov_b32 v121, v169 :: v_dual_mov_b32 v122, v170
	v_mov_b32_e32 v40, v39
	v_mov_b32_e32 v68, v67
	;; [unrolled: 1-line block ×3, first 2 shown]
.LBB96_89:
	s_or_b32 exec_lo, exec_lo, s2
	v_mov_b32_e32 v39, v7
	s_mov_b32 s2, exec_lo
	v_cmpx_lt_f32_e32 v40, v7
	s_cbranch_execz .LBB96_91
; %bb.90:
	v_mov_b32_e32 v116, v57
	v_dual_mov_b32 v6, v7 :: v_dual_mov_b32 v7, v40
	v_dual_mov_b32 v104, v69 :: v_dual_mov_b32 v13, v111
	v_mov_b32_e32 v22, v120
	v_dual_mov_b32 v22, v38 :: v_dual_mov_b32 v25, v99
	v_mov_b32_e32 v34, v108
	v_dual_mov_b32 v34, v37 :: v_dual_mov_b32 v87, v99
	v_dual_mov_b32 v16, v114 :: v_dual_mov_b32 v19, v117
	;; [unrolled: 1-line block ×12, first 2 shown]
	v_mov_b32_e32 v23, v61
	v_dual_mov_b32 v21, v59 :: v_dual_mov_b32 v24, v62
	v_dual_mov_b32 v27, v101 :: v_dual_mov_b32 v26, v100
	;; [unrolled: 1-line block ×3, first 2 shown]
	v_mov_b32_e32 v35, v73
	v_dual_mov_b32 v33, v71 :: v_dual_mov_b32 v36, v74
	v_dual_mov_b32 v89, v101 :: v_dual_mov_b32 v88, v100
	;; [unrolled: 1-line block ×9, first 2 shown]
	v_mov_b32_e32 v39, v40
	v_mov_b32_e32 v69, v68
	v_dual_mov_b32 v57, v56 :: v_dual_mov_b32 v94, v106
	v_dual_mov_b32 v97, v109 :: v_dual_mov_b32 v82, v118
	;; [unrolled: 1-line block ×3, first 2 shown]
.LBB96_91:
	s_or_b32 exec_lo, exec_lo, s2
	v_mov_b32_e32 v40, v8
	s_mov_b32 s2, exec_lo
	v_cmpx_lt_f32_e32 v39, v8
	s_cbranch_execz .LBB96_93
; %bb.92:
	v_dual_mov_b32 v81, v58 :: v_dual_mov_b32 v82, v57
	v_dual_mov_b32 v83, v59 :: v_dual_mov_b32 v84, v38
	;; [unrolled: 1-line block ×19, first 2 shown]
	v_mov_b32_e32 v40, v39
.LBB96_93:
	s_or_b32 exec_lo, exec_lo, s2
	s_delay_alu instid0(VALU_DEP_1)
	v_cmp_lt_f32_e32 vcc_lo, v40, v9
	v_dual_mov_b32 v38, v2 :: v_dual_mov_b32 v41, v5
	v_dual_mov_b32 v42, v6 :: v_dual_mov_b32 v47, v11
	v_dual_cndmask_b32 v145, v33, v32 :: v_dual_cndmask_b32 v32, v32, v33
	v_dual_cndmask_b32 v146, v21, v20 :: v_dual_mov_b32 v39, v3
	v_dual_cndmask_b32 v20, v20, v21 :: v_dual_cndmask_b32 v45, v9, v40
	v_dual_cndmask_b32 v44, v8, v9 :: v_dual_mov_b32 v37, v1
	v_dual_mov_b32 v40, v4 :: v_dual_mov_b32 v43, v7
	v_mov_b32_e32 v46, v10
	v_mov_b32_e32 v48, v12
	s_mov_b32 s2, exec_lo
	v_cmpx_lt_f32_e32 v1, v2
	s_cbranch_execz .LBB96_95
; %bb.94:
	v_dual_mov_b32 v49, v38 :: v_dual_mov_b32 v50, v37
	v_dual_mov_b32 v51, v39 :: v_dual_mov_b32 v52, v40
	;; [unrolled: 1-line block ×6, first 2 shown]
	v_mov_b32_e32 v3, v25
	v_mov_b32_e32 v4, v13
	v_dual_mov_b32 v37, v49 :: v_dual_mov_b32 v40, v52
	v_swap_b32 v25, v26
	v_swap_b32 v13, v14
	v_dual_mov_b32 v38, v50 :: v_dual_mov_b32 v39, v51
	v_dual_mov_b32 v41, v53 :: v_dual_mov_b32 v42, v54
	;; [unrolled: 1-line block ×5, first 2 shown]
	v_mov_b32_e32 v2, v1
.LBB96_95:
	s_or_b32 exec_lo, exec_lo, s2
	v_mov_b32_e32 v21, v146
	v_dual_mov_b32 v33, v145 :: v_dual_mov_b32 v60, v24
	v_dual_mov_b32 v72, v36 :: v_dual_mov_b32 v61, v25
	;; [unrolled: 1-line block ×43, first 2 shown]
	v_mov_b32_e32 v97, v13
	v_mov_b32_e32 v1, v39
	s_mov_b32 s2, exec_lo
	v_dual_mov_b32 v95, v35 :: v_dual_mov_b32 v94, v34
	v_dual_mov_b32 v93, v33 :: v_dual_mov_b32 v92, v32
	;; [unrolled: 1-line block ×5, first 2 shown]
	v_cmpx_lt_f32_e32 v2, v39
	s_cbranch_execz .LBB96_97
; %bb.96:
	v_dual_mov_b32 v108, v24 :: v_dual_mov_b32 v107, v23
	v_dual_mov_b32 v98, v14 :: v_dual_mov_b32 v97, v13
	v_mov_b32_e32 v98, v15
	v_dual_mov_b32 v104, v20 :: v_dual_mov_b32 v103, v19
	v_dual_mov_b32 v100, v16 :: v_dual_mov_b32 v99, v15
	;; [unrolled: 1-line block ×26, first 2 shown]
	v_mov_b32_e32 v84, v144
	v_dual_mov_b32 v74, v134 :: v_dual_mov_b32 v77, v137
	v_mov_b32_e32 v75, v135
	v_dual_mov_b32 v38, v39 :: v_dual_mov_b32 v85, v121
	v_dual_mov_b32 v76, v136 :: v_dual_mov_b32 v79, v139
	;; [unrolled: 1-line block ×10, first 2 shown]
	v_mov_b32_e32 v39, v2
	v_dual_mov_b32 v49, v73 :: v_dual_mov_b32 v50, v74
	v_dual_mov_b32 v59, v83 :: v_dual_mov_b32 v60, v84
	;; [unrolled: 1-line block ×18, first 2 shown]
	v_mov_b32_e32 v70, v34
	v_dual_mov_b32 v72, v36 :: v_dual_mov_b32 v1, v2
	v_mov_b32_e32 v27, v26
	v_mov_b32_e32 v15, v14
.LBB96_97:
	s_or_b32 exec_lo, exec_lo, s2
	v_mov_b32_e32 v2, v40
	s_mov_b32 s2, exec_lo
	v_cmpx_lt_f32_e32 v1, v40
	s_cbranch_execz .LBB96_99
; %bb.98:
	v_mov_b32_e32 v99, v16
	v_mov_b32_e32 v144, v108
	;; [unrolled: 1-line block ×3, first 2 shown]
	v_dual_mov_b32 v136, v15 :: v_dual_mov_b32 v111, v28
	v_dual_mov_b32 v142, v106 :: v_dual_mov_b32 v133, v97
	;; [unrolled: 1-line block ×4, first 2 shown]
	v_mov_b32_e32 v135, v99
	v_dual_mov_b32 v125, v113 :: v_dual_mov_b32 v124, v112
	v_mov_b32_e32 v143, v107
	v_dual_mov_b32 v141, v105 :: v_dual_mov_b32 v140, v104
	v_dual_mov_b32 v139, v103 :: v_dual_mov_b32 v138, v102
	;; [unrolled: 1-line block ×18, first 2 shown]
	v_mov_b32_e32 v95, v131
	v_dual_mov_b32 v89, v29 :: v_dual_mov_b32 v88, v124
	v_dual_mov_b32 v49, v73 :: v_dual_mov_b32 v54, v78
	v_mov_b32_e32 v50, v74
	v_dual_mov_b32 v52, v76 :: v_dual_mov_b32 v61, v85
	s_delay_alu instid0(VALU_DEP_4)
	v_dual_mov_b32 v64, v88 :: v_dual_mov_b32 v51, v75
	v_dual_mov_b32 v56, v80 :: v_dual_mov_b32 v53, v77
	;; [unrolled: 1-line block ×12, first 2 shown]
	v_mov_b32_e32 v58, v22
	v_dual_mov_b32 v57, v146 :: v_dual_mov_b32 v60, v24
	v_dual_mov_b32 v59, v23 :: v_dual_mov_b32 v62, v86
	;; [unrolled: 1-line block ×5, first 2 shown]
	v_mov_b32_e32 v2, v1
	v_mov_b32_e32 v28, v27
	;; [unrolled: 1-line block ×3, first 2 shown]
.LBB96_99:
	s_or_b32 exec_lo, exec_lo, s2
	v_mov_b32_e32 v1, v41
	s_mov_b32 s2, exec_lo
	v_cmpx_lt_f32_e32 v2, v41
	s_cbranch_execz .LBB96_101
; %bb.100:
	v_mov_b32_e32 v100, v17
	v_mov_b32_e32 v73, v97
	;; [unrolled: 1-line block ×3, first 2 shown]
	v_dual_mov_b32 v77, v16 :: v_dual_mov_b32 v78, v102
	v_dual_mov_b32 v112, v29 :: v_dual_mov_b32 v75, v99
	;; [unrolled: 1-line block ×3, first 2 shown]
	v_mov_b32_e32 v84, v108
	v_dual_mov_b32 v74, v98 :: v_dual_mov_b32 v85, v109
	v_mov_b32_e32 v86, v110
	v_dual_mov_b32 v76, v100 :: v_dual_mov_b32 v79, v103
	v_dual_mov_b32 v80, v104 :: v_dual_mov_b32 v81, v105
	;; [unrolled: 1-line block ×8, first 2 shown]
	v_mov_b32_e32 v49, v73
	v_dual_mov_b32 v89, v28 :: v_dual_mov_b32 v50, v74
	v_dual_mov_b32 v59, v83 :: v_dual_mov_b32 v60, v84
	;; [unrolled: 1-line block ×32, first 2 shown]
	v_mov_b32_e32 v17, v16
.LBB96_101:
	s_or_b32 exec_lo, exec_lo, s2
	v_mov_b32_e32 v2, v42
	s_mov_b32 s2, exec_lo
	v_cmpx_lt_f32_e32 v1, v42
	s_cbranch_execz .LBB96_103
; %bb.102:
	v_mov_b32_e32 v137, v18
	v_mov_b32_e32 v125, v30
	v_dual_mov_b32 v41, v42 :: v_dual_mov_b32 v42, v1
	v_dual_mov_b32 v49, v133 :: v_dual_mov_b32 v50, v134
	v_dual_mov_b32 v57, v141 :: v_dual_mov_b32 v60, v144
	v_dual_mov_b32 v60, v24 :: v_dual_mov_b32 v61, v121
	v_dual_mov_b32 v62, v122 :: v_dual_mov_b32 v51, v135
	v_dual_mov_b32 v54, v138 :: v_dual_mov_b32 v53, v137
	v_dual_mov_b32 v56, v140 :: v_dual_mov_b32 v55, v139
	v_dual_mov_b32 v58, v142 :: v_dual_mov_b32 v59, v143
	v_dual_mov_b32 v54, v17 :: v_dual_mov_b32 v63, v123
	v_dual_mov_b32 v66, v126 :: v_dual_mov_b32 v65, v125
	v_dual_mov_b32 v68, v128 :: v_dual_mov_b32 v67, v127
	v_dual_mov_b32 v70, v130 :: v_dual_mov_b32 v69, v129
	v_dual_mov_b32 v72, v132 :: v_dual_mov_b32 v71, v131
	v_mov_b32_e32 v66, v29
	v_dual_mov_b32 v85, v121 :: v_dual_mov_b32 v86, v122
	v_dual_mov_b32 v73, v133 :: v_dual_mov_b32 v74, v134
	;; [unrolled: 1-line block ×4, first 2 shown]
	v_mov_b32_e32 v64, v124
	v_dual_mov_b32 v58, v22 :: v_dual_mov_b32 v59, v23
	v_dual_mov_b32 v67, v31 :: v_dual_mov_b32 v68, v32
	;; [unrolled: 1-line block ×8, first 2 shown]
	v_mov_b32_e32 v2, v1
	v_mov_b32_e32 v30, v29
	v_dual_mov_b32 v18, v17 :: v_dual_mov_b32 v91, v127
	v_dual_mov_b32 v92, v128 :: v_dual_mov_b32 v93, v129
	;; [unrolled: 1-line block ×6, first 2 shown]
	v_mov_b32_e32 v84, v144
.LBB96_103:
	s_or_b32 exec_lo, exec_lo, s2
	v_mov_b32_e32 v1, v43
	s_mov_b32 s2, exec_lo
	v_cmpx_lt_f32_e32 v2, v43
	s_cbranch_execz .LBB96_105
; %bb.104:
	v_dual_mov_b32 v94, v34 :: v_dual_mov_b32 v95, v35
	v_dual_mov_b32 v78, v19 :: v_dual_mov_b32 v79, v18
	;; [unrolled: 1-line block ×6, first 2 shown]
	v_mov_b32_e32 v96, v36
	v_dual_mov_b32 v42, v43 :: v_dual_mov_b32 v43, v2
	v_dual_mov_b32 v84, v24 :: v_dual_mov_b32 v61, v85
	;; [unrolled: 1-line block ×14, first 2 shown]
.LBB96_105:
	s_or_b32 exec_lo, exec_lo, s2
	s_delay_alu instid0(VALU_DEP_1)
	v_cmp_lt_f32_e32 vcc_lo, v1, v44
	v_dual_mov_b32 v3, v39 :: v_dual_mov_b32 v10, v46
	v_dual_mov_b32 v5, v41 :: v_dual_mov_b32 v12, v48
	v_dual_cndmask_b32 v121, v68, v67 :: v_dual_mov_b32 v2, v38
	v_dual_cndmask_b32 v67, v67, v68 :: v_dual_cndmask_b32 v122, v56, v55
	v_dual_cndmask_b32 v55, v55, v56 :: v_dual_cndmask_b32 v8, v44, v1
	v_dual_cndmask_b32 v7, v43, v44 :: v_dual_mov_b32 v4, v40
	v_dual_mov_b32 v1, v37 :: v_dual_mov_b32 v6, v42
	v_mov_b32_e32 v9, v45
	v_mov_b32_e32 v11, v47
	s_mov_b32 s2, exec_lo
	v_cmpx_lt_f32_e32 v37, v38
	s_cbranch_execz .LBB96_107
; %bb.106:
	v_dual_mov_b32 v13, v2 :: v_dual_mov_b32 v14, v1
	v_dual_mov_b32 v15, v3 :: v_dual_mov_b32 v16, v4
	;; [unrolled: 1-line block ×6, first 2 shown]
	v_mov_b32_e32 v25, v61
	v_mov_b32_e32 v26, v49
	v_dual_mov_b32 v1, v13 :: v_dual_mov_b32 v4, v16
	v_swap_b32 v61, v62
	v_swap_b32 v49, v50
	v_dual_mov_b32 v2, v14 :: v_dual_mov_b32 v3, v15
	v_dual_mov_b32 v5, v17 :: v_dual_mov_b32 v6, v18
	;; [unrolled: 1-line block ×5, first 2 shown]
	v_mov_b32_e32 v38, v37
.LBB96_107:
	s_or_b32 exec_lo, exec_lo, s2
	v_mov_b32_e32 v56, v122
	v_mov_b32_e32 v68, v121
	;; [unrolled: 1-line block ×3, first 2 shown]
	v_dual_mov_b32 v27, v51 :: v_dual_mov_b32 v84, v72
	v_mov_b32_e32 v81, v69
	v_dual_mov_b32 v83, v71 :: v_dual_mov_b32 v96, v60
	v_dual_mov_b32 v91, v55 :: v_dual_mov_b32 v120, v72
	;; [unrolled: 1-line block ×31, first 2 shown]
	v_mov_b32_e32 v24, v60
	s_mov_b32 s2, exec_lo
	v_dual_mov_b32 v118, v70 :: v_dual_mov_b32 v115, v67
	v_dual_mov_b32 v116, v68 :: v_dual_mov_b32 v113, v65
	;; [unrolled: 1-line block ×3, first 2 shown]
	v_cmpx_lt_f32_e32 v38, v3
	s_cbranch_execz .LBB96_109
; %bb.108:
	v_dual_mov_b32 v13, v49 :: v_dual_mov_b32 v14, v50
	v_dual_mov_b32 v23, v59 :: v_dual_mov_b32 v24, v60
	;; [unrolled: 1-line block ×30, first 2 shown]
	v_mov_b32_e32 v112, v64
	v_dual_mov_b32 v34, v94 :: v_dual_mov_b32 v35, v95
	v_dual_mov_b32 v35, v59 :: v_dual_mov_b32 v34, v58
	v_dual_mov_b32 v73, v109 :: v_dual_mov_b32 v28, v88
	v_dual_mov_b32 v29, v89 :: v_dual_mov_b32 v30, v90
	v_dual_mov_b32 v31, v91 :: v_dual_mov_b32 v36, v96
	v_dual_mov_b32 v29, v53 :: v_dual_mov_b32 v74, v110
	v_dual_mov_b32 v77, v113 :: v_dual_mov_b32 v76, v112
	v_dual_mov_b32 v79, v115 :: v_dual_mov_b32 v78, v114
	v_dual_mov_b32 v81, v117 :: v_dual_mov_b32 v80, v116
	v_dual_mov_b32 v83, v119 :: v_dual_mov_b32 v82, v118
	v_dual_mov_b32 v77, v65 :: v_dual_mov_b32 v84, v120
	v_dual_mov_b32 v79, v67 :: v_dual_mov_b32 v26, v86
	v_dual_mov_b32 v27, v87 :: v_dual_mov_b32 v30, v54
	v_dual_mov_b32 v31, v55 :: v_dual_mov_b32 v36, v60
	v_dual_mov_b32 v75, v111 :: v_dual_mov_b32 v78, v66
	v_mov_b32_e32 v81, v69
	v_dual_mov_b32 v80, v121 :: v_dual_mov_b32 v83, v71
	v_mov_b32_e32 v82, v70
	v_dual_mov_b32 v84, v72 :: v_dual_mov_b32 v37, v38
	v_mov_b32_e32 v63, v62
	v_mov_b32_e32 v51, v50
.LBB96_109:
	s_or_b32 exec_lo, exec_lo, s2
	v_mov_b32_e32 v38, v4
	s_mov_b32 s2, exec_lo
	v_cmpx_lt_f32_e32 v37, v4
	s_cbranch_execz .LBB96_111
; %bb.110:
	v_mov_b32_e32 v15, v52
	v_mov_b32_e32 v96, v24
	;; [unrolled: 1-line block ×3, first 2 shown]
	v_dual_mov_b32 v88, v51 :: v_dual_mov_b32 v99, v64
	v_dual_mov_b32 v94, v22 :: v_dual_mov_b32 v85, v13
	;; [unrolled: 1-line block ×3, first 2 shown]
	v_mov_b32_e32 v95, v23
	v_dual_mov_b32 v93, v21 :: v_dual_mov_b32 v92, v20
	v_dual_mov_b32 v91, v19 :: v_dual_mov_b32 v90, v18
	;; [unrolled: 1-line block ×7, first 2 shown]
	v_mov_b32_e32 v87, v15
	v_dual_mov_b32 v111, v99 :: v_dual_mov_b32 v110, v98
	v_dual_mov_b32 v112, v63 :: v_dual_mov_b32 v25, v85
	;; [unrolled: 1-line block ×3, first 2 shown]
	s_delay_alu instid0(VALU_DEP_3)
	v_dual_mov_b32 v74, v110 :: v_dual_mov_b32 v29, v89
	v_dual_mov_b32 v30, v90 :: v_dual_mov_b32 v31, v91
	;; [unrolled: 1-line block ×8, first 2 shown]
	v_mov_b32_e32 v84, v120
	v_dual_mov_b32 v3, v4 :: v_dual_mov_b32 v4, v37
	v_dual_mov_b32 v27, v87 :: v_dual_mov_b32 v28, v88
	;; [unrolled: 1-line block ×11, first 2 shown]
	v_mov_b32_e32 v38, v37
	v_mov_b32_e32 v64, v63
	;; [unrolled: 1-line block ×3, first 2 shown]
.LBB96_111:
	s_or_b32 exec_lo, exec_lo, s2
	v_mov_b32_e32 v16, v5
	s_mov_b32 s2, exec_lo
	v_cmpx_lt_f32_e32 v38, v5
	s_cbranch_execz .LBB96_113
; %bb.112:
	v_mov_b32_e32 v100, v65
	v_mov_b32_e32 v16, v53
	v_dual_mov_b32 v4, v5 :: v_dual_mov_b32 v5, v38
	v_dual_mov_b32 v36, v24 :: v_dual_mov_b32 v33, v21
	;; [unrolled: 1-line block ×3, first 2 shown]
	v_mov_b32_e32 v31, v19
	v_dual_mov_b32 v35, v59 :: v_dual_mov_b32 v34, v58
	v_dual_mov_b32 v73, v97 :: v_dual_mov_b32 v32, v20
	;; [unrolled: 1-line block ×8, first 2 shown]
	v_mov_b32_e32 v77, v64
	v_dual_mov_b32 v84, v108 :: v_dual_mov_b32 v79, v67
	v_dual_mov_b32 v120, v108 :: v_dual_mov_b32 v115, v103
	;; [unrolled: 1-line block ×19, first 2 shown]
	v_mov_b32_e32 v88, v16
	v_dual_mov_b32 v86, v14 :: v_dual_mov_b32 v65, v64
	v_dual_mov_b32 v16, v38 :: v_dual_mov_b32 v53, v52
	;; [unrolled: 1-line block ×3, first 2 shown]
.LBB96_113:
	s_or_b32 exec_lo, exec_lo, s2
	v_mov_b32_e32 v13, v6
	s_mov_b32 s2, exec_lo
	v_cmpx_lt_f32_e32 v16, v6
	s_cbranch_execz .LBB96_115
; %bb.114:
	v_dual_mov_b32 v89, v54 :: v_dual_mov_b32 v90, v53
	v_dual_mov_b32 v91, v55 :: v_dual_mov_b32 v92, v122
	;; [unrolled: 1-line block ×21, first 2 shown]
	v_mov_b32_e32 v13, v16
.LBB96_115:
	s_or_b32 exec_lo, exec_lo, s2
	s_delay_alu instid0(VALU_DEP_1)
	v_cmp_lt_f32_e32 vcc_lo, v13, v7
	v_dual_mov_b32 v14, v2 :: v_dual_mov_b32 v17, v5
	v_dual_mov_b32 v16, v4 :: v_dual_mov_b32 v21, v9
	v_dual_cndmask_b32 v37, v79, v78 :: v_dual_cndmask_b32 v78, v78, v79
	v_cndmask_b32_e32 v38, v31, v30, vcc_lo
	v_dual_cndmask_b32 v30, v30, v31 :: v_dual_cndmask_b32 v19, v7, v13
	v_dual_cndmask_b32 v18, v6, v7 :: v_dual_mov_b32 v15, v3
	v_dual_mov_b32 v13, v1 :: v_dual_mov_b32 v20, v8
	v_dual_mov_b32 v23, v11 :: v_dual_mov_b32 v22, v10
	v_mov_b32_e32 v24, v12
	s_mov_b32 s2, exec_lo
	v_cmpx_lt_f32_e32 v1, v2
	s_cbranch_execz .LBB96_117
; %bb.116:
	v_dual_mov_b32 v2, v14 :: v_dual_mov_b32 v3, v13
	v_dual_mov_b32 v12, v23 :: v_dual_mov_b32 v13, v24
	;; [unrolled: 1-line block ×6, first 2 shown]
	v_mov_b32_e32 v24, v13
	v_mov_b32_e32 v31, v73
	v_dual_mov_b32 v39, v25 :: v_dual_mov_b32 v18, v7
	v_swap_b32 v73, v74
	v_swap_b32 v25, v26
	v_dual_mov_b32 v23, v12 :: v_dual_mov_b32 v20, v9
	v_dual_mov_b32 v22, v11 :: v_dual_mov_b32 v21, v10
	;; [unrolled: 1-line block ×4, first 2 shown]
	v_mov_b32_e32 v15, v4
	v_dual_mov_b32 v13, v2 :: v_dual_mov_b32 v2, v1
.LBB96_117:
	s_or_b32 exec_lo, exec_lo, s2
	v_mov_b32_e32 v31, v38
	v_dual_mov_b32 v79, v37 :: v_dual_mov_b32 v50, v36
	v_dual_mov_b32 v51, v73 :: v_dual_mov_b32 v52, v74
	;; [unrolled: 1-line block ×24, first 2 shown]
	v_mov_b32_e32 v85, v25
	v_mov_b32_e32 v1, v15
	s_mov_b32 s2, exec_lo
	v_cmpx_lt_f32_e32 v2, v15
	s_cbranch_execz .LBB96_119
; %bb.118:
	v_dual_mov_b32 v96, v36 :: v_dual_mov_b32 v95, v35
	v_dual_mov_b32 v86, v26 :: v_dual_mov_b32 v85, v25
	;; [unrolled: 1-line block ×8, first 2 shown]
	v_mov_b32_e32 v105, v81
	v_dual_mov_b32 v43, v89 :: v_dual_mov_b32 v44, v90
	v_dual_mov_b32 v100, v76 :: v_dual_mov_b32 v97, v73
	;; [unrolled: 1-line block ×6, first 2 shown]
	v_mov_b32_e32 v98, v74
	v_dual_mov_b32 v98, v75 :: v_dual_mov_b32 v99, v74
	v_dual_mov_b32 v49, v95 :: v_dual_mov_b32 v50, v96
	;; [unrolled: 1-line block ×12, first 2 shown]
	v_mov_b32_e32 v40, v86
	v_dual_mov_b32 v42, v28 :: v_dual_mov_b32 v43, v29
	v_dual_mov_b32 v45, v38 :: v_dual_mov_b32 v46, v32
	;; [unrolled: 1-line block ×9, first 2 shown]
	v_mov_b32_e32 v75, v74
	v_mov_b32_e32 v27, v26
.LBB96_119:
	s_or_b32 exec_lo, exec_lo, s2
	v_mov_b32_e32 v2, v16
	s_mov_b32 s2, exec_lo
	v_cmpx_lt_f32_e32 v1, v16
	s_cbranch_execz .LBB96_121
; %bb.120:
	v_mov_b32_e32 v87, v28
	v_mov_b32_e32 v99, v76
	v_dual_mov_b32 v15, v16 :: v_dual_mov_b32 v16, v1
	v_dual_mov_b32 v39, v85 :: v_dual_mov_b32 v42, v88
	;; [unrolled: 1-line block ×13, first 2 shown]
	v_mov_b32_e32 v56, v78
	v_mov_b32_e32 v40, v86
	v_dual_mov_b32 v42, v27 :: v_dual_mov_b32 v43, v29
	v_dual_mov_b32 v45, v38 :: v_dual_mov_b32 v46, v32
	;; [unrolled: 1-line block ×8, first 2 shown]
	v_mov_b32_e32 v2, v1
	v_mov_b32_e32 v76, v75
	;; [unrolled: 1-line block ×3, first 2 shown]
.LBB96_121:
	s_or_b32 exec_lo, exec_lo, s2
	v_mov_b32_e32 v1, v17
	s_mov_b32 s2, exec_lo
	v_cmpx_lt_f32_e32 v2, v17
	s_cbranch_execz .LBB96_123
; %bb.122:
	v_dual_mov_b32 v106, v82 :: v_dual_mov_b32 v107, v83
	v_dual_mov_b32 v88, v29 :: v_dual_mov_b32 v89, v28
	;; [unrolled: 1-line block ×8, first 2 shown]
	v_mov_b32_e32 v108, v84
	v_dual_mov_b32 v16, v17 :: v_dual_mov_b32 v17, v2
	v_dual_mov_b32 v96, v36 :: v_dual_mov_b32 v51, v97
	;; [unrolled: 1-line block ×14, first 2 shown]
.LBB96_123:
	s_or_b32 exec_lo, exec_lo, s2
	s_delay_alu instid0(VALU_DEP_1)
	v_cmp_lt_f32_e32 vcc_lo, v1, v18
	v_dual_mov_b32 v27, v13 :: v_dual_mov_b32 v34, v20
	v_dual_mov_b32 v29, v15 :: v_dual_mov_b32 v36, v22
	v_dual_cndmask_b32 v63, v56, v55 :: v_dual_cndmask_b32 v32, v18, v1
	v_dual_cndmask_b32 v55, v55, v56 :: v_dual_cndmask_b32 v64, v44, v43
	v_dual_cndmask_b32 v43, v43, v44 :: v_dual_mov_b32 v28, v14
	v_dual_cndmask_b32 v31, v17, v18 :: v_dual_mov_b32 v30, v16
	v_dual_mov_b32 v33, v19 :: v_dual_mov_b32 v38, v24
	v_mov_b32_e32 v35, v21
	v_mov_b32_e32 v37, v23
	s_mov_b32 s2, exec_lo
	v_cmpx_lt_f32_e32 v13, v14
	s_cbranch_execz .LBB96_125
; %bb.124:
	s_delay_alu instid0(VALU_DEP_2)
	v_dual_mov_b32 v11, v37 :: v_dual_mov_b32 v12, v38
	v_dual_mov_b32 v1, v28 :: v_dual_mov_b32 v2, v27
	;; [unrolled: 1-line block ×7, first 2 shown]
	s_delay_alu instid0(VALU_DEP_2)
	v_dual_mov_b32 v16, v39 :: v_dual_mov_b32 v35, v9
	v_swap_b32 v51, v52
	v_swap_b32 v39, v40
	v_dual_mov_b32 v37, v11 :: v_dual_mov_b32 v36, v10
	v_dual_mov_b32 v34, v8 :: v_dual_mov_b32 v33, v7
	;; [unrolled: 1-line block ×5, first 2 shown]
	v_mov_b32_e32 v14, v13
.LBB96_125:
	s_or_b32 exec_lo, exec_lo, s2
	v_mov_b32_e32 v44, v64
	v_mov_b32_e32 v56, v63
	;; [unrolled: 1-line block ×4, first 2 shown]
	v_dual_mov_b32 v15, v51 :: v_dual_mov_b32 v2, v40
	v_dual_mov_b32 v16, v52 :: v_dual_mov_b32 v17, v53
	;; [unrolled: 1-line block ×11, first 2 shown]
	v_mov_b32_e32 v12, v50
	s_mov_b32 s2, exec_lo
	v_cmpx_lt_f32_e32 v14, v29
	s_cbranch_execz .LBB96_127
; %bb.126:
	v_dual_mov_b32 v1, v39 :: v_dual_mov_b32 v2, v40
	v_dual_mov_b32 v11, v49 :: v_dual_mov_b32 v12, v50
	;; [unrolled: 1-line block ×25, first 2 shown]
	v_mov_b32_e32 v41, v40
.LBB96_127:
	s_or_b32 exec_lo, exec_lo, s2
	v_mov_b32_e32 v39, v30
	s_mov_b32 s2, exec_lo
	v_cmpx_lt_f32_e32 v13, v30
	s_cbranch_execz .LBB96_129
; %bb.128:
	v_dual_mov_b32 v29, v30 :: v_dual_mov_b32 v30, v13
	v_dual_mov_b32 v3, v42 :: v_dual_mov_b32 v4, v41
	;; [unrolled: 1-line block ×11, first 2 shown]
	v_mov_b32_e32 v39, v13
.LBB96_129:
	s_or_b32 exec_lo, exec_lo, s2
	s_delay_alu instid0(VALU_DEP_1)
	v_cmp_lt_f32_e32 vcc_lo, v39, v31
	v_dual_mov_b32 v40, v28 :: v_dual_mov_b32 v45, v33
	v_dual_mov_b32 v44, v32 :: v_dual_mov_b32 v47, v35
	v_dual_cndmask_b32 v13, v19, v18 :: v_dual_cndmask_b32 v18, v18, v19
	v_dual_cndmask_b32 v14, v5, v4 :: v_dual_cndmask_b32 v43, v31, v39
	v_dual_cndmask_b32 v4, v4, v5 :: v_dual_mov_b32 v39, v27
	v_dual_cndmask_b32 v42, v30, v31 :: v_dual_mov_b32 v41, v29
	v_dual_mov_b32 v46, v34 :: v_dual_mov_b32 v49, v37
	v_mov_b32_e32 v48, v36
	v_mov_b32_e32 v50, v38
	s_mov_b32 s2, exec_lo
	v_cmpx_lt_f32_e32 v27, v28
	s_cbranch_execz .LBB96_131
; %bb.130:
	v_dual_mov_b32 v28, v40 :: v_dual_mov_b32 v29, v39
	v_dual_mov_b32 v38, v49 :: v_dual_mov_b32 v39, v50
	;; [unrolled: 1-line block ×7, first 2 shown]
	v_mov_b32_e32 v5, v15
	v_swap_b32 v15, v16
	s_delay_alu instid0(VALU_DEP_4)
	v_mov_b32_e32 v48, v37
	v_swap_b32 v1, v2
	v_dual_mov_b32 v49, v38 :: v_dual_mov_b32 v46, v35
	v_dual_mov_b32 v47, v36 :: v_dual_mov_b32 v44, v33
	v_dual_mov_b32 v45, v34 :: v_dual_mov_b32 v42, v31
	v_dual_mov_b32 v43, v32 :: v_dual_mov_b32 v40, v29
	v_mov_b32_e32 v41, v30
	v_dual_mov_b32 v39, v28 :: v_dual_mov_b32 v28, v27
.LBB96_131:
	s_or_b32 exec_lo, exec_lo, s2
	v_mov_b32_e32 v5, v14
	v_mov_b32_e32 v19, v13
	v_mov_b32_e32 v27, v41
	s_mov_b32 s2, exec_lo
	v_cmpx_lt_f32_e32 v28, v41
	s_cbranch_execz .LBB96_133
; %bb.132:
	v_dual_mov_b32 v74, v26 :: v_dual_mov_b32 v73, v25
	v_dual_mov_b32 v62, v12 :: v_dual_mov_b32 v61, v11
	;; [unrolled: 1-line block ×22, first 2 shown]
	v_mov_b32_e32 v74, v26
	v_dual_mov_b32 v40, v41 :: v_dual_mov_b32 v41, v28
	v_dual_mov_b32 v62, v12 :: v_dual_mov_b32 v15, v63
	;; [unrolled: 1-line block ×14, first 2 shown]
.LBB96_133:
	s_or_b32 exec_lo, exec_lo, s2
	s_delay_alu instid0(VALU_DEP_1)
	v_cmp_lt_f32_e32 vcc_lo, v27, v42
	v_dual_mov_b32 v28, v23 :: v_dual_mov_b32 v29, v24
	v_dual_mov_b32 v30, v25 :: v_dual_mov_b32 v31, v26
	v_dual_cndmask_b32 v13, v18, v17 :: v_dual_cndmask_b32 v14, v4, v3
	v_dual_cndmask_b32 v51, v17, v18 :: v_dual_cndmask_b32 v56, v3, v4
	;; [unrolled: 1-line block ×3, first 2 shown]
	v_cmp_lt_f32_e32 vcc_lo, v39, v40
	v_dual_mov_b32 v4, v19 :: v_dual_mov_b32 v17, v20
	v_dual_mov_b32 v18, v21 :: v_dual_mov_b32 v27, v22
	v_dual_mov_b32 v32, v5 :: v_dual_mov_b32 v33, v6
	v_dual_mov_b32 v34, v7 :: v_dual_mov_b32 v35, v8
	v_dual_mov_b32 v36, v9 :: v_dual_mov_b32 v37, v10
	v_dual_mov_b32 v38, v11 :: v_dual_mov_b32 v41, v12
	v_dual_mov_b32 v61, v40 :: v_dual_mov_b32 v42, v43
	v_dual_mov_b32 v52, v44 :: v_dual_mov_b32 v53, v45
	v_dual_mov_b32 v54, v46 :: v_dual_mov_b32 v55, v47
	v_dual_mov_b32 v57, v48 :: v_dual_mov_b32 v58, v49
	v_mov_b32_e32 v59, v50
	s_and_saveexec_b32 s2, vcc_lo
	s_cbranch_execz .LBB96_135
; %bb.134:
	v_dual_mov_b32 v42, v40 :: v_dual_mov_b32 v27, v22
	v_dual_mov_b32 v4, v15 :: v_dual_mov_b32 v17, v20
	;; [unrolled: 1-line block ×3, first 2 shown]
	v_swap_b32 v15, v16
	v_swap_b32 v1, v2
	v_dual_mov_b32 v40, v39 :: v_dual_mov_b32 v29, v24
	v_dual_mov_b32 v4, v19 :: v_dual_mov_b32 v31, v26
	;; [unrolled: 1-line block ×11, first 2 shown]
	v_mov_b32_e32 v54, v46
	v_mov_b32_e32 v58, v49
.LBB96_135:
	s_or_b32 exec_lo, exec_lo, s2
	s_clause 0x1
	s_load_b32 s8, s[0:1], 0x28
	s_load_b128 s[4:7], s[0:1], 0x10
	s_waitcnt lgkmcnt(0)
	s_cmp_lt_i32 s8, 1
	s_cbranch_scc1 .LBB96_141
; %bb.136:
	v_cmp_lt_f32_e32 vcc_lo, v40, v60
	v_dual_mov_b32 v7, 0 :: v_dual_mov_b32 v6, 0
	s_mov_b32 s9, 0x76543210
	s_mov_b32 s10, s8
	v_dual_cndmask_b32 v5, v56, v2 :: v_dual_cndmask_b32 v12, v61, v60
	v_dual_cndmask_b32 v10, v2, v56 :: v_dual_cndmask_b32 v19, v16, v51
	v_cndmask_b32_e32 v2, v60, v40, vcc_lo
	v_cndmask_b32_e32 v8, v51, v16, vcc_lo
	s_delay_alu instid0(VALU_DEP_4) | instskip(NEXT) | instid1(VALU_DEP_1)
	v_cmp_lt_f32_e64 s2, v39, v12
	v_cndmask_b32_e64 v9, v10, v1, s2
	v_cndmask_b32_e64 v10, v1, v10, s2
	;; [unrolled: 1-line block ×6, first 2 shown]
	v_mov_b32_e32 v19, v0
	v_mov_b32_e32 v1, 0
.LBB96_137:                             ; =>This Inner Loop Header: Depth=1
	v_cmp_eq_u32_e32 vcc_lo, 1, v7
	v_cmp_eq_u32_e64 s2, 2, v7
	v_cmp_gt_u32_e64 s3, 12, v7
	v_dual_cndmask_b32 v20, v12, v11 :: v_dual_cndmask_b32 v21, v10, v9
	s_delay_alu instid0(VALU_DEP_1) | instskip(NEXT) | instid1(VALU_DEP_2)
	v_cndmask_b32_e64 v20, v20, v2, s2
	v_cndmask_b32_e64 v21, v21, v5, s2
	v_cndmask_b32_e32 v22, v15, v16, vcc_lo
	v_cmp_eq_u32_e32 vcc_lo, 3, v7
	s_delay_alu instid0(VALU_DEP_3) | instskip(NEXT) | instid1(VALU_DEP_3)
	v_cndmask_b32_e32 v21, v21, v14, vcc_lo
	v_cndmask_b32_e64 v22, v22, v8, s2
	v_cmp_eq_u32_e64 s2, 4, v7
	s_delay_alu instid0(VALU_DEP_2) | instskip(NEXT) | instid1(VALU_DEP_2)
	v_cndmask_b32_e32 v22, v22, v13, vcc_lo
	v_cndmask_b32_e64 v21, v21, v32, s2
	v_cndmask_b32_e32 v20, v20, v3, vcc_lo
	v_cmp_eq_u32_e32 vcc_lo, 5, v7
	s_delay_alu instid0(VALU_DEP_4) | instskip(NEXT) | instid1(VALU_DEP_4)
	v_cndmask_b32_e64 v22, v22, v4, s2
	v_cndmask_b32_e32 v21, v21, v33, vcc_lo
	s_delay_alu instid0(VALU_DEP_4) | instskip(SKIP_1) | instid1(VALU_DEP_4)
	v_cndmask_b32_e64 v20, v20, v42, s2
	v_cmp_eq_u32_e64 s2, 6, v7
	v_cndmask_b32_e32 v22, v22, v17, vcc_lo
	s_delay_alu instid0(VALU_DEP_3) | instskip(SKIP_1) | instid1(VALU_DEP_4)
	v_cndmask_b32_e32 v20, v20, v52, vcc_lo
	v_cmp_eq_u32_e32 vcc_lo, 7, v7
	v_cndmask_b32_e64 v21, v21, v34, s2
	s_delay_alu instid0(VALU_DEP_4) | instskip(NEXT) | instid1(VALU_DEP_4)
	v_cndmask_b32_e64 v22, v22, v18, s2
	v_cndmask_b32_e64 v20, v20, v53, s2
	v_cmp_eq_u32_e64 s2, 8, v7
	s_delay_alu instid0(VALU_DEP_4) | instskip(NEXT) | instid1(VALU_DEP_4)
	v_cndmask_b32_e32 v21, v21, v35, vcc_lo
	v_cndmask_b32_e32 v22, v22, v27, vcc_lo
	s_delay_alu instid0(VALU_DEP_4) | instskip(SKIP_1) | instid1(VALU_DEP_4)
	v_cndmask_b32_e32 v20, v20, v54, vcc_lo
	v_cmp_eq_u32_e32 vcc_lo, 9, v7
	v_cndmask_b32_e64 v21, v21, v36, s2
	s_delay_alu instid0(VALU_DEP_4) | instskip(NEXT) | instid1(VALU_DEP_4)
	v_cndmask_b32_e64 v22, v22, v28, s2
	v_cndmask_b32_e64 v20, v20, v55, s2
	v_cmp_eq_u32_e64 s2, 10, v7
	s_delay_alu instid0(VALU_DEP_4) | instskip(NEXT) | instid1(VALU_DEP_4)
	v_cndmask_b32_e32 v21, v21, v37, vcc_lo
	v_cndmask_b32_e32 v22, v22, v29, vcc_lo
	s_delay_alu instid0(VALU_DEP_4) | instskip(SKIP_1) | instid1(VALU_DEP_4)
	v_cndmask_b32_e32 v20, v20, v57, vcc_lo
	v_cmp_eq_u32_e32 vcc_lo, 11, v7
	v_cndmask_b32_e64 v21, v21, v38, s2
	s_delay_alu instid0(VALU_DEP_3) | instskip(NEXT) | instid1(VALU_DEP_1)
	v_cndmask_b32_e64 v20, v20, v58, s2
	v_dual_cndmask_b32 v21, v21, v41 :: v_dual_cndmask_b32 v20, v20, v59
	s_delay_alu instid0(VALU_DEP_1)
	v_cndmask_b32_e64 v20, 0xff800000, v20, s3
	;;#ASMSTART
	v_max_f32 v23, v20, v20 quad_perm:[1,0,3,2] row_mask:0xf bank_mask:0xf bound_ctrl:1
	;;#ASMEND
	;;#ASMSTART
	v_max_f32 v24, v23, v23 quad_perm:[2,3,0,1] row_mask:0xf bank_mask:0xf bound_ctrl:1
	;;#ASMEND
	;;#ASMSTART
	v_max_f32 v23, v24, v24 row_half_mirror row_mask:0xf bank_mask:0xf bound_ctrl:1
	;;#ASMEND
	;;#ASMSTART
	v_max_f32 v24, v23, v23 row_mirror row_mask:0xf bank_mask:0xf bound_ctrl:1
	;;#ASMEND
	v_permlanex16_b32 v23, v24, s9, 0xfedcba98 op_sel:[1,1]
	s_delay_alu instid0(VALU_DEP_1) | instskip(NEXT) | instid1(VALU_DEP_1)
	v_dual_max_f32 v24, v24, v24 :: v_dual_max_f32 v23, v23, v23
	v_max_f32_e32 v23, v24, v23
	v_cndmask_b32_e64 v22, v22, v30, s2
	s_delay_alu instid0(VALU_DEP_2) | instskip(SKIP_1) | instid1(VALU_DEP_2)
	v_cmp_eq_f32_e64 s2, v20, v23
	v_cndmask_b32_e64 v20, 0, v21, s3
	s_ctz_i32_b32 s11, s2
	s_cmp_lg_u32 s2, 0
	s_cselect_b32 s2, s11, 0
	s_add_i32 s10, s10, -1
	v_readlane_b32 s11, v20, s2
	v_cndmask_b32_e32 v20, v22, v31, vcc_lo
	s_delay_alu instid0(VALU_DEP_2)
	v_cmp_eq_u32_e32 vcc_lo, s11, v21
	s_and_b32 s2, s11, 31
	s_and_b32 vcc_lo, s3, vcc_lo
	s_cmp_eq_u32 s10, 0
	v_cndmask_b32_e32 v20, 0, v20, vcc_lo
	v_add_co_ci_u32_e32 v7, vcc_lo, 0, v7, vcc_lo
	s_delay_alu instid0(VALU_DEP_2) | instskip(SKIP_2) | instid1(VALU_DEP_2)
	v_readlane_b32 s3, v20, s2
	v_cmp_eq_u32_e64 s2, 0, v19
	v_add_nc_u32_e32 v19, -1, v19
	v_cndmask_b32_e64 v6, v6, s3, s2
	v_cndmask_b32_e64 v1, v1, s11, s2
	s_cbranch_scc0 .LBB96_137
; %bb.138:
	s_mov_b32 s2, exec_lo
	v_cmpx_gt_i32_e64 s8, v0
	s_cbranch_execz .LBB96_140
.LBB96_139:
	s_clause 0x1
	s_load_b64 s[2:3], s[0:1], 0x20
	s_load_b32 s8, s[0:1], 0x30
	s_ashr_i32 s0, s15, 31
	s_waitcnt lgkmcnt(0)
	s_mul_i32 s1, s15, s3
	s_mul_hi_u32 s3, s15, s2
	s_mul_i32 s0, s0, s2
	s_add_i32 s1, s3, s1
	v_mul_f32_e32 v0, s8, v6
	s_add_i32 s1, s1, s0
	s_mul_i32 s0, s15, s2
	s_delay_alu instid0(SALU_CYCLE_1) | instskip(NEXT) | instid1(SALU_CYCLE_1)
	s_lshl_b64 s[0:1], s[0:1], 2
	s_add_u32 s2, s4, s0
	s_addc_u32 s3, s5, s1
	s_add_u32 s0, s6, s0
	s_addc_u32 s1, s7, s1
	s_clause 0x1
	global_store_b32 v183, v0, s[2:3]
	global_store_b32 v183, v1, s[0:1]
.LBB96_140:
	s_endpgm
.LBB96_141:
	v_dual_mov_b32 v1, 0 :: v_dual_mov_b32 v6, 0
	s_mov_b32 s2, exec_lo
	v_cmpx_gt_i32_e64 s8, v0
	s_cbranch_execnz .LBB96_139
	s_branch .LBB96_140
	.section	.rodata,"a",@progbits
	.p2align	6, 0x0
	.amdhsa_kernel _ZN5aiter24topk_softplus_kernel_optIf12hip_bfloat16Li384ELb0ELi0EEEvPKT_PKT0_PfPimiif
		.amdhsa_group_segment_fixed_size 0
		.amdhsa_private_segment_fixed_size 196
		.amdhsa_kernarg_size 52
		.amdhsa_user_sgpr_count 15
		.amdhsa_user_sgpr_dispatch_ptr 0
		.amdhsa_user_sgpr_queue_ptr 0
		.amdhsa_user_sgpr_kernarg_segment_ptr 1
		.amdhsa_user_sgpr_dispatch_id 0
		.amdhsa_user_sgpr_private_segment_size 0
		.amdhsa_wavefront_size32 1
		.amdhsa_uses_dynamic_stack 0
		.amdhsa_enable_private_segment 1
		.amdhsa_system_sgpr_workgroup_id_x 1
		.amdhsa_system_sgpr_workgroup_id_y 0
		.amdhsa_system_sgpr_workgroup_id_z 0
		.amdhsa_system_sgpr_workgroup_info 0
		.amdhsa_system_vgpr_workitem_id 0
		.amdhsa_next_free_vgpr 184
		.amdhsa_next_free_sgpr 16
		.amdhsa_reserve_vcc 1
		.amdhsa_float_round_mode_32 0
		.amdhsa_float_round_mode_16_64 0
		.amdhsa_float_denorm_mode_32 3
		.amdhsa_float_denorm_mode_16_64 3
		.amdhsa_dx10_clamp 1
		.amdhsa_ieee_mode 1
		.amdhsa_fp16_overflow 0
		.amdhsa_workgroup_processor_mode 1
		.amdhsa_memory_ordered 1
		.amdhsa_forward_progress 0
		.amdhsa_shared_vgpr_count 0
		.amdhsa_exception_fp_ieee_invalid_op 0
		.amdhsa_exception_fp_denorm_src 0
		.amdhsa_exception_fp_ieee_div_zero 0
		.amdhsa_exception_fp_ieee_overflow 0
		.amdhsa_exception_fp_ieee_underflow 0
		.amdhsa_exception_fp_ieee_inexact 0
		.amdhsa_exception_int_div_zero 0
	.end_amdhsa_kernel
	.section	.text._ZN5aiter24topk_softplus_kernel_optIf12hip_bfloat16Li384ELb0ELi0EEEvPKT_PKT0_PfPimiif,"axG",@progbits,_ZN5aiter24topk_softplus_kernel_optIf12hip_bfloat16Li384ELb0ELi0EEEvPKT_PKT0_PfPimiif,comdat
.Lfunc_end96:
	.size	_ZN5aiter24topk_softplus_kernel_optIf12hip_bfloat16Li384ELb0ELi0EEEvPKT_PKT0_PfPimiif, .Lfunc_end96-_ZN5aiter24topk_softplus_kernel_optIf12hip_bfloat16Li384ELb0ELi0EEEvPKT_PKT0_PfPimiif
                                        ; -- End function
	.section	.AMDGPU.csdata,"",@progbits
; Kernel info:
; codeLenInByte = 30384
; NumSgprs: 18
; NumVgprs: 184
; ScratchSize: 196
; MemoryBound: 0
; FloatMode: 240
; IeeeMode: 1
; LDSByteSize: 0 bytes/workgroup (compile time only)
; SGPRBlocks: 2
; VGPRBlocks: 22
; NumSGPRsForWavesPerEU: 18
; NumVGPRsForWavesPerEU: 184
; Occupancy: 8
; WaveLimiterHint : 0
; COMPUTE_PGM_RSRC2:SCRATCH_EN: 1
; COMPUTE_PGM_RSRC2:USER_SGPR: 15
; COMPUTE_PGM_RSRC2:TRAP_HANDLER: 0
; COMPUTE_PGM_RSRC2:TGID_X_EN: 1
; COMPUTE_PGM_RSRC2:TGID_Y_EN: 0
; COMPUTE_PGM_RSRC2:TGID_Z_EN: 0
; COMPUTE_PGM_RSRC2:TIDIG_COMP_CNT: 0
	.section	.text._ZN5aiter20topk_softplus_kernelIf12hip_bfloat16Dv4_fLb1ELi0EEEvPKT_PKT0_PfPimiiif,"axG",@progbits,_ZN5aiter20topk_softplus_kernelIf12hip_bfloat16Dv4_fLb1ELi0EEEvPKT_PKT0_PfPimiiif,comdat
	.protected	_ZN5aiter20topk_softplus_kernelIf12hip_bfloat16Dv4_fLb1ELi0EEEvPKT_PKT0_PfPimiiif ; -- Begin function _ZN5aiter20topk_softplus_kernelIf12hip_bfloat16Dv4_fLb1ELi0EEEvPKT_PKT0_PfPimiiif
	.globl	_ZN5aiter20topk_softplus_kernelIf12hip_bfloat16Dv4_fLb1ELi0EEEvPKT_PKT0_PfPimiiif
	.p2align	8
	.type	_ZN5aiter20topk_softplus_kernelIf12hip_bfloat16Dv4_fLb1ELi0EEEvPKT_PKT0_PfPimiiif,@function
_ZN5aiter20topk_softplus_kernelIf12hip_bfloat16Dv4_fLb1ELi0EEEvPKT_PKT0_PfPimiiif: ; @_ZN5aiter20topk_softplus_kernelIf12hip_bfloat16Dv4_fLb1ELi0EEEvPKT_PKT0_PfPimiiif
; %bb.0:
	s_clause 0x1
	s_load_b64 s[12:13], s[0:1], 0x28
	s_load_b256 s[4:11], s[0:1], 0x0
	v_lshlrev_b32_e32 v11, 2, v0
	s_waitcnt lgkmcnt(0)
	s_ashr_i32 s2, s12, 31
	s_mul_i32 s16, s15, s12
	s_lshr_b32 s2, s2, 30
	s_ashr_i32 s17, s16, 31
	s_add_i32 s2, s12, s2
	s_delay_alu instid0(SALU_CYCLE_1) | instskip(NEXT) | instid1(SALU_CYCLE_1)
	s_ashr_i32 s14, s2, 2
	v_cmp_gt_i32_e64 s2, s14, v0
	s_delay_alu instid0(VALU_DEP_1)
	s_and_saveexec_b32 s18, s2
	s_cbranch_execz .LBB97_11
; %bb.1:
	s_load_b32 s3, s[0:1], 0x44
	s_cmp_lg_u64 s[6:7], 0
	v_dual_mov_b32 v6, 0 :: v_dual_lshlrev_b32 v1, 4, v0
	s_cselect_b32 s19, -1, 0
	v_lshlrev_b32_e32 v5, 2, v0
	s_delay_alu instid0(VALU_DEP_2)
	v_dual_mov_b32 v13, v0 :: v_dual_add_nc_u32 v12, 0, v1
	s_waitcnt lgkmcnt(0)
	s_and_b32 s20, s3, 0xffff
	s_add_u32 s21, s6, 2
	s_addc_u32 s22, s7, 0
	s_add_u32 s23, s6, 4
	s_addc_u32 s24, s7, 0
	s_add_u32 s25, s6, 6
	s_addc_u32 s26, s7, 0
	s_lshl_b64 s[28:29], s[16:17], 2
	s_delay_alu instid0(SALU_CYCLE_1) | instskip(SKIP_2) | instid1(VALU_DEP_1)
	s_add_u32 s3, s4, s28
	s_addc_u32 s27, s5, s29
	v_add_co_u32 v7, s3, s3, v1
	v_add_co_ci_u32_e64 v8, null, s27, 0, s3
	s_mov_b32 s27, 0
	s_lshl_b32 s28, s20, 4
	s_lshl_b32 s29, s20, 2
	s_branch .LBB97_3
.LBB97_2:                               ;   in Loop: Header=BB97_3 Depth=1
	v_add_nc_u32_e32 v13, s20, v13
	v_add_co_u32 v7, s3, v7, s28
	ds_store_b128 v12, v[1:4]
	v_add_co_ci_u32_e64 v8, s3, 0, v8, s3
	v_cmp_le_i32_e32 vcc_lo, s14, v13
	v_add_nc_u32_e32 v5, s29, v5
	v_add_nc_u32_e32 v12, s28, v12
	s_or_b32 s27, vcc_lo, s27
	s_delay_alu instid0(SALU_CYCLE_1)
	s_and_not1_b32 exec_lo, exec_lo, s27
	s_cbranch_execz .LBB97_11
.LBB97_3:                               ; =>This Inner Loop Header: Depth=1
	global_load_b128 v[1:4], v[7:8], off
	s_waitcnt vmcnt(0)
	v_mul_f32_e32 v9, 0x3fb8aa3b, v1
	s_delay_alu instid0(VALU_DEP_1) | instskip(SKIP_2) | instid1(VALU_DEP_2)
	v_cmp_gt_f32_e32 vcc_lo, 0xc2fc0000, v9
	v_cndmask_b32_e64 v10, 0, 0x42800000, vcc_lo
	v_cndmask_b32_e64 v9, 1.0, 0x1f800000, vcc_lo
	v_fmac_f32_e32 v10, 0x3fb8aa3b, v1
	s_delay_alu instid0(VALU_DEP_1) | instskip(SKIP_2) | instid1(VALU_DEP_1)
	v_exp_f32_e32 v10, v10
	s_waitcnt_depctr 0xfff
	v_fma_f32 v9, v10, v9, 1.0
	v_cmp_gt_f32_e32 vcc_lo, 0x800000, v9
	v_cndmask_b32_e64 v10, 1.0, 0x4f800000, vcc_lo
	s_delay_alu instid0(VALU_DEP_1) | instskip(SKIP_2) | instid1(VALU_DEP_3)
	v_mul_f32_e32 v9, v9, v10
	v_cndmask_b32_e64 v10, 0, 0x42000000, vcc_lo
	v_cmp_lt_f32_e32 vcc_lo, 0x41a00000, v1
	v_log_f32_e32 v9, v9
	s_waitcnt_depctr 0xfff
	v_sub_f32_e32 v9, v9, v10
	s_delay_alu instid0(VALU_DEP_1) | instskip(NEXT) | instid1(VALU_DEP_1)
	v_mul_f32_e32 v9, 0x3f317218, v9
	v_cndmask_b32_e32 v1, v9, v1, vcc_lo
	s_delay_alu instid0(VALU_DEP_1) | instskip(SKIP_1) | instid1(VALU_DEP_2)
	v_mul_f32_e32 v9, 0x4f800000, v1
	v_cmp_gt_f32_e32 vcc_lo, 0xf800000, v1
	v_cndmask_b32_e32 v1, v1, v9, vcc_lo
	s_delay_alu instid0(VALU_DEP_1) | instskip(SKIP_3) | instid1(VALU_DEP_2)
	v_sqrt_f32_e32 v9, v1
	s_waitcnt_depctr 0xfff
	v_add_nc_u32_e32 v10, -1, v9
	v_add_nc_u32_e32 v14, 1, v9
	v_fma_f32 v15, -v10, v9, v1
	s_delay_alu instid0(VALU_DEP_2) | instskip(NEXT) | instid1(VALU_DEP_2)
	v_fma_f32 v16, -v14, v9, v1
	v_cmp_ge_f32_e64 s3, 0, v15
	s_delay_alu instid0(VALU_DEP_1) | instskip(NEXT) | instid1(VALU_DEP_3)
	v_cndmask_b32_e64 v9, v9, v10, s3
	v_cmp_lt_f32_e64 s3, 0, v16
	s_delay_alu instid0(VALU_DEP_1) | instskip(NEXT) | instid1(VALU_DEP_1)
	v_cndmask_b32_e64 v9, v9, v14, s3
	v_mul_f32_e32 v10, 0x37800000, v9
	s_delay_alu instid0(VALU_DEP_1) | instskip(SKIP_2) | instid1(VALU_DEP_3)
	v_cndmask_b32_e32 v14, v9, v10, vcc_lo
	v_cmp_class_f32_e64 vcc_lo, v1, 0x260
	v_lshlrev_b64 v[9:10], 1, v[5:6]
	v_cndmask_b32_e32 v1, v14, v1, vcc_lo
	s_and_not1_b32 vcc_lo, exec_lo, s19
	s_cbranch_vccnz .LBB97_5
; %bb.4:                                ;   in Loop: Header=BB97_3 Depth=1
	s_delay_alu instid0(VALU_DEP_2) | instskip(NEXT) | instid1(VALU_DEP_3)
	v_add_co_u32 v14, vcc_lo, s6, v9
	v_add_co_ci_u32_e32 v15, vcc_lo, s7, v10, vcc_lo
	global_load_u16 v14, v[14:15], off
	s_waitcnt vmcnt(0)
	v_lshlrev_b32_e32 v14, 16, v14
	s_delay_alu instid0(VALU_DEP_1)
	v_add_f32_e32 v1, v1, v14
.LBB97_5:                               ;   in Loop: Header=BB97_3 Depth=1
	v_mul_f32_e32 v14, 0x3fb8aa3b, v2
	s_delay_alu instid0(VALU_DEP_1) | instskip(SKIP_2) | instid1(VALU_DEP_2)
	v_cmp_gt_f32_e32 vcc_lo, 0xc2fc0000, v14
	v_cndmask_b32_e64 v15, 0, 0x42800000, vcc_lo
	v_cndmask_b32_e64 v14, 1.0, 0x1f800000, vcc_lo
	v_fmac_f32_e32 v15, 0x3fb8aa3b, v2
	s_delay_alu instid0(VALU_DEP_1) | instskip(SKIP_2) | instid1(VALU_DEP_1)
	v_exp_f32_e32 v15, v15
	s_waitcnt_depctr 0xfff
	v_fma_f32 v14, v15, v14, 1.0
	v_cmp_gt_f32_e32 vcc_lo, 0x800000, v14
	v_cndmask_b32_e64 v15, 1.0, 0x4f800000, vcc_lo
	s_delay_alu instid0(VALU_DEP_1) | instskip(SKIP_2) | instid1(VALU_DEP_3)
	v_mul_f32_e32 v14, v14, v15
	v_cndmask_b32_e64 v15, 0, 0x42000000, vcc_lo
	v_cmp_lt_f32_e32 vcc_lo, 0x41a00000, v2
	v_log_f32_e32 v14, v14
	s_waitcnt_depctr 0xfff
	v_sub_f32_e32 v14, v14, v15
	s_delay_alu instid0(VALU_DEP_1) | instskip(NEXT) | instid1(VALU_DEP_1)
	v_mul_f32_e32 v14, 0x3f317218, v14
	v_cndmask_b32_e32 v2, v14, v2, vcc_lo
	s_delay_alu instid0(VALU_DEP_1) | instskip(SKIP_1) | instid1(VALU_DEP_2)
	v_mul_f32_e32 v14, 0x4f800000, v2
	v_cmp_gt_f32_e32 vcc_lo, 0xf800000, v2
	v_cndmask_b32_e32 v2, v2, v14, vcc_lo
	s_delay_alu instid0(VALU_DEP_1) | instskip(SKIP_3) | instid1(VALU_DEP_2)
	v_sqrt_f32_e32 v14, v2
	s_waitcnt_depctr 0xfff
	v_add_nc_u32_e32 v15, -1, v14
	v_add_nc_u32_e32 v16, 1, v14
	v_fma_f32 v17, -v15, v14, v2
	s_delay_alu instid0(VALU_DEP_2) | instskip(NEXT) | instid1(VALU_DEP_2)
	v_fma_f32 v18, -v16, v14, v2
	v_cmp_ge_f32_e64 s3, 0, v17
	s_delay_alu instid0(VALU_DEP_1) | instskip(NEXT) | instid1(VALU_DEP_3)
	v_cndmask_b32_e64 v14, v14, v15, s3
	v_cmp_lt_f32_e64 s3, 0, v18
	s_delay_alu instid0(VALU_DEP_1) | instskip(NEXT) | instid1(VALU_DEP_1)
	v_cndmask_b32_e64 v14, v14, v16, s3
	v_mul_f32_e32 v15, 0x37800000, v14
	s_delay_alu instid0(VALU_DEP_1) | instskip(SKIP_1) | instid1(VALU_DEP_2)
	v_cndmask_b32_e32 v14, v14, v15, vcc_lo
	v_cmp_class_f32_e64 vcc_lo, v2, 0x260
	v_cndmask_b32_e32 v2, v14, v2, vcc_lo
	s_and_not1_b32 vcc_lo, exec_lo, s19
	s_cbranch_vccnz .LBB97_7
; %bb.6:                                ;   in Loop: Header=BB97_3 Depth=1
	v_add_co_u32 v14, vcc_lo, s21, v9
	v_add_co_ci_u32_e32 v15, vcc_lo, s22, v10, vcc_lo
	global_load_u16 v14, v[14:15], off
	s_waitcnt vmcnt(0)
	v_lshlrev_b32_e32 v14, 16, v14
	s_delay_alu instid0(VALU_DEP_1)
	v_add_f32_e32 v2, v2, v14
.LBB97_7:                               ;   in Loop: Header=BB97_3 Depth=1
	v_mul_f32_e32 v14, 0x3fb8aa3b, v3
	s_delay_alu instid0(VALU_DEP_1) | instskip(SKIP_2) | instid1(VALU_DEP_2)
	v_cmp_gt_f32_e32 vcc_lo, 0xc2fc0000, v14
	v_cndmask_b32_e64 v15, 0, 0x42800000, vcc_lo
	v_cndmask_b32_e64 v14, 1.0, 0x1f800000, vcc_lo
	v_fmac_f32_e32 v15, 0x3fb8aa3b, v3
	s_delay_alu instid0(VALU_DEP_1) | instskip(SKIP_2) | instid1(VALU_DEP_1)
	v_exp_f32_e32 v15, v15
	s_waitcnt_depctr 0xfff
	v_fma_f32 v14, v15, v14, 1.0
	v_cmp_gt_f32_e32 vcc_lo, 0x800000, v14
	v_cndmask_b32_e64 v15, 1.0, 0x4f800000, vcc_lo
	s_delay_alu instid0(VALU_DEP_1) | instskip(SKIP_2) | instid1(VALU_DEP_3)
	v_mul_f32_e32 v14, v14, v15
	v_cndmask_b32_e64 v15, 0, 0x42000000, vcc_lo
	v_cmp_lt_f32_e32 vcc_lo, 0x41a00000, v3
	v_log_f32_e32 v14, v14
	s_waitcnt_depctr 0xfff
	v_sub_f32_e32 v14, v14, v15
	s_delay_alu instid0(VALU_DEP_1) | instskip(NEXT) | instid1(VALU_DEP_1)
	v_mul_f32_e32 v14, 0x3f317218, v14
	v_cndmask_b32_e32 v3, v14, v3, vcc_lo
	s_delay_alu instid0(VALU_DEP_1) | instskip(SKIP_1) | instid1(VALU_DEP_2)
	v_mul_f32_e32 v14, 0x4f800000, v3
	v_cmp_gt_f32_e32 vcc_lo, 0xf800000, v3
	v_cndmask_b32_e32 v3, v3, v14, vcc_lo
	s_delay_alu instid0(VALU_DEP_1) | instskip(SKIP_3) | instid1(VALU_DEP_2)
	v_sqrt_f32_e32 v14, v3
	s_waitcnt_depctr 0xfff
	v_add_nc_u32_e32 v15, -1, v14
	v_add_nc_u32_e32 v16, 1, v14
	v_fma_f32 v17, -v15, v14, v3
	s_delay_alu instid0(VALU_DEP_2) | instskip(NEXT) | instid1(VALU_DEP_2)
	v_fma_f32 v18, -v16, v14, v3
	v_cmp_ge_f32_e64 s3, 0, v17
	s_delay_alu instid0(VALU_DEP_1) | instskip(NEXT) | instid1(VALU_DEP_3)
	v_cndmask_b32_e64 v14, v14, v15, s3
	v_cmp_lt_f32_e64 s3, 0, v18
	s_delay_alu instid0(VALU_DEP_1) | instskip(NEXT) | instid1(VALU_DEP_1)
	v_cndmask_b32_e64 v14, v14, v16, s3
	v_mul_f32_e32 v15, 0x37800000, v14
	s_delay_alu instid0(VALU_DEP_1) | instskip(SKIP_1) | instid1(VALU_DEP_2)
	v_cndmask_b32_e32 v14, v14, v15, vcc_lo
	v_cmp_class_f32_e64 vcc_lo, v3, 0x260
	v_cndmask_b32_e32 v3, v14, v3, vcc_lo
	s_and_not1_b32 vcc_lo, exec_lo, s19
	s_cbranch_vccnz .LBB97_9
; %bb.8:                                ;   in Loop: Header=BB97_3 Depth=1
	v_add_co_u32 v14, vcc_lo, s23, v9
	v_add_co_ci_u32_e32 v15, vcc_lo, s24, v10, vcc_lo
	global_load_u16 v14, v[14:15], off
	s_waitcnt vmcnt(0)
	v_lshlrev_b32_e32 v14, 16, v14
	s_delay_alu instid0(VALU_DEP_1)
	v_add_f32_e32 v3, v3, v14
.LBB97_9:                               ;   in Loop: Header=BB97_3 Depth=1
	v_mul_f32_e32 v14, 0x3fb8aa3b, v4
	s_delay_alu instid0(VALU_DEP_1) | instskip(SKIP_2) | instid1(VALU_DEP_2)
	v_cmp_gt_f32_e32 vcc_lo, 0xc2fc0000, v14
	v_cndmask_b32_e64 v15, 0, 0x42800000, vcc_lo
	v_cndmask_b32_e64 v14, 1.0, 0x1f800000, vcc_lo
	v_fmac_f32_e32 v15, 0x3fb8aa3b, v4
	s_delay_alu instid0(VALU_DEP_1) | instskip(SKIP_2) | instid1(VALU_DEP_1)
	v_exp_f32_e32 v15, v15
	s_waitcnt_depctr 0xfff
	v_fma_f32 v14, v15, v14, 1.0
	v_cmp_gt_f32_e32 vcc_lo, 0x800000, v14
	v_cndmask_b32_e64 v15, 1.0, 0x4f800000, vcc_lo
	s_delay_alu instid0(VALU_DEP_1) | instskip(SKIP_2) | instid1(VALU_DEP_3)
	v_mul_f32_e32 v14, v14, v15
	v_cndmask_b32_e64 v15, 0, 0x42000000, vcc_lo
	v_cmp_lt_f32_e32 vcc_lo, 0x41a00000, v4
	v_log_f32_e32 v14, v14
	s_waitcnt_depctr 0xfff
	v_sub_f32_e32 v14, v14, v15
	s_delay_alu instid0(VALU_DEP_1) | instskip(NEXT) | instid1(VALU_DEP_1)
	v_mul_f32_e32 v14, 0x3f317218, v14
	v_cndmask_b32_e32 v4, v14, v4, vcc_lo
	s_delay_alu instid0(VALU_DEP_1) | instskip(SKIP_1) | instid1(VALU_DEP_2)
	v_mul_f32_e32 v14, 0x4f800000, v4
	v_cmp_gt_f32_e32 vcc_lo, 0xf800000, v4
	v_cndmask_b32_e32 v4, v4, v14, vcc_lo
	s_delay_alu instid0(VALU_DEP_1) | instskip(SKIP_3) | instid1(VALU_DEP_2)
	v_sqrt_f32_e32 v14, v4
	s_waitcnt_depctr 0xfff
	v_add_nc_u32_e32 v15, -1, v14
	v_add_nc_u32_e32 v16, 1, v14
	v_fma_f32 v17, -v15, v14, v4
	s_delay_alu instid0(VALU_DEP_2) | instskip(NEXT) | instid1(VALU_DEP_2)
	v_fma_f32 v18, -v16, v14, v4
	v_cmp_ge_f32_e64 s3, 0, v17
	s_delay_alu instid0(VALU_DEP_1) | instskip(NEXT) | instid1(VALU_DEP_3)
	v_cndmask_b32_e64 v14, v14, v15, s3
	v_cmp_lt_f32_e64 s3, 0, v18
	s_delay_alu instid0(VALU_DEP_1) | instskip(NEXT) | instid1(VALU_DEP_1)
	v_cndmask_b32_e64 v14, v14, v16, s3
	v_mul_f32_e32 v15, 0x37800000, v14
	s_delay_alu instid0(VALU_DEP_1) | instskip(SKIP_1) | instid1(VALU_DEP_2)
	v_cndmask_b32_e32 v14, v14, v15, vcc_lo
	v_cmp_class_f32_e64 vcc_lo, v4, 0x260
	v_cndmask_b32_e32 v4, v14, v4, vcc_lo
	s_and_not1_b32 vcc_lo, exec_lo, s19
	s_cbranch_vccnz .LBB97_2
; %bb.10:                               ;   in Loop: Header=BB97_3 Depth=1
	v_add_co_u32 v9, vcc_lo, s25, v9
	v_add_co_ci_u32_e32 v10, vcc_lo, s26, v10, vcc_lo
	global_load_u16 v9, v[9:10], off
	s_waitcnt vmcnt(0)
	v_lshlrev_b32_e32 v9, 16, v9
	s_delay_alu instid0(VALU_DEP_1)
	v_add_f32_e32 v4, v4, v9
	s_branch .LBB97_2
.LBB97_11:
	s_or_b32 exec_lo, exec_lo, s18
	v_lshl_add_u32 v1, s14, 2, v0
	s_mov_b32 s18, exec_lo
	s_delay_alu instid0(VALU_DEP_1)
	v_cmpx_gt_i32_e64 s12, v1
	s_cbranch_execz .LBB97_16
; %bb.12:
	s_load_b32 s3, s[0:1], 0x44
	s_lshl_b64 s[16:17], s[16:17], 2
	v_lshlrev_b32_e32 v2, 2, v0
	s_add_u32 s4, s4, s16
	s_addc_u32 s5, s5, s17
	s_cmp_lg_u64 s[6:7], 0
	s_mov_b32 s19, 0
	s_cselect_b32 s16, -1, 0
	s_lshl_b32 s17, s14, 4
	s_delay_alu instid0(SALU_CYCLE_1) | instskip(SKIP_2) | instid1(SALU_CYCLE_1)
	v_add3_u32 v3, 0, s17, v2
	s_waitcnt lgkmcnt(0)
	s_and_b32 s17, s3, 0xffff
	s_lshl_b32 s20, s17, 2
	s_branch .LBB97_14
.LBB97_13:                              ;   in Loop: Header=BB97_14 Depth=1
	v_add_nc_u32_e32 v1, s17, v1
	v_add_nc_u32_e32 v3, s20, v3
	s_delay_alu instid0(VALU_DEP_2) | instskip(SKIP_1) | instid1(SALU_CYCLE_1)
	v_cmp_le_i32_e32 vcc_lo, s12, v1
	s_or_b32 s19, vcc_lo, s19
	s_and_not1_b32 exec_lo, exec_lo, s19
	s_cbranch_execz .LBB97_16
.LBB97_14:                              ; =>This Inner Loop Header: Depth=1
	v_ashrrev_i32_e32 v2, 31, v1
	s_delay_alu instid0(VALU_DEP_1) | instskip(NEXT) | instid1(VALU_DEP_1)
	v_lshlrev_b64 v[4:5], 2, v[1:2]
	v_add_co_u32 v4, vcc_lo, s4, v4
	s_delay_alu instid0(VALU_DEP_2) | instskip(SKIP_3) | instid1(VALU_DEP_1)
	v_add_co_ci_u32_e32 v5, vcc_lo, s5, v5, vcc_lo
	global_load_b32 v4, v[4:5], off
	s_waitcnt vmcnt(0)
	v_mul_f32_e32 v5, 0x3fb8aa3b, v4
	v_cmp_gt_f32_e32 vcc_lo, 0xc2fc0000, v5
	v_cndmask_b32_e64 v5, 0, 0x42800000, vcc_lo
	v_cndmask_b32_e64 v6, 1.0, 0x1f800000, vcc_lo
	s_delay_alu instid0(VALU_DEP_2) | instskip(NEXT) | instid1(VALU_DEP_1)
	v_fmac_f32_e32 v5, 0x3fb8aa3b, v4
	v_exp_f32_e32 v5, v5
	s_waitcnt_depctr 0xfff
	v_fma_f32 v5, v5, v6, 1.0
	s_delay_alu instid0(VALU_DEP_1) | instskip(SKIP_1) | instid1(VALU_DEP_1)
	v_cmp_gt_f32_e32 vcc_lo, 0x800000, v5
	v_cndmask_b32_e64 v6, 1.0, 0x4f800000, vcc_lo
	v_mul_f32_e32 v5, v5, v6
	v_cndmask_b32_e64 v6, 0, 0x42000000, vcc_lo
	v_cmp_lt_f32_e32 vcc_lo, 0x41a00000, v4
	s_delay_alu instid0(VALU_DEP_3) | instskip(SKIP_2) | instid1(VALU_DEP_1)
	v_log_f32_e32 v5, v5
	s_waitcnt_depctr 0xfff
	v_sub_f32_e32 v5, v5, v6
	v_mul_f32_e32 v5, 0x3f317218, v5
	s_delay_alu instid0(VALU_DEP_1) | instskip(NEXT) | instid1(VALU_DEP_1)
	v_cndmask_b32_e32 v4, v5, v4, vcc_lo
	v_mul_f32_e32 v5, 0x4f800000, v4
	v_cmp_gt_f32_e32 vcc_lo, 0xf800000, v4
	s_delay_alu instid0(VALU_DEP_2) | instskip(NEXT) | instid1(VALU_DEP_1)
	v_cndmask_b32_e32 v4, v4, v5, vcc_lo
	v_sqrt_f32_e32 v5, v4
	s_waitcnt_depctr 0xfff
	v_add_nc_u32_e32 v6, -1, v5
	v_add_nc_u32_e32 v7, 1, v5
	s_delay_alu instid0(VALU_DEP_2) | instskip(NEXT) | instid1(VALU_DEP_2)
	v_fma_f32 v8, -v6, v5, v4
	v_fma_f32 v9, -v7, v5, v4
	s_delay_alu instid0(VALU_DEP_2) | instskip(NEXT) | instid1(VALU_DEP_1)
	v_cmp_ge_f32_e64 s3, 0, v8
	v_cndmask_b32_e64 v5, v5, v6, s3
	s_delay_alu instid0(VALU_DEP_3) | instskip(NEXT) | instid1(VALU_DEP_1)
	v_cmp_lt_f32_e64 s3, 0, v9
	v_cndmask_b32_e64 v5, v5, v7, s3
	s_delay_alu instid0(VALU_DEP_1) | instskip(NEXT) | instid1(VALU_DEP_1)
	v_mul_f32_e32 v6, 0x37800000, v5
	v_cndmask_b32_e32 v5, v5, v6, vcc_lo
	v_cmp_class_f32_e64 vcc_lo, v4, 0x260
	s_delay_alu instid0(VALU_DEP_2)
	v_cndmask_b32_e32 v4, v5, v4, vcc_lo
	s_and_not1_b32 vcc_lo, exec_lo, s16
	ds_store_b32 v3, v4
	s_cbranch_vccnz .LBB97_13
; %bb.15:                               ;   in Loop: Header=BB97_14 Depth=1
	v_lshlrev_b64 v[5:6], 1, v[1:2]
	s_delay_alu instid0(VALU_DEP_1) | instskip(NEXT) | instid1(VALU_DEP_2)
	v_add_co_u32 v5, vcc_lo, s6, v5
	v_add_co_ci_u32_e32 v6, vcc_lo, s7, v6, vcc_lo
	global_load_u16 v2, v[5:6], off
	s_waitcnt vmcnt(0)
	v_lshlrev_b32_e32 v2, 16, v2
	s_delay_alu instid0(VALU_DEP_1)
	v_add_f32_e32 v2, v4, v2
	ds_store_b32 v3, v2
	s_branch .LBB97_13
.LBB97_16:
	s_or_b32 exec_lo, exec_lo, s18
	v_mov_b32_e32 v2, 0
	s_cmp_lt_i32 s13, 1
	s_waitcnt lgkmcnt(0)
	s_barrier
	buffer_gl0_inv
	s_cbranch_scc1 .LBB97_25
; %bb.17:
	s_add_u32 s4, s0, 56
	s_addc_u32 s5, s1, 0
	v_lshl_add_u32 v4, v0, 4, 0
	v_dual_mov_b32 v2, 0 :: v_dual_mov_b32 v5, 0
	v_dual_mov_b32 v6, 0xff800000 :: v_dual_mov_b32 v1, 0
	v_mov_b32_e32 v3, 0
	s_cmp_lg_u64 s[6:7], 0
	s_mov_b32 s18, 0
	s_cselect_b32 s12, -1, 0
	s_mov_b32 s19, 0x76543210
	s_branch .LBB97_19
.LBB97_18:                              ;   in Loop: Header=BB97_19 Depth=1
	v_cmp_eq_u32_e32 vcc_lo, s18, v0
	s_delay_alu instid0(VALU_DEP_2) | instskip(NEXT) | instid1(VALU_DEP_2)
	s_lshl_b32 s3, s16, 2
	v_add_f32_e32 v3, v3, v9
	s_add_i32 s3, s3, 0
	s_add_i32 s18, s18, 1
	v_cndmask_b32_e64 v1, v1, s16, vcc_lo
	v_dual_mov_b32 v7, s3 :: v_dual_cndmask_b32 v2, v2, v9
	s_cmp_eq_u32 s18, s13
	ds_store_b32 v7, v6
	s_cbranch_scc1 .LBB97_26
.LBB97_19:                              ; =>This Loop Header: Depth=1
                                        ;     Child Loop BB97_21 Depth 2
	v_dual_mov_b32 v7, s18 :: v_dual_mov_b32 v8, 0xff800000
	s_and_saveexec_b32 s16, s2
	s_cbranch_execz .LBB97_23
; %bb.20:                               ;   in Loop: Header=BB97_19 Depth=1
	s_load_b32 s3, s[4:5], 0xc
	v_dual_mov_b32 v7, s18 :: v_dual_mov_b32 v8, 0xff800000
	v_dual_mov_b32 v9, v4 :: v_dual_mov_b32 v10, v11
	v_mov_b32_e32 v12, v0
	s_mov_b32 s21, 0
	s_waitcnt lgkmcnt(0)
	s_and_b32 s17, s3, 0xffff
	s_delay_alu instid0(SALU_CYCLE_1)
	s_lshl_b32 s20, s17, 2
	s_lshl_b32 s22, s17, 4
	.p2align	6
.LBB97_21:                              ;   Parent Loop BB97_19 Depth=1
                                        ; =>  This Inner Loop Header: Depth=2
	ds_load_b128 v[13:16], v9
	v_add_nc_u32_e32 v9, s22, v9
	s_waitcnt lgkmcnt(0)
	v_cmp_gt_f32_e32 vcc_lo, v13, v8
	v_dual_cndmask_b32 v8, v8, v13 :: v_dual_add_nc_u32 v13, 1, v10
	v_cndmask_b32_e32 v7, v7, v10, vcc_lo
	s_delay_alu instid0(VALU_DEP_2) | instskip(NEXT) | instid1(VALU_DEP_2)
	v_cmp_gt_f32_e32 vcc_lo, v14, v8
	v_dual_cndmask_b32 v8, v8, v14 :: v_dual_cndmask_b32 v7, v7, v13
	s_delay_alu instid0(VALU_DEP_1) | instskip(SKIP_4) | instid1(VALU_DEP_3)
	v_cmp_gt_f32_e32 vcc_lo, v15, v8
	v_dual_cndmask_b32 v8, v8, v15 :: v_dual_add_nc_u32 v13, 3, v10
	v_add_nc_u32_e32 v14, 2, v10
	v_add_nc_u32_e32 v12, s17, v12
	;; [unrolled: 1-line block ×3, first 2 shown]
	v_cndmask_b32_e32 v7, v7, v14, vcc_lo
	v_cmp_gt_f32_e32 vcc_lo, v16, v8
	s_delay_alu instid0(VALU_DEP_4) | instskip(NEXT) | instid1(VALU_DEP_3)
	v_cmp_le_i32_e64 s3, s14, v12
	v_dual_cndmask_b32 v8, v8, v16 :: v_dual_cndmask_b32 v7, v7, v13
	s_delay_alu instid0(VALU_DEP_2) | instskip(NEXT) | instid1(SALU_CYCLE_1)
	s_or_b32 s21, s3, s21
	s_and_not1_b32 exec_lo, exec_lo, s21
	s_cbranch_execnz .LBB97_21
; %bb.22:                               ;   in Loop: Header=BB97_19 Depth=1
	s_or_b32 exec_lo, exec_lo, s21
.LBB97_23:                              ;   in Loop: Header=BB97_19 Depth=1
	s_delay_alu instid0(SALU_CYCLE_1)
	s_or_b32 exec_lo, exec_lo, s16
	;;#ASMSTART
	v_max_f32 v9, v8, v8 quad_perm:[1,0,3,2] row_mask:0xf bank_mask:0xf bound_ctrl:1
	;;#ASMEND
	;;#ASMSTART
	v_max_f32 v10, v9, v9 quad_perm:[2,3,0,1] row_mask:0xf bank_mask:0xf bound_ctrl:1
	;;#ASMEND
	;;#ASMSTART
	v_max_f32 v9, v10, v10 row_half_mirror row_mask:0xf bank_mask:0xf bound_ctrl:1
	;;#ASMEND
	;;#ASMSTART
	v_max_f32 v10, v9, v9 row_mirror row_mask:0xf bank_mask:0xf bound_ctrl:1
	;;#ASMEND
	v_permlanex16_b32 v9, v10, s19, 0xfedcba98 op_sel:[1,1]
	s_delay_alu instid0(VALU_DEP_1) | instskip(NEXT) | instid1(VALU_DEP_1)
	v_dual_max_f32 v10, v10, v10 :: v_dual_max_f32 v9, v9, v9
	v_max_f32_e32 v9, v10, v9
	s_delay_alu instid0(VALU_DEP_1)
	v_cmp_eq_f32_e32 vcc_lo, v8, v9
	s_ctz_i32_b32 s3, vcc_lo
	s_cmp_lg_u32 vcc_lo, 0
	s_cselect_b32 s3, s3, 0
	s_and_b32 vcc_lo, exec_lo, s12
	v_readlane_b32 s16, v7, s3
	s_cbranch_vccz .LBB97_18
; %bb.24:                               ;   in Loop: Header=BB97_19 Depth=1
	s_delay_alu instid0(VALU_DEP_1) | instskip(NEXT) | instid1(SALU_CYCLE_1)
	s_ashr_i32 s17, s16, 31
	s_lshl_b64 s[20:21], s[16:17], 1
	s_delay_alu instid0(SALU_CYCLE_1) | instskip(SKIP_4) | instid1(VALU_DEP_1)
	s_add_u32 s20, s6, s20
	s_addc_u32 s21, s7, s21
	global_load_u16 v7, v5, s[20:21]
	s_waitcnt vmcnt(0)
	v_lshlrev_b32_e32 v7, 16, v7
	v_sub_f32_e32 v9, v9, v7
	s_branch .LBB97_18
.LBB97_25:
	v_mov_b32_e32 v1, 0
	v_mov_b32_e32 v3, 0
.LBB97_26:
	s_mov_b32 s2, exec_lo
	v_cmpx_gt_i32_e64 s13, v0
	s_cbranch_execz .LBB97_29
; %bb.27:
	s_clause 0x1
	s_load_b32 s2, s[0:1], 0x34
	s_load_b32 s3, s[0:1], 0x44
	v_max_f32_e32 v3, v3, v3
	s_load_b64 s[0:1], s[0:1], 0x20
	s_ashr_i32 s4, s15, 31
	s_delay_alu instid0(VALU_DEP_1) | instskip(SKIP_1) | instid1(VALU_DEP_1)
	v_max_f32_e32 v3, 0x1e3ce508, v3
	s_waitcnt lgkmcnt(0)
	v_div_scale_f32 v4, null, v3, v3, s2
	v_div_scale_f32 v7, vcc_lo, s2, v3, s2
	s_mul_i32 s1, s15, s1
	s_delay_alu instid0(VALU_DEP_2) | instskip(SKIP_4) | instid1(VALU_DEP_1)
	v_rcp_f32_e32 v5, v4
	s_mul_i32 s4, s4, s0
	s_and_b32 s3, s3, 0xffff
	s_waitcnt_depctr 0xfff
	v_fma_f32 v6, -v4, v5, 1.0
	v_fmac_f32_e32 v5, v6, v5
	s_delay_alu instid0(VALU_DEP_1) | instskip(NEXT) | instid1(VALU_DEP_1)
	v_mul_f32_e32 v6, v7, v5
	v_fma_f32 v8, -v4, v6, v7
	s_delay_alu instid0(VALU_DEP_1) | instskip(NEXT) | instid1(VALU_DEP_1)
	v_fmac_f32_e32 v6, v8, v5
	v_fma_f32 v4, -v4, v6, v7
	s_delay_alu instid0(VALU_DEP_1) | instskip(NEXT) | instid1(VALU_DEP_1)
	v_div_fmas_f32 v4, v4, v5, v6
	v_div_fixup_f32 v3, v4, v3, s2
	s_mul_hi_u32 s2, s15, s0
	s_delay_alu instid0(SALU_CYCLE_1) | instskip(SKIP_1) | instid1(VALU_DEP_1)
	s_add_i32 s1, s2, s1
	s_mul_i32 s2, s15, s0
	v_mul_f32_e32 v2, v2, v3
	s_add_i32 s1, s1, s4
	s_mov_b32 s4, 0
	.p2align	6
.LBB97_28:                              ; =>This Inner Loop Header: Depth=1
	v_ashrrev_i32_e32 v4, 31, v0
	v_add_co_u32 v3, vcc_lo, s2, v0
	v_add_nc_u32_e32 v0, s3, v0
	s_delay_alu instid0(VALU_DEP_3) | instskip(NEXT) | instid1(VALU_DEP_2)
	v_add_co_ci_u32_e32 v4, vcc_lo, s1, v4, vcc_lo
	v_cmp_le_i32_e32 vcc_lo, s13, v0
	s_delay_alu instid0(VALU_DEP_2) | instskip(SKIP_1) | instid1(VALU_DEP_1)
	v_lshlrev_b64 v[3:4], 2, v[3:4]
	s_or_b32 s4, vcc_lo, s4
	v_add_co_u32 v5, s0, s8, v3
	s_delay_alu instid0(VALU_DEP_1) | instskip(SKIP_1) | instid1(VALU_DEP_1)
	v_add_co_ci_u32_e64 v6, s0, s9, v4, s0
	v_add_co_u32 v3, s0, s10, v3
	v_add_co_ci_u32_e64 v4, s0, s11, v4, s0
	global_store_b32 v[5:6], v2, off
	global_store_b32 v[3:4], v1, off
	s_and_not1_b32 exec_lo, exec_lo, s4
	s_cbranch_execnz .LBB97_28
.LBB97_29:
	s_nop 0
	s_sendmsg sendmsg(MSG_DEALLOC_VGPRS)
	s_endpgm
	.section	.rodata,"a",@progbits
	.p2align	6, 0x0
	.amdhsa_kernel _ZN5aiter20topk_softplus_kernelIf12hip_bfloat16Dv4_fLb1ELi0EEEvPKT_PKT0_PfPimiiif
		.amdhsa_group_segment_fixed_size 0
		.amdhsa_private_segment_fixed_size 0
		.amdhsa_kernarg_size 312
		.amdhsa_user_sgpr_count 15
		.amdhsa_user_sgpr_dispatch_ptr 0
		.amdhsa_user_sgpr_queue_ptr 0
		.amdhsa_user_sgpr_kernarg_segment_ptr 1
		.amdhsa_user_sgpr_dispatch_id 0
		.amdhsa_user_sgpr_private_segment_size 0
		.amdhsa_wavefront_size32 1
		.amdhsa_uses_dynamic_stack 0
		.amdhsa_enable_private_segment 0
		.amdhsa_system_sgpr_workgroup_id_x 1
		.amdhsa_system_sgpr_workgroup_id_y 0
		.amdhsa_system_sgpr_workgroup_id_z 0
		.amdhsa_system_sgpr_workgroup_info 0
		.amdhsa_system_vgpr_workitem_id 0
		.amdhsa_next_free_vgpr 19
		.amdhsa_next_free_sgpr 30
		.amdhsa_reserve_vcc 1
		.amdhsa_float_round_mode_32 0
		.amdhsa_float_round_mode_16_64 0
		.amdhsa_float_denorm_mode_32 3
		.amdhsa_float_denorm_mode_16_64 3
		.amdhsa_dx10_clamp 1
		.amdhsa_ieee_mode 1
		.amdhsa_fp16_overflow 0
		.amdhsa_workgroup_processor_mode 1
		.amdhsa_memory_ordered 1
		.amdhsa_forward_progress 0
		.amdhsa_shared_vgpr_count 0
		.amdhsa_exception_fp_ieee_invalid_op 0
		.amdhsa_exception_fp_denorm_src 0
		.amdhsa_exception_fp_ieee_div_zero 0
		.amdhsa_exception_fp_ieee_overflow 0
		.amdhsa_exception_fp_ieee_underflow 0
		.amdhsa_exception_fp_ieee_inexact 0
		.amdhsa_exception_int_div_zero 0
	.end_amdhsa_kernel
	.section	.text._ZN5aiter20topk_softplus_kernelIf12hip_bfloat16Dv4_fLb1ELi0EEEvPKT_PKT0_PfPimiiif,"axG",@progbits,_ZN5aiter20topk_softplus_kernelIf12hip_bfloat16Dv4_fLb1ELi0EEEvPKT_PKT0_PfPimiiif,comdat
.Lfunc_end97:
	.size	_ZN5aiter20topk_softplus_kernelIf12hip_bfloat16Dv4_fLb1ELi0EEEvPKT_PKT0_PfPimiiif, .Lfunc_end97-_ZN5aiter20topk_softplus_kernelIf12hip_bfloat16Dv4_fLb1ELi0EEEvPKT_PKT0_PfPimiiif
                                        ; -- End function
	.section	.AMDGPU.csdata,"",@progbits
; Kernel info:
; codeLenInByte = 3016
; NumSgprs: 32
; NumVgprs: 19
; ScratchSize: 0
; MemoryBound: 0
; FloatMode: 240
; IeeeMode: 1
; LDSByteSize: 0 bytes/workgroup (compile time only)
; SGPRBlocks: 3
; VGPRBlocks: 2
; NumSGPRsForWavesPerEU: 32
; NumVGPRsForWavesPerEU: 19
; Occupancy: 16
; WaveLimiterHint : 0
; COMPUTE_PGM_RSRC2:SCRATCH_EN: 0
; COMPUTE_PGM_RSRC2:USER_SGPR: 15
; COMPUTE_PGM_RSRC2:TRAP_HANDLER: 0
; COMPUTE_PGM_RSRC2:TGID_X_EN: 1
; COMPUTE_PGM_RSRC2:TGID_Y_EN: 0
; COMPUTE_PGM_RSRC2:TGID_Z_EN: 0
; COMPUTE_PGM_RSRC2:TIDIG_COMP_CNT: 0
	.section	.text._ZN5aiter20topk_softplus_kernelIf12hip_bfloat16Dv4_fLb0ELi0EEEvPKT_PKT0_PfPimiiif,"axG",@progbits,_ZN5aiter20topk_softplus_kernelIf12hip_bfloat16Dv4_fLb0ELi0EEEvPKT_PKT0_PfPimiiif,comdat
	.protected	_ZN5aiter20topk_softplus_kernelIf12hip_bfloat16Dv4_fLb0ELi0EEEvPKT_PKT0_PfPimiiif ; -- Begin function _ZN5aiter20topk_softplus_kernelIf12hip_bfloat16Dv4_fLb0ELi0EEEvPKT_PKT0_PfPimiiif
	.globl	_ZN5aiter20topk_softplus_kernelIf12hip_bfloat16Dv4_fLb0ELi0EEEvPKT_PKT0_PfPimiiif
	.p2align	8
	.type	_ZN5aiter20topk_softplus_kernelIf12hip_bfloat16Dv4_fLb0ELi0EEEvPKT_PKT0_PfPimiiif,@function
_ZN5aiter20topk_softplus_kernelIf12hip_bfloat16Dv4_fLb0ELi0EEEvPKT_PKT0_PfPimiiif: ; @_ZN5aiter20topk_softplus_kernelIf12hip_bfloat16Dv4_fLb0ELi0EEEvPKT_PKT0_PfPimiiif
; %bb.0:
	s_clause 0x1
	s_load_b64 s[12:13], s[0:1], 0x28
	s_load_b256 s[4:11], s[0:1], 0x0
	v_lshlrev_b32_e32 v11, 2, v0
	s_waitcnt lgkmcnt(0)
	s_ashr_i32 s2, s12, 31
	s_mul_i32 s16, s15, s12
	s_lshr_b32 s2, s2, 30
	s_ashr_i32 s17, s16, 31
	s_add_i32 s2, s12, s2
	s_delay_alu instid0(SALU_CYCLE_1) | instskip(NEXT) | instid1(SALU_CYCLE_1)
	s_ashr_i32 s14, s2, 2
	v_cmp_gt_i32_e64 s2, s14, v0
	s_delay_alu instid0(VALU_DEP_1)
	s_and_saveexec_b32 s18, s2
	s_cbranch_execz .LBB98_11
; %bb.1:
	s_load_b32 s3, s[0:1], 0x44
	s_cmp_lg_u64 s[6:7], 0
	v_dual_mov_b32 v6, 0 :: v_dual_lshlrev_b32 v1, 4, v0
	s_cselect_b32 s19, -1, 0
	v_lshlrev_b32_e32 v5, 2, v0
	s_delay_alu instid0(VALU_DEP_2)
	v_dual_mov_b32 v13, v0 :: v_dual_add_nc_u32 v12, 0, v1
	s_waitcnt lgkmcnt(0)
	s_and_b32 s20, s3, 0xffff
	s_add_u32 s21, s6, 2
	s_addc_u32 s22, s7, 0
	s_add_u32 s23, s6, 4
	s_addc_u32 s24, s7, 0
	;; [unrolled: 2-line block ×3, first 2 shown]
	s_lshl_b64 s[28:29], s[16:17], 2
	s_delay_alu instid0(SALU_CYCLE_1) | instskip(SKIP_2) | instid1(VALU_DEP_1)
	s_add_u32 s3, s4, s28
	s_addc_u32 s27, s5, s29
	v_add_co_u32 v7, s3, s3, v1
	v_add_co_ci_u32_e64 v8, null, s27, 0, s3
	s_mov_b32 s27, 0
	s_lshl_b32 s28, s20, 4
	s_lshl_b32 s29, s20, 2
	s_branch .LBB98_3
.LBB98_2:                               ;   in Loop: Header=BB98_3 Depth=1
	v_add_nc_u32_e32 v13, s20, v13
	v_add_co_u32 v7, s3, v7, s28
	ds_store_b128 v12, v[1:4]
	v_add_co_ci_u32_e64 v8, s3, 0, v8, s3
	v_cmp_le_i32_e32 vcc_lo, s14, v13
	v_add_nc_u32_e32 v5, s29, v5
	v_add_nc_u32_e32 v12, s28, v12
	s_or_b32 s27, vcc_lo, s27
	s_delay_alu instid0(SALU_CYCLE_1)
	s_and_not1_b32 exec_lo, exec_lo, s27
	s_cbranch_execz .LBB98_11
.LBB98_3:                               ; =>This Inner Loop Header: Depth=1
	global_load_b128 v[1:4], v[7:8], off
	s_waitcnt vmcnt(0)
	v_mul_f32_e32 v9, 0x3fb8aa3b, v1
	s_delay_alu instid0(VALU_DEP_1) | instskip(SKIP_2) | instid1(VALU_DEP_2)
	v_cmp_gt_f32_e32 vcc_lo, 0xc2fc0000, v9
	v_cndmask_b32_e64 v10, 0, 0x42800000, vcc_lo
	v_cndmask_b32_e64 v9, 1.0, 0x1f800000, vcc_lo
	v_fmac_f32_e32 v10, 0x3fb8aa3b, v1
	s_delay_alu instid0(VALU_DEP_1) | instskip(SKIP_2) | instid1(VALU_DEP_1)
	v_exp_f32_e32 v10, v10
	s_waitcnt_depctr 0xfff
	v_fma_f32 v9, v10, v9, 1.0
	v_cmp_gt_f32_e32 vcc_lo, 0x800000, v9
	v_cndmask_b32_e64 v10, 1.0, 0x4f800000, vcc_lo
	s_delay_alu instid0(VALU_DEP_1) | instskip(SKIP_2) | instid1(VALU_DEP_3)
	v_mul_f32_e32 v9, v9, v10
	v_cndmask_b32_e64 v10, 0, 0x42000000, vcc_lo
	v_cmp_lt_f32_e32 vcc_lo, 0x41a00000, v1
	v_log_f32_e32 v9, v9
	s_waitcnt_depctr 0xfff
	v_sub_f32_e32 v9, v9, v10
	s_delay_alu instid0(VALU_DEP_1) | instskip(NEXT) | instid1(VALU_DEP_1)
	v_mul_f32_e32 v9, 0x3f317218, v9
	v_cndmask_b32_e32 v1, v9, v1, vcc_lo
	s_delay_alu instid0(VALU_DEP_1) | instskip(SKIP_1) | instid1(VALU_DEP_2)
	v_mul_f32_e32 v9, 0x4f800000, v1
	v_cmp_gt_f32_e32 vcc_lo, 0xf800000, v1
	v_cndmask_b32_e32 v1, v1, v9, vcc_lo
	s_delay_alu instid0(VALU_DEP_1) | instskip(SKIP_3) | instid1(VALU_DEP_2)
	v_sqrt_f32_e32 v9, v1
	s_waitcnt_depctr 0xfff
	v_add_nc_u32_e32 v10, -1, v9
	v_add_nc_u32_e32 v14, 1, v9
	v_fma_f32 v15, -v10, v9, v1
	s_delay_alu instid0(VALU_DEP_2) | instskip(NEXT) | instid1(VALU_DEP_2)
	v_fma_f32 v16, -v14, v9, v1
	v_cmp_ge_f32_e64 s3, 0, v15
	s_delay_alu instid0(VALU_DEP_1) | instskip(NEXT) | instid1(VALU_DEP_3)
	v_cndmask_b32_e64 v9, v9, v10, s3
	v_cmp_lt_f32_e64 s3, 0, v16
	s_delay_alu instid0(VALU_DEP_1) | instskip(NEXT) | instid1(VALU_DEP_1)
	v_cndmask_b32_e64 v9, v9, v14, s3
	v_mul_f32_e32 v10, 0x37800000, v9
	s_delay_alu instid0(VALU_DEP_1) | instskip(SKIP_2) | instid1(VALU_DEP_3)
	v_cndmask_b32_e32 v14, v9, v10, vcc_lo
	v_cmp_class_f32_e64 vcc_lo, v1, 0x260
	v_lshlrev_b64 v[9:10], 1, v[5:6]
	v_cndmask_b32_e32 v1, v14, v1, vcc_lo
	s_and_not1_b32 vcc_lo, exec_lo, s19
	s_cbranch_vccnz .LBB98_5
; %bb.4:                                ;   in Loop: Header=BB98_3 Depth=1
	s_delay_alu instid0(VALU_DEP_2) | instskip(NEXT) | instid1(VALU_DEP_3)
	v_add_co_u32 v14, vcc_lo, s6, v9
	v_add_co_ci_u32_e32 v15, vcc_lo, s7, v10, vcc_lo
	global_load_u16 v14, v[14:15], off
	s_waitcnt vmcnt(0)
	v_lshlrev_b32_e32 v14, 16, v14
	s_delay_alu instid0(VALU_DEP_1)
	v_add_f32_e32 v1, v1, v14
.LBB98_5:                               ;   in Loop: Header=BB98_3 Depth=1
	v_mul_f32_e32 v14, 0x3fb8aa3b, v2
	s_delay_alu instid0(VALU_DEP_1) | instskip(SKIP_2) | instid1(VALU_DEP_2)
	v_cmp_gt_f32_e32 vcc_lo, 0xc2fc0000, v14
	v_cndmask_b32_e64 v15, 0, 0x42800000, vcc_lo
	v_cndmask_b32_e64 v14, 1.0, 0x1f800000, vcc_lo
	v_fmac_f32_e32 v15, 0x3fb8aa3b, v2
	s_delay_alu instid0(VALU_DEP_1) | instskip(SKIP_2) | instid1(VALU_DEP_1)
	v_exp_f32_e32 v15, v15
	s_waitcnt_depctr 0xfff
	v_fma_f32 v14, v15, v14, 1.0
	v_cmp_gt_f32_e32 vcc_lo, 0x800000, v14
	v_cndmask_b32_e64 v15, 1.0, 0x4f800000, vcc_lo
	s_delay_alu instid0(VALU_DEP_1) | instskip(SKIP_2) | instid1(VALU_DEP_3)
	v_mul_f32_e32 v14, v14, v15
	v_cndmask_b32_e64 v15, 0, 0x42000000, vcc_lo
	v_cmp_lt_f32_e32 vcc_lo, 0x41a00000, v2
	v_log_f32_e32 v14, v14
	s_waitcnt_depctr 0xfff
	v_sub_f32_e32 v14, v14, v15
	s_delay_alu instid0(VALU_DEP_1) | instskip(NEXT) | instid1(VALU_DEP_1)
	v_mul_f32_e32 v14, 0x3f317218, v14
	v_cndmask_b32_e32 v2, v14, v2, vcc_lo
	s_delay_alu instid0(VALU_DEP_1) | instskip(SKIP_1) | instid1(VALU_DEP_2)
	v_mul_f32_e32 v14, 0x4f800000, v2
	v_cmp_gt_f32_e32 vcc_lo, 0xf800000, v2
	v_cndmask_b32_e32 v2, v2, v14, vcc_lo
	s_delay_alu instid0(VALU_DEP_1) | instskip(SKIP_3) | instid1(VALU_DEP_2)
	v_sqrt_f32_e32 v14, v2
	s_waitcnt_depctr 0xfff
	v_add_nc_u32_e32 v15, -1, v14
	v_add_nc_u32_e32 v16, 1, v14
	v_fma_f32 v17, -v15, v14, v2
	s_delay_alu instid0(VALU_DEP_2) | instskip(NEXT) | instid1(VALU_DEP_2)
	v_fma_f32 v18, -v16, v14, v2
	v_cmp_ge_f32_e64 s3, 0, v17
	s_delay_alu instid0(VALU_DEP_1) | instskip(NEXT) | instid1(VALU_DEP_3)
	v_cndmask_b32_e64 v14, v14, v15, s3
	v_cmp_lt_f32_e64 s3, 0, v18
	s_delay_alu instid0(VALU_DEP_1) | instskip(NEXT) | instid1(VALU_DEP_1)
	v_cndmask_b32_e64 v14, v14, v16, s3
	v_mul_f32_e32 v15, 0x37800000, v14
	s_delay_alu instid0(VALU_DEP_1) | instskip(SKIP_1) | instid1(VALU_DEP_2)
	v_cndmask_b32_e32 v14, v14, v15, vcc_lo
	v_cmp_class_f32_e64 vcc_lo, v2, 0x260
	v_cndmask_b32_e32 v2, v14, v2, vcc_lo
	s_and_not1_b32 vcc_lo, exec_lo, s19
	s_cbranch_vccnz .LBB98_7
; %bb.6:                                ;   in Loop: Header=BB98_3 Depth=1
	v_add_co_u32 v14, vcc_lo, s21, v9
	v_add_co_ci_u32_e32 v15, vcc_lo, s22, v10, vcc_lo
	global_load_u16 v14, v[14:15], off
	s_waitcnt vmcnt(0)
	v_lshlrev_b32_e32 v14, 16, v14
	s_delay_alu instid0(VALU_DEP_1)
	v_add_f32_e32 v2, v2, v14
.LBB98_7:                               ;   in Loop: Header=BB98_3 Depth=1
	v_mul_f32_e32 v14, 0x3fb8aa3b, v3
	s_delay_alu instid0(VALU_DEP_1) | instskip(SKIP_2) | instid1(VALU_DEP_2)
	v_cmp_gt_f32_e32 vcc_lo, 0xc2fc0000, v14
	v_cndmask_b32_e64 v15, 0, 0x42800000, vcc_lo
	v_cndmask_b32_e64 v14, 1.0, 0x1f800000, vcc_lo
	v_fmac_f32_e32 v15, 0x3fb8aa3b, v3
	s_delay_alu instid0(VALU_DEP_1) | instskip(SKIP_2) | instid1(VALU_DEP_1)
	v_exp_f32_e32 v15, v15
	s_waitcnt_depctr 0xfff
	v_fma_f32 v14, v15, v14, 1.0
	v_cmp_gt_f32_e32 vcc_lo, 0x800000, v14
	v_cndmask_b32_e64 v15, 1.0, 0x4f800000, vcc_lo
	s_delay_alu instid0(VALU_DEP_1) | instskip(SKIP_2) | instid1(VALU_DEP_3)
	v_mul_f32_e32 v14, v14, v15
	v_cndmask_b32_e64 v15, 0, 0x42000000, vcc_lo
	v_cmp_lt_f32_e32 vcc_lo, 0x41a00000, v3
	v_log_f32_e32 v14, v14
	s_waitcnt_depctr 0xfff
	v_sub_f32_e32 v14, v14, v15
	s_delay_alu instid0(VALU_DEP_1) | instskip(NEXT) | instid1(VALU_DEP_1)
	v_mul_f32_e32 v14, 0x3f317218, v14
	v_cndmask_b32_e32 v3, v14, v3, vcc_lo
	s_delay_alu instid0(VALU_DEP_1) | instskip(SKIP_1) | instid1(VALU_DEP_2)
	v_mul_f32_e32 v14, 0x4f800000, v3
	v_cmp_gt_f32_e32 vcc_lo, 0xf800000, v3
	v_cndmask_b32_e32 v3, v3, v14, vcc_lo
	s_delay_alu instid0(VALU_DEP_1) | instskip(SKIP_3) | instid1(VALU_DEP_2)
	v_sqrt_f32_e32 v14, v3
	s_waitcnt_depctr 0xfff
	v_add_nc_u32_e32 v15, -1, v14
	v_add_nc_u32_e32 v16, 1, v14
	v_fma_f32 v17, -v15, v14, v3
	s_delay_alu instid0(VALU_DEP_2) | instskip(NEXT) | instid1(VALU_DEP_2)
	v_fma_f32 v18, -v16, v14, v3
	v_cmp_ge_f32_e64 s3, 0, v17
	s_delay_alu instid0(VALU_DEP_1) | instskip(NEXT) | instid1(VALU_DEP_3)
	v_cndmask_b32_e64 v14, v14, v15, s3
	v_cmp_lt_f32_e64 s3, 0, v18
	s_delay_alu instid0(VALU_DEP_1) | instskip(NEXT) | instid1(VALU_DEP_1)
	v_cndmask_b32_e64 v14, v14, v16, s3
	v_mul_f32_e32 v15, 0x37800000, v14
	s_delay_alu instid0(VALU_DEP_1) | instskip(SKIP_1) | instid1(VALU_DEP_2)
	v_cndmask_b32_e32 v14, v14, v15, vcc_lo
	v_cmp_class_f32_e64 vcc_lo, v3, 0x260
	v_cndmask_b32_e32 v3, v14, v3, vcc_lo
	s_and_not1_b32 vcc_lo, exec_lo, s19
	s_cbranch_vccnz .LBB98_9
; %bb.8:                                ;   in Loop: Header=BB98_3 Depth=1
	v_add_co_u32 v14, vcc_lo, s23, v9
	v_add_co_ci_u32_e32 v15, vcc_lo, s24, v10, vcc_lo
	global_load_u16 v14, v[14:15], off
	s_waitcnt vmcnt(0)
	v_lshlrev_b32_e32 v14, 16, v14
	s_delay_alu instid0(VALU_DEP_1)
	v_add_f32_e32 v3, v3, v14
.LBB98_9:                               ;   in Loop: Header=BB98_3 Depth=1
	v_mul_f32_e32 v14, 0x3fb8aa3b, v4
	s_delay_alu instid0(VALU_DEP_1) | instskip(SKIP_2) | instid1(VALU_DEP_2)
	v_cmp_gt_f32_e32 vcc_lo, 0xc2fc0000, v14
	v_cndmask_b32_e64 v15, 0, 0x42800000, vcc_lo
	v_cndmask_b32_e64 v14, 1.0, 0x1f800000, vcc_lo
	v_fmac_f32_e32 v15, 0x3fb8aa3b, v4
	s_delay_alu instid0(VALU_DEP_1) | instskip(SKIP_2) | instid1(VALU_DEP_1)
	v_exp_f32_e32 v15, v15
	s_waitcnt_depctr 0xfff
	v_fma_f32 v14, v15, v14, 1.0
	v_cmp_gt_f32_e32 vcc_lo, 0x800000, v14
	v_cndmask_b32_e64 v15, 1.0, 0x4f800000, vcc_lo
	s_delay_alu instid0(VALU_DEP_1) | instskip(SKIP_2) | instid1(VALU_DEP_3)
	v_mul_f32_e32 v14, v14, v15
	v_cndmask_b32_e64 v15, 0, 0x42000000, vcc_lo
	v_cmp_lt_f32_e32 vcc_lo, 0x41a00000, v4
	v_log_f32_e32 v14, v14
	s_waitcnt_depctr 0xfff
	v_sub_f32_e32 v14, v14, v15
	s_delay_alu instid0(VALU_DEP_1) | instskip(NEXT) | instid1(VALU_DEP_1)
	v_mul_f32_e32 v14, 0x3f317218, v14
	v_cndmask_b32_e32 v4, v14, v4, vcc_lo
	s_delay_alu instid0(VALU_DEP_1) | instskip(SKIP_1) | instid1(VALU_DEP_2)
	v_mul_f32_e32 v14, 0x4f800000, v4
	v_cmp_gt_f32_e32 vcc_lo, 0xf800000, v4
	v_cndmask_b32_e32 v4, v4, v14, vcc_lo
	s_delay_alu instid0(VALU_DEP_1) | instskip(SKIP_3) | instid1(VALU_DEP_2)
	v_sqrt_f32_e32 v14, v4
	s_waitcnt_depctr 0xfff
	v_add_nc_u32_e32 v15, -1, v14
	v_add_nc_u32_e32 v16, 1, v14
	v_fma_f32 v17, -v15, v14, v4
	s_delay_alu instid0(VALU_DEP_2) | instskip(NEXT) | instid1(VALU_DEP_2)
	v_fma_f32 v18, -v16, v14, v4
	v_cmp_ge_f32_e64 s3, 0, v17
	s_delay_alu instid0(VALU_DEP_1) | instskip(NEXT) | instid1(VALU_DEP_3)
	v_cndmask_b32_e64 v14, v14, v15, s3
	v_cmp_lt_f32_e64 s3, 0, v18
	s_delay_alu instid0(VALU_DEP_1) | instskip(NEXT) | instid1(VALU_DEP_1)
	v_cndmask_b32_e64 v14, v14, v16, s3
	v_mul_f32_e32 v15, 0x37800000, v14
	s_delay_alu instid0(VALU_DEP_1) | instskip(SKIP_1) | instid1(VALU_DEP_2)
	v_cndmask_b32_e32 v14, v14, v15, vcc_lo
	v_cmp_class_f32_e64 vcc_lo, v4, 0x260
	v_cndmask_b32_e32 v4, v14, v4, vcc_lo
	s_and_not1_b32 vcc_lo, exec_lo, s19
	s_cbranch_vccnz .LBB98_2
; %bb.10:                               ;   in Loop: Header=BB98_3 Depth=1
	v_add_co_u32 v9, vcc_lo, s25, v9
	v_add_co_ci_u32_e32 v10, vcc_lo, s26, v10, vcc_lo
	global_load_u16 v9, v[9:10], off
	s_waitcnt vmcnt(0)
	v_lshlrev_b32_e32 v9, 16, v9
	s_delay_alu instid0(VALU_DEP_1)
	v_add_f32_e32 v4, v4, v9
	s_branch .LBB98_2
.LBB98_11:
	s_or_b32 exec_lo, exec_lo, s18
	v_lshl_add_u32 v1, s14, 2, v0
	s_mov_b32 s18, exec_lo
	s_delay_alu instid0(VALU_DEP_1)
	v_cmpx_gt_i32_e64 s12, v1
	s_cbranch_execz .LBB98_16
; %bb.12:
	s_load_b32 s3, s[0:1], 0x44
	s_lshl_b64 s[16:17], s[16:17], 2
	v_lshlrev_b32_e32 v2, 2, v0
	s_add_u32 s4, s4, s16
	s_addc_u32 s5, s5, s17
	s_cmp_lg_u64 s[6:7], 0
	s_mov_b32 s19, 0
	s_cselect_b32 s16, -1, 0
	s_lshl_b32 s17, s14, 4
	s_delay_alu instid0(SALU_CYCLE_1) | instskip(SKIP_2) | instid1(SALU_CYCLE_1)
	v_add3_u32 v3, 0, s17, v2
	s_waitcnt lgkmcnt(0)
	s_and_b32 s17, s3, 0xffff
	s_lshl_b32 s20, s17, 2
	s_branch .LBB98_14
.LBB98_13:                              ;   in Loop: Header=BB98_14 Depth=1
	v_add_nc_u32_e32 v1, s17, v1
	v_add_nc_u32_e32 v3, s20, v3
	s_delay_alu instid0(VALU_DEP_2) | instskip(SKIP_1) | instid1(SALU_CYCLE_1)
	v_cmp_le_i32_e32 vcc_lo, s12, v1
	s_or_b32 s19, vcc_lo, s19
	s_and_not1_b32 exec_lo, exec_lo, s19
	s_cbranch_execz .LBB98_16
.LBB98_14:                              ; =>This Inner Loop Header: Depth=1
	v_ashrrev_i32_e32 v2, 31, v1
	s_delay_alu instid0(VALU_DEP_1) | instskip(NEXT) | instid1(VALU_DEP_1)
	v_lshlrev_b64 v[4:5], 2, v[1:2]
	v_add_co_u32 v4, vcc_lo, s4, v4
	s_delay_alu instid0(VALU_DEP_2) | instskip(SKIP_3) | instid1(VALU_DEP_1)
	v_add_co_ci_u32_e32 v5, vcc_lo, s5, v5, vcc_lo
	global_load_b32 v4, v[4:5], off
	s_waitcnt vmcnt(0)
	v_mul_f32_e32 v5, 0x3fb8aa3b, v4
	v_cmp_gt_f32_e32 vcc_lo, 0xc2fc0000, v5
	v_cndmask_b32_e64 v5, 0, 0x42800000, vcc_lo
	v_cndmask_b32_e64 v6, 1.0, 0x1f800000, vcc_lo
	s_delay_alu instid0(VALU_DEP_2) | instskip(NEXT) | instid1(VALU_DEP_1)
	v_fmac_f32_e32 v5, 0x3fb8aa3b, v4
	v_exp_f32_e32 v5, v5
	s_waitcnt_depctr 0xfff
	v_fma_f32 v5, v5, v6, 1.0
	s_delay_alu instid0(VALU_DEP_1) | instskip(SKIP_1) | instid1(VALU_DEP_1)
	v_cmp_gt_f32_e32 vcc_lo, 0x800000, v5
	v_cndmask_b32_e64 v6, 1.0, 0x4f800000, vcc_lo
	v_mul_f32_e32 v5, v5, v6
	v_cndmask_b32_e64 v6, 0, 0x42000000, vcc_lo
	v_cmp_lt_f32_e32 vcc_lo, 0x41a00000, v4
	s_delay_alu instid0(VALU_DEP_3) | instskip(SKIP_2) | instid1(VALU_DEP_1)
	v_log_f32_e32 v5, v5
	s_waitcnt_depctr 0xfff
	v_sub_f32_e32 v5, v5, v6
	v_mul_f32_e32 v5, 0x3f317218, v5
	s_delay_alu instid0(VALU_DEP_1) | instskip(NEXT) | instid1(VALU_DEP_1)
	v_cndmask_b32_e32 v4, v5, v4, vcc_lo
	v_mul_f32_e32 v5, 0x4f800000, v4
	v_cmp_gt_f32_e32 vcc_lo, 0xf800000, v4
	s_delay_alu instid0(VALU_DEP_2) | instskip(NEXT) | instid1(VALU_DEP_1)
	v_cndmask_b32_e32 v4, v4, v5, vcc_lo
	v_sqrt_f32_e32 v5, v4
	s_waitcnt_depctr 0xfff
	v_add_nc_u32_e32 v6, -1, v5
	v_add_nc_u32_e32 v7, 1, v5
	s_delay_alu instid0(VALU_DEP_2) | instskip(NEXT) | instid1(VALU_DEP_2)
	v_fma_f32 v8, -v6, v5, v4
	v_fma_f32 v9, -v7, v5, v4
	s_delay_alu instid0(VALU_DEP_2) | instskip(NEXT) | instid1(VALU_DEP_1)
	v_cmp_ge_f32_e64 s3, 0, v8
	v_cndmask_b32_e64 v5, v5, v6, s3
	s_delay_alu instid0(VALU_DEP_3) | instskip(NEXT) | instid1(VALU_DEP_1)
	v_cmp_lt_f32_e64 s3, 0, v9
	v_cndmask_b32_e64 v5, v5, v7, s3
	s_delay_alu instid0(VALU_DEP_1) | instskip(NEXT) | instid1(VALU_DEP_1)
	v_mul_f32_e32 v6, 0x37800000, v5
	v_cndmask_b32_e32 v5, v5, v6, vcc_lo
	v_cmp_class_f32_e64 vcc_lo, v4, 0x260
	s_delay_alu instid0(VALU_DEP_2)
	v_cndmask_b32_e32 v4, v5, v4, vcc_lo
	s_and_not1_b32 vcc_lo, exec_lo, s16
	ds_store_b32 v3, v4
	s_cbranch_vccnz .LBB98_13
; %bb.15:                               ;   in Loop: Header=BB98_14 Depth=1
	v_lshlrev_b64 v[5:6], 1, v[1:2]
	s_delay_alu instid0(VALU_DEP_1) | instskip(NEXT) | instid1(VALU_DEP_2)
	v_add_co_u32 v5, vcc_lo, s6, v5
	v_add_co_ci_u32_e32 v6, vcc_lo, s7, v6, vcc_lo
	global_load_u16 v2, v[5:6], off
	s_waitcnt vmcnt(0)
	v_lshlrev_b32_e32 v2, 16, v2
	s_delay_alu instid0(VALU_DEP_1)
	v_add_f32_e32 v2, v4, v2
	ds_store_b32 v3, v2
	s_branch .LBB98_13
.LBB98_16:
	s_or_b32 exec_lo, exec_lo, s18
	s_cmp_lt_i32 s13, 1
	s_waitcnt lgkmcnt(0)
	s_barrier
	buffer_gl0_inv
	s_cbranch_scc1 .LBB98_25
; %bb.17:
	s_add_u32 s4, s0, 56
	s_addc_u32 s5, s1, 0
	v_lshl_add_u32 v3, v0, 4, 0
	v_dual_mov_b32 v4, 0 :: v_dual_mov_b32 v1, 0
	v_dual_mov_b32 v5, 0xff800000 :: v_dual_mov_b32 v2, 0
	s_cmp_lg_u64 s[6:7], 0
	s_mov_b32 s18, 0
	s_cselect_b32 s12, -1, 0
	s_mov_b32 s19, 0x76543210
	s_branch .LBB98_19
.LBB98_18:                              ;   in Loop: Header=BB98_19 Depth=1
	v_cmp_eq_u32_e32 vcc_lo, s18, v0
	s_delay_alu instid0(VALU_DEP_2)
	s_lshl_b32 s3, s16, 2
	s_add_i32 s18, s18, 1
	s_add_i32 s3, s3, 0
	s_cmp_eq_u32 s18, s13
	v_cndmask_b32_e64 v1, v1, s16, vcc_lo
	v_mov_b32_e32 v6, s3
	v_cndmask_b32_e32 v2, v2, v8, vcc_lo
	ds_store_b32 v6, v5
	s_cbranch_scc1 .LBB98_26
.LBB98_19:                              ; =>This Loop Header: Depth=1
                                        ;     Child Loop BB98_21 Depth 2
	v_dual_mov_b32 v6, s18 :: v_dual_mov_b32 v7, 0xff800000
	s_and_saveexec_b32 s16, s2
	s_cbranch_execz .LBB98_23
; %bb.20:                               ;   in Loop: Header=BB98_19 Depth=1
	s_load_b32 s3, s[4:5], 0xc
	v_dual_mov_b32 v6, s18 :: v_dual_mov_b32 v7, 0xff800000
	v_mov_b32_e32 v8, v3
	v_dual_mov_b32 v9, v11 :: v_dual_mov_b32 v10, v0
	s_mov_b32 s21, 0
	s_waitcnt lgkmcnt(0)
	s_and_b32 s17, s3, 0xffff
	s_delay_alu instid0(SALU_CYCLE_1)
	s_lshl_b32 s20, s17, 2
	s_lshl_b32 s22, s17, 4
	.p2align	6
.LBB98_21:                              ;   Parent Loop BB98_19 Depth=1
                                        ; =>  This Inner Loop Header: Depth=2
	ds_load_b128 v[12:15], v8
	v_add_nc_u32_e32 v8, s22, v8
	s_waitcnt lgkmcnt(0)
	v_cmp_gt_f32_e32 vcc_lo, v12, v7
	v_dual_cndmask_b32 v7, v7, v12 :: v_dual_add_nc_u32 v12, 1, v9
	v_cndmask_b32_e32 v6, v6, v9, vcc_lo
	s_delay_alu instid0(VALU_DEP_2) | instskip(NEXT) | instid1(VALU_DEP_2)
	v_cmp_gt_f32_e32 vcc_lo, v13, v7
	v_dual_cndmask_b32 v7, v7, v13 :: v_dual_cndmask_b32 v6, v6, v12
	v_add_nc_u32_e32 v12, 3, v9
	v_add_nc_u32_e32 v13, 2, v9
	;; [unrolled: 1-line block ×3, first 2 shown]
	s_delay_alu instid0(VALU_DEP_4) | instskip(NEXT) | instid1(VALU_DEP_3)
	v_cmp_gt_f32_e32 vcc_lo, v14, v7
	v_dual_cndmask_b32 v7, v7, v14 :: v_dual_cndmask_b32 v6, v6, v13
	s_delay_alu instid0(VALU_DEP_1) | instskip(SKIP_1) | instid1(VALU_DEP_1)
	v_cmp_gt_f32_e32 vcc_lo, v15, v7
	v_dual_cndmask_b32 v7, v7, v15 :: v_dual_add_nc_u32 v10, s17, v10
	v_cmp_le_i32_e64 s3, s14, v10
	s_delay_alu instid0(VALU_DEP_4) | instskip(NEXT) | instid1(VALU_DEP_2)
	v_cndmask_b32_e32 v6, v6, v12, vcc_lo
	s_or_b32 s21, s3, s21
	s_delay_alu instid0(SALU_CYCLE_1)
	s_and_not1_b32 exec_lo, exec_lo, s21
	s_cbranch_execnz .LBB98_21
; %bb.22:                               ;   in Loop: Header=BB98_19 Depth=1
	s_or_b32 exec_lo, exec_lo, s21
.LBB98_23:                              ;   in Loop: Header=BB98_19 Depth=1
	s_delay_alu instid0(SALU_CYCLE_1)
	s_or_b32 exec_lo, exec_lo, s16
	;;#ASMSTART
	v_max_f32 v8, v7, v7 quad_perm:[1,0,3,2] row_mask:0xf bank_mask:0xf bound_ctrl:1
	;;#ASMEND
	;;#ASMSTART
	v_max_f32 v9, v8, v8 quad_perm:[2,3,0,1] row_mask:0xf bank_mask:0xf bound_ctrl:1
	;;#ASMEND
	;;#ASMSTART
	v_max_f32 v8, v9, v9 row_half_mirror row_mask:0xf bank_mask:0xf bound_ctrl:1
	;;#ASMEND
	;;#ASMSTART
	v_max_f32 v9, v8, v8 row_mirror row_mask:0xf bank_mask:0xf bound_ctrl:1
	;;#ASMEND
	v_permlanex16_b32 v8, v9, s19, 0xfedcba98 op_sel:[1,1]
	s_delay_alu instid0(VALU_DEP_1) | instskip(NEXT) | instid1(VALU_DEP_1)
	v_dual_max_f32 v9, v9, v9 :: v_dual_max_f32 v8, v8, v8
	v_max_f32_e32 v8, v9, v8
	s_delay_alu instid0(VALU_DEP_1)
	v_cmp_eq_f32_e32 vcc_lo, v7, v8
	s_ctz_i32_b32 s3, vcc_lo
	s_cmp_lg_u32 vcc_lo, 0
	s_cselect_b32 s3, s3, 0
	s_and_b32 vcc_lo, exec_lo, s12
	v_readlane_b32 s16, v6, s3
	s_cbranch_vccz .LBB98_18
; %bb.24:                               ;   in Loop: Header=BB98_19 Depth=1
	s_delay_alu instid0(VALU_DEP_1) | instskip(NEXT) | instid1(SALU_CYCLE_1)
	s_ashr_i32 s17, s16, 31
	s_lshl_b64 s[20:21], s[16:17], 1
	s_delay_alu instid0(SALU_CYCLE_1) | instskip(SKIP_4) | instid1(VALU_DEP_1)
	s_add_u32 s20, s6, s20
	s_addc_u32 s21, s7, s21
	global_load_u16 v6, v4, s[20:21]
	s_waitcnt vmcnt(0)
	v_lshlrev_b32_e32 v6, 16, v6
	v_sub_f32_e32 v8, v8, v6
	s_branch .LBB98_18
.LBB98_25:
	v_dual_mov_b32 v2, 0 :: v_dual_mov_b32 v1, 0
.LBB98_26:
	s_mov_b32 s2, exec_lo
	v_cmpx_gt_i32_e64 s13, v0
	s_cbranch_execz .LBB98_29
; %bb.27:
	s_clause 0x2
	s_load_b32 s4, s[0:1], 0x34
	s_load_b64 s[2:3], s[0:1], 0x20
	s_load_b32 s0, s[0:1], 0x44
	s_ashr_i32 s1, s15, 31
	s_waitcnt lgkmcnt(0)
	v_mul_f32_e32 v2, s4, v2
	s_mul_i32 s3, s15, s3
	s_mul_hi_u32 s4, s15, s2
	s_mul_i32 s5, s1, s2
	s_add_i32 s3, s4, s3
	s_mul_i32 s1, s15, s2
	s_and_b32 s2, s0, 0xffff
	s_add_i32 s3, s3, s5
	s_mov_b32 s4, 0
	.p2align	6
.LBB98_28:                              ; =>This Inner Loop Header: Depth=1
	v_ashrrev_i32_e32 v4, 31, v0
	v_add_co_u32 v3, vcc_lo, s1, v0
	v_add_nc_u32_e32 v0, s2, v0
	s_delay_alu instid0(VALU_DEP_3) | instskip(NEXT) | instid1(VALU_DEP_2)
	v_add_co_ci_u32_e32 v4, vcc_lo, s3, v4, vcc_lo
	v_cmp_le_i32_e32 vcc_lo, s13, v0
	s_delay_alu instid0(VALU_DEP_2) | instskip(SKIP_1) | instid1(VALU_DEP_1)
	v_lshlrev_b64 v[3:4], 2, v[3:4]
	s_or_b32 s4, vcc_lo, s4
	v_add_co_u32 v5, s0, s8, v3
	s_delay_alu instid0(VALU_DEP_1) | instskip(SKIP_1) | instid1(VALU_DEP_1)
	v_add_co_ci_u32_e64 v6, s0, s9, v4, s0
	v_add_co_u32 v3, s0, s10, v3
	v_add_co_ci_u32_e64 v4, s0, s11, v4, s0
	global_store_b32 v[5:6], v2, off
	global_store_b32 v[3:4], v1, off
	s_and_not1_b32 exec_lo, exec_lo, s4
	s_cbranch_execnz .LBB98_28
.LBB98_29:
	s_nop 0
	s_sendmsg sendmsg(MSG_DEALLOC_VGPRS)
	s_endpgm
	.section	.rodata,"a",@progbits
	.p2align	6, 0x0
	.amdhsa_kernel _ZN5aiter20topk_softplus_kernelIf12hip_bfloat16Dv4_fLb0ELi0EEEvPKT_PKT0_PfPimiiif
		.amdhsa_group_segment_fixed_size 0
		.amdhsa_private_segment_fixed_size 0
		.amdhsa_kernarg_size 312
		.amdhsa_user_sgpr_count 15
		.amdhsa_user_sgpr_dispatch_ptr 0
		.amdhsa_user_sgpr_queue_ptr 0
		.amdhsa_user_sgpr_kernarg_segment_ptr 1
		.amdhsa_user_sgpr_dispatch_id 0
		.amdhsa_user_sgpr_private_segment_size 0
		.amdhsa_wavefront_size32 1
		.amdhsa_uses_dynamic_stack 0
		.amdhsa_enable_private_segment 0
		.amdhsa_system_sgpr_workgroup_id_x 1
		.amdhsa_system_sgpr_workgroup_id_y 0
		.amdhsa_system_sgpr_workgroup_id_z 0
		.amdhsa_system_sgpr_workgroup_info 0
		.amdhsa_system_vgpr_workitem_id 0
		.amdhsa_next_free_vgpr 19
		.amdhsa_next_free_sgpr 30
		.amdhsa_reserve_vcc 1
		.amdhsa_float_round_mode_32 0
		.amdhsa_float_round_mode_16_64 0
		.amdhsa_float_denorm_mode_32 3
		.amdhsa_float_denorm_mode_16_64 3
		.amdhsa_dx10_clamp 1
		.amdhsa_ieee_mode 1
		.amdhsa_fp16_overflow 0
		.amdhsa_workgroup_processor_mode 1
		.amdhsa_memory_ordered 1
		.amdhsa_forward_progress 0
		.amdhsa_shared_vgpr_count 0
		.amdhsa_exception_fp_ieee_invalid_op 0
		.amdhsa_exception_fp_denorm_src 0
		.amdhsa_exception_fp_ieee_div_zero 0
		.amdhsa_exception_fp_ieee_overflow 0
		.amdhsa_exception_fp_ieee_underflow 0
		.amdhsa_exception_fp_ieee_inexact 0
		.amdhsa_exception_int_div_zero 0
	.end_amdhsa_kernel
	.section	.text._ZN5aiter20topk_softplus_kernelIf12hip_bfloat16Dv4_fLb0ELi0EEEvPKT_PKT0_PfPimiiif,"axG",@progbits,_ZN5aiter20topk_softplus_kernelIf12hip_bfloat16Dv4_fLb0ELi0EEEvPKT_PKT0_PfPimiiif,comdat
.Lfunc_end98:
	.size	_ZN5aiter20topk_softplus_kernelIf12hip_bfloat16Dv4_fLb0ELi0EEEvPKT_PKT0_PfPimiiif, .Lfunc_end98-_ZN5aiter20topk_softplus_kernelIf12hip_bfloat16Dv4_fLb0ELi0EEEvPKT_PKT0_PfPimiiif
                                        ; -- End function
	.section	.AMDGPU.csdata,"",@progbits
; Kernel info:
; codeLenInByte = 2896
; NumSgprs: 32
; NumVgprs: 19
; ScratchSize: 0
; MemoryBound: 0
; FloatMode: 240
; IeeeMode: 1
; LDSByteSize: 0 bytes/workgroup (compile time only)
; SGPRBlocks: 3
; VGPRBlocks: 2
; NumSGPRsForWavesPerEU: 32
; NumVGPRsForWavesPerEU: 19
; Occupancy: 16
; WaveLimiterHint : 0
; COMPUTE_PGM_RSRC2:SCRATCH_EN: 0
; COMPUTE_PGM_RSRC2:USER_SGPR: 15
; COMPUTE_PGM_RSRC2:TRAP_HANDLER: 0
; COMPUTE_PGM_RSRC2:TGID_X_EN: 1
; COMPUTE_PGM_RSRC2:TGID_Y_EN: 0
; COMPUTE_PGM_RSRC2:TGID_Z_EN: 0
; COMPUTE_PGM_RSRC2:TIDIG_COMP_CNT: 0
	.section	.text._ZN5aiter20topk_softplus_kernelIf12hip_bfloat16Dv2_fLb1ELi0EEEvPKT_PKT0_PfPimiiif,"axG",@progbits,_ZN5aiter20topk_softplus_kernelIf12hip_bfloat16Dv2_fLb1ELi0EEEvPKT_PKT0_PfPimiiif,comdat
	.protected	_ZN5aiter20topk_softplus_kernelIf12hip_bfloat16Dv2_fLb1ELi0EEEvPKT_PKT0_PfPimiiif ; -- Begin function _ZN5aiter20topk_softplus_kernelIf12hip_bfloat16Dv2_fLb1ELi0EEEvPKT_PKT0_PfPimiiif
	.globl	_ZN5aiter20topk_softplus_kernelIf12hip_bfloat16Dv2_fLb1ELi0EEEvPKT_PKT0_PfPimiiif
	.p2align	8
	.type	_ZN5aiter20topk_softplus_kernelIf12hip_bfloat16Dv2_fLb1ELi0EEEvPKT_PKT0_PfPimiiif,@function
_ZN5aiter20topk_softplus_kernelIf12hip_bfloat16Dv2_fLb1ELi0EEEvPKT_PKT0_PfPimiiif: ; @_ZN5aiter20topk_softplus_kernelIf12hip_bfloat16Dv2_fLb1ELi0EEEvPKT_PKT0_PfPimiiif
; %bb.0:
	s_clause 0x1
	s_load_b64 s[12:13], s[0:1], 0x28
	s_load_b256 s[4:11], s[0:1], 0x0
	s_waitcnt lgkmcnt(0)
	s_lshr_b32 s2, s12, 31
	s_mul_i32 s16, s15, s12
	s_add_i32 s2, s12, s2
	s_ashr_i32 s17, s16, 31
	s_ashr_i32 s14, s2, 1
	s_delay_alu instid0(SALU_CYCLE_1) | instskip(NEXT) | instid1(VALU_DEP_1)
	v_cmp_gt_i32_e64 s2, s14, v0
	s_and_saveexec_b32 s18, s2
	s_cbranch_execz .LBB99_7
; %bb.1:
	s_load_b32 s3, s[0:1], 0x44
	v_lshlrev_b32_e32 v1, 2, v0
	s_cmp_lg_u64 s[6:7], 0
	v_dual_mov_b32 v8, v0 :: v_dual_lshlrev_b32 v3, 3, v0
	s_cselect_b32 s19, -1, 0
	s_delay_alu instid0(VALU_DEP_2) | instskip(SKIP_3) | instid1(VALU_DEP_3)
	v_add_co_u32 v1, s20, v1, s6
	s_lshl_b64 s[22:23], s[16:17], 2
	v_add_co_ci_u32_e64 v2, null, 0, s7, s20
	v_add_nc_u32_e32 v7, 0, v3
	v_add_co_u32 v1, vcc_lo, v1, 2
	s_delay_alu instid0(VALU_DEP_3)
	v_add_co_ci_u32_e32 v2, vcc_lo, 0, v2, vcc_lo
	s_waitcnt lgkmcnt(0)
	s_and_b32 s20, s3, 0xffff
	s_add_u32 s3, s4, s22
	s_addc_u32 s21, s5, s23
	v_add_co_u32 v3, s3, s3, v3
	s_delay_alu instid0(VALU_DEP_1)
	v_add_co_ci_u32_e64 v4, null, s21, 0, s3
	s_mov_b32 s21, 0
	s_lshl_b32 s22, s20, 3
	s_lshl_b32 s23, s20, 2
	s_branch .LBB99_3
.LBB99_2:                               ;   in Loop: Header=BB99_3 Depth=1
	v_add_nc_u32_e32 v8, s20, v8
	v_add_co_u32 v3, vcc_lo, v3, s22
	v_add_co_ci_u32_e32 v4, vcc_lo, 0, v4, vcc_lo
	s_delay_alu instid0(VALU_DEP_3)
	v_cmp_le_i32_e32 vcc_lo, s14, v8
	v_add_co_u32 v1, s3, v1, s23
	ds_store_b64 v7, v[5:6]
	v_add_co_ci_u32_e64 v2, s3, 0, v2, s3
	v_add_nc_u32_e32 v7, s22, v7
	s_or_b32 s21, vcc_lo, s21
	s_delay_alu instid0(SALU_CYCLE_1)
	s_and_not1_b32 exec_lo, exec_lo, s21
	s_cbranch_execz .LBB99_7
.LBB99_3:                               ; =>This Inner Loop Header: Depth=1
	global_load_b64 v[5:6], v[3:4], off
	s_waitcnt vmcnt(0)
	v_mul_f32_e32 v9, 0x3fb8aa3b, v5
	s_delay_alu instid0(VALU_DEP_1) | instskip(SKIP_2) | instid1(VALU_DEP_2)
	v_cmp_gt_f32_e32 vcc_lo, 0xc2fc0000, v9
	v_cndmask_b32_e64 v10, 0, 0x42800000, vcc_lo
	v_cndmask_b32_e64 v9, 1.0, 0x1f800000, vcc_lo
	v_fmac_f32_e32 v10, 0x3fb8aa3b, v5
	s_delay_alu instid0(VALU_DEP_1) | instskip(SKIP_2) | instid1(VALU_DEP_1)
	v_exp_f32_e32 v10, v10
	s_waitcnt_depctr 0xfff
	v_fma_f32 v9, v10, v9, 1.0
	v_cmp_gt_f32_e32 vcc_lo, 0x800000, v9
	v_cndmask_b32_e64 v10, 1.0, 0x4f800000, vcc_lo
	s_delay_alu instid0(VALU_DEP_1) | instskip(SKIP_2) | instid1(VALU_DEP_3)
	v_mul_f32_e32 v9, v9, v10
	v_cndmask_b32_e64 v10, 0, 0x42000000, vcc_lo
	v_cmp_lt_f32_e32 vcc_lo, 0x41a00000, v5
	v_log_f32_e32 v9, v9
	s_waitcnt_depctr 0xfff
	v_sub_f32_e32 v9, v9, v10
	s_delay_alu instid0(VALU_DEP_1) | instskip(NEXT) | instid1(VALU_DEP_1)
	v_mul_f32_e32 v9, 0x3f317218, v9
	v_cndmask_b32_e32 v5, v9, v5, vcc_lo
	s_delay_alu instid0(VALU_DEP_1) | instskip(SKIP_1) | instid1(VALU_DEP_2)
	v_mul_f32_e32 v9, 0x4f800000, v5
	v_cmp_gt_f32_e32 vcc_lo, 0xf800000, v5
	v_cndmask_b32_e32 v5, v5, v9, vcc_lo
	s_delay_alu instid0(VALU_DEP_1) | instskip(SKIP_3) | instid1(VALU_DEP_2)
	v_sqrt_f32_e32 v9, v5
	s_waitcnt_depctr 0xfff
	v_add_nc_u32_e32 v10, -1, v9
	v_add_nc_u32_e32 v11, 1, v9
	v_fma_f32 v12, -v10, v9, v5
	s_delay_alu instid0(VALU_DEP_2) | instskip(NEXT) | instid1(VALU_DEP_2)
	v_fma_f32 v13, -v11, v9, v5
	v_cmp_ge_f32_e64 s3, 0, v12
	s_delay_alu instid0(VALU_DEP_1) | instskip(NEXT) | instid1(VALU_DEP_3)
	v_cndmask_b32_e64 v9, v9, v10, s3
	v_cmp_lt_f32_e64 s3, 0, v13
	s_delay_alu instid0(VALU_DEP_1) | instskip(NEXT) | instid1(VALU_DEP_1)
	v_cndmask_b32_e64 v9, v9, v11, s3
	v_mul_f32_e32 v10, 0x37800000, v9
	s_delay_alu instid0(VALU_DEP_1) | instskip(SKIP_1) | instid1(VALU_DEP_2)
	v_cndmask_b32_e32 v9, v9, v10, vcc_lo
	v_cmp_class_f32_e64 vcc_lo, v5, 0x260
	v_cndmask_b32_e32 v5, v9, v5, vcc_lo
	s_and_not1_b32 vcc_lo, exec_lo, s19
	s_cbranch_vccnz .LBB99_5
; %bb.4:                                ;   in Loop: Header=BB99_3 Depth=1
	global_load_u16 v9, v[1:2], off offset:-2
	s_waitcnt vmcnt(0)
	v_lshlrev_b32_e32 v9, 16, v9
	s_delay_alu instid0(VALU_DEP_1)
	v_add_f32_e32 v5, v5, v9
.LBB99_5:                               ;   in Loop: Header=BB99_3 Depth=1
	v_mul_f32_e32 v9, 0x3fb8aa3b, v6
	s_delay_alu instid0(VALU_DEP_1) | instskip(SKIP_2) | instid1(VALU_DEP_2)
	v_cmp_gt_f32_e32 vcc_lo, 0xc2fc0000, v9
	v_cndmask_b32_e64 v10, 0, 0x42800000, vcc_lo
	v_cndmask_b32_e64 v9, 1.0, 0x1f800000, vcc_lo
	v_fmac_f32_e32 v10, 0x3fb8aa3b, v6
	s_delay_alu instid0(VALU_DEP_1) | instskip(SKIP_2) | instid1(VALU_DEP_1)
	v_exp_f32_e32 v10, v10
	s_waitcnt_depctr 0xfff
	v_fma_f32 v9, v10, v9, 1.0
	v_cmp_gt_f32_e32 vcc_lo, 0x800000, v9
	v_cndmask_b32_e64 v10, 1.0, 0x4f800000, vcc_lo
	s_delay_alu instid0(VALU_DEP_1) | instskip(SKIP_2) | instid1(VALU_DEP_3)
	v_mul_f32_e32 v9, v9, v10
	v_cndmask_b32_e64 v10, 0, 0x42000000, vcc_lo
	v_cmp_lt_f32_e32 vcc_lo, 0x41a00000, v6
	v_log_f32_e32 v9, v9
	s_waitcnt_depctr 0xfff
	v_sub_f32_e32 v9, v9, v10
	s_delay_alu instid0(VALU_DEP_1) | instskip(NEXT) | instid1(VALU_DEP_1)
	v_mul_f32_e32 v9, 0x3f317218, v9
	v_cndmask_b32_e32 v6, v9, v6, vcc_lo
	s_delay_alu instid0(VALU_DEP_1) | instskip(SKIP_1) | instid1(VALU_DEP_2)
	v_mul_f32_e32 v9, 0x4f800000, v6
	v_cmp_gt_f32_e32 vcc_lo, 0xf800000, v6
	v_cndmask_b32_e32 v6, v6, v9, vcc_lo
	s_delay_alu instid0(VALU_DEP_1) | instskip(SKIP_3) | instid1(VALU_DEP_2)
	v_sqrt_f32_e32 v9, v6
	s_waitcnt_depctr 0xfff
	v_add_nc_u32_e32 v10, -1, v9
	v_add_nc_u32_e32 v11, 1, v9
	v_fma_f32 v12, -v10, v9, v6
	s_delay_alu instid0(VALU_DEP_2) | instskip(NEXT) | instid1(VALU_DEP_2)
	v_fma_f32 v13, -v11, v9, v6
	v_cmp_ge_f32_e64 s3, 0, v12
	s_delay_alu instid0(VALU_DEP_1) | instskip(NEXT) | instid1(VALU_DEP_3)
	v_cndmask_b32_e64 v9, v9, v10, s3
	v_cmp_lt_f32_e64 s3, 0, v13
	s_delay_alu instid0(VALU_DEP_1) | instskip(NEXT) | instid1(VALU_DEP_1)
	v_cndmask_b32_e64 v9, v9, v11, s3
	v_mul_f32_e32 v10, 0x37800000, v9
	s_delay_alu instid0(VALU_DEP_1) | instskip(SKIP_1) | instid1(VALU_DEP_2)
	v_cndmask_b32_e32 v9, v9, v10, vcc_lo
	v_cmp_class_f32_e64 vcc_lo, v6, 0x260
	v_cndmask_b32_e32 v6, v9, v6, vcc_lo
	s_and_not1_b32 vcc_lo, exec_lo, s19
	s_cbranch_vccnz .LBB99_2
; %bb.6:                                ;   in Loop: Header=BB99_3 Depth=1
	global_load_u16 v9, v[1:2], off
	s_waitcnt vmcnt(0)
	v_lshlrev_b32_e32 v9, 16, v9
	s_delay_alu instid0(VALU_DEP_1)
	v_add_f32_e32 v6, v6, v9
	s_branch .LBB99_2
.LBB99_7:
	s_or_b32 exec_lo, exec_lo, s18
	v_lshl_add_u32 v1, s14, 1, v0
	s_mov_b32 s18, exec_lo
	s_delay_alu instid0(VALU_DEP_1)
	v_cmpx_gt_i32_e64 s12, v1
	s_cbranch_execz .LBB99_12
; %bb.8:
	s_load_b32 s3, s[0:1], 0x44
	s_lshl_b64 s[16:17], s[16:17], 2
	v_lshlrev_b32_e32 v2, 2, v0
	s_add_u32 s4, s4, s16
	s_addc_u32 s5, s5, s17
	s_cmp_lg_u64 s[6:7], 0
	s_mov_b32 s19, 0
	s_cselect_b32 s16, -1, 0
	s_lshl_b32 s17, s14, 3
	s_delay_alu instid0(SALU_CYCLE_1) | instskip(SKIP_2) | instid1(SALU_CYCLE_1)
	v_add3_u32 v3, 0, s17, v2
	s_waitcnt lgkmcnt(0)
	s_and_b32 s17, s3, 0xffff
	s_lshl_b32 s20, s17, 2
	s_branch .LBB99_10
.LBB99_9:                               ;   in Loop: Header=BB99_10 Depth=1
	v_add_nc_u32_e32 v1, s17, v1
	v_add_nc_u32_e32 v3, s20, v3
	s_delay_alu instid0(VALU_DEP_2) | instskip(SKIP_1) | instid1(SALU_CYCLE_1)
	v_cmp_le_i32_e32 vcc_lo, s12, v1
	s_or_b32 s19, vcc_lo, s19
	s_and_not1_b32 exec_lo, exec_lo, s19
	s_cbranch_execz .LBB99_12
.LBB99_10:                              ; =>This Inner Loop Header: Depth=1
	v_ashrrev_i32_e32 v2, 31, v1
	s_delay_alu instid0(VALU_DEP_1) | instskip(NEXT) | instid1(VALU_DEP_1)
	v_lshlrev_b64 v[4:5], 2, v[1:2]
	v_add_co_u32 v4, vcc_lo, s4, v4
	s_delay_alu instid0(VALU_DEP_2) | instskip(SKIP_3) | instid1(VALU_DEP_1)
	v_add_co_ci_u32_e32 v5, vcc_lo, s5, v5, vcc_lo
	global_load_b32 v4, v[4:5], off
	s_waitcnt vmcnt(0)
	v_mul_f32_e32 v5, 0x3fb8aa3b, v4
	v_cmp_gt_f32_e32 vcc_lo, 0xc2fc0000, v5
	v_cndmask_b32_e64 v5, 0, 0x42800000, vcc_lo
	v_cndmask_b32_e64 v6, 1.0, 0x1f800000, vcc_lo
	s_delay_alu instid0(VALU_DEP_2) | instskip(NEXT) | instid1(VALU_DEP_1)
	v_fmac_f32_e32 v5, 0x3fb8aa3b, v4
	v_exp_f32_e32 v5, v5
	s_waitcnt_depctr 0xfff
	v_fma_f32 v5, v5, v6, 1.0
	s_delay_alu instid0(VALU_DEP_1) | instskip(SKIP_1) | instid1(VALU_DEP_1)
	v_cmp_gt_f32_e32 vcc_lo, 0x800000, v5
	v_cndmask_b32_e64 v6, 1.0, 0x4f800000, vcc_lo
	v_mul_f32_e32 v5, v5, v6
	v_cndmask_b32_e64 v6, 0, 0x42000000, vcc_lo
	v_cmp_lt_f32_e32 vcc_lo, 0x41a00000, v4
	s_delay_alu instid0(VALU_DEP_3) | instskip(SKIP_2) | instid1(VALU_DEP_1)
	v_log_f32_e32 v5, v5
	s_waitcnt_depctr 0xfff
	v_sub_f32_e32 v5, v5, v6
	v_mul_f32_e32 v5, 0x3f317218, v5
	s_delay_alu instid0(VALU_DEP_1) | instskip(NEXT) | instid1(VALU_DEP_1)
	v_cndmask_b32_e32 v4, v5, v4, vcc_lo
	v_mul_f32_e32 v5, 0x4f800000, v4
	v_cmp_gt_f32_e32 vcc_lo, 0xf800000, v4
	s_delay_alu instid0(VALU_DEP_2) | instskip(NEXT) | instid1(VALU_DEP_1)
	v_cndmask_b32_e32 v4, v4, v5, vcc_lo
	v_sqrt_f32_e32 v5, v4
	s_waitcnt_depctr 0xfff
	v_add_nc_u32_e32 v6, -1, v5
	v_add_nc_u32_e32 v7, 1, v5
	s_delay_alu instid0(VALU_DEP_2) | instskip(NEXT) | instid1(VALU_DEP_2)
	v_fma_f32 v8, -v6, v5, v4
	v_fma_f32 v9, -v7, v5, v4
	s_delay_alu instid0(VALU_DEP_2) | instskip(NEXT) | instid1(VALU_DEP_1)
	v_cmp_ge_f32_e64 s3, 0, v8
	v_cndmask_b32_e64 v5, v5, v6, s3
	s_delay_alu instid0(VALU_DEP_3) | instskip(NEXT) | instid1(VALU_DEP_1)
	v_cmp_lt_f32_e64 s3, 0, v9
	v_cndmask_b32_e64 v5, v5, v7, s3
	s_delay_alu instid0(VALU_DEP_1) | instskip(NEXT) | instid1(VALU_DEP_1)
	v_mul_f32_e32 v6, 0x37800000, v5
	v_cndmask_b32_e32 v5, v5, v6, vcc_lo
	v_cmp_class_f32_e64 vcc_lo, v4, 0x260
	s_delay_alu instid0(VALU_DEP_2)
	v_cndmask_b32_e32 v4, v5, v4, vcc_lo
	s_and_not1_b32 vcc_lo, exec_lo, s16
	ds_store_b32 v3, v4
	s_cbranch_vccnz .LBB99_9
; %bb.11:                               ;   in Loop: Header=BB99_10 Depth=1
	v_lshlrev_b64 v[5:6], 1, v[1:2]
	s_delay_alu instid0(VALU_DEP_1) | instskip(NEXT) | instid1(VALU_DEP_2)
	v_add_co_u32 v5, vcc_lo, s6, v5
	v_add_co_ci_u32_e32 v6, vcc_lo, s7, v6, vcc_lo
	global_load_u16 v2, v[5:6], off
	s_waitcnt vmcnt(0)
	v_lshlrev_b32_e32 v2, 16, v2
	s_delay_alu instid0(VALU_DEP_1)
	v_add_f32_e32 v2, v4, v2
	ds_store_b32 v3, v2
	s_branch .LBB99_9
.LBB99_12:
	s_or_b32 exec_lo, exec_lo, s18
	v_mov_b32_e32 v2, 0
	s_cmp_lt_i32 s13, 1
	s_waitcnt lgkmcnt(0)
	s_barrier
	buffer_gl0_inv
	s_cbranch_scc1 .LBB99_21
; %bb.13:
	s_add_u32 s4, s0, 56
	s_addc_u32 s5, s1, 0
	v_dual_mov_b32 v7, 0xff800000 :: v_dual_lshlrev_b32 v4, 1, v0
	v_lshl_add_u32 v5, v0, 3, 0
	v_dual_mov_b32 v2, 0 :: v_dual_mov_b32 v1, 0
	v_dual_mov_b32 v6, 0 :: v_dual_mov_b32 v3, 0
	s_cmp_lg_u64 s[6:7], 0
	s_mov_b32 s18, 0
	s_cselect_b32 s12, -1, 0
	s_mov_b32 s19, 0x76543210
	s_branch .LBB99_15
.LBB99_14:                              ;   in Loop: Header=BB99_15 Depth=1
	v_cmp_eq_u32_e32 vcc_lo, s18, v0
	s_delay_alu instid0(VALU_DEP_2)
	s_lshl_b32 s3, s16, 2
	s_add_i32 s18, s18, 1
	s_add_i32 s3, s3, 0
	v_add_f32_e32 v3, v3, v10
	v_cndmask_b32_e64 v1, v1, s16, vcc_lo
	v_mov_b32_e32 v8, s3
	v_cndmask_b32_e32 v2, v2, v10, vcc_lo
	s_cmp_eq_u32 s18, s13
	ds_store_b32 v8, v7
	s_cbranch_scc1 .LBB99_22
.LBB99_15:                              ; =>This Loop Header: Depth=1
                                        ;     Child Loop BB99_17 Depth 2
	v_dual_mov_b32 v8, s18 :: v_dual_mov_b32 v9, 0xff800000
	s_and_saveexec_b32 s16, s2
	s_cbranch_execz .LBB99_19
; %bb.16:                               ;   in Loop: Header=BB99_15 Depth=1
	s_load_b32 s3, s[4:5], 0xc
	v_dual_mov_b32 v8, s18 :: v_dual_mov_b32 v9, 0xff800000
	v_dual_mov_b32 v10, v5 :: v_dual_mov_b32 v11, v4
	v_mov_b32_e32 v12, v0
	s_mov_b32 s21, 0
	s_waitcnt lgkmcnt(0)
	s_and_b32 s17, s3, 0xffff
	s_delay_alu instid0(SALU_CYCLE_1)
	s_lshl_b32 s20, s17, 1
	s_lshl_b32 s22, s17, 3
	.p2align	6
.LBB99_17:                              ;   Parent Loop BB99_15 Depth=1
                                        ; =>  This Inner Loop Header: Depth=2
	ds_load_b64 v[13:14], v10
	v_add_nc_u32_e32 v10, s22, v10
	v_add_nc_u32_e32 v12, s17, v12
	s_delay_alu instid0(VALU_DEP_1) | instskip(NEXT) | instid1(VALU_DEP_1)
	v_cmp_le_i32_e64 s3, s14, v12
	s_or_b32 s21, s3, s21
	s_waitcnt lgkmcnt(0)
	v_cmp_gt_f32_e32 vcc_lo, v13, v9
	v_cndmask_b32_e32 v9, v9, v13, vcc_lo
	v_add_nc_u32_e32 v13, 1, v11
	v_cndmask_b32_e32 v8, v8, v11, vcc_lo
	s_delay_alu instid0(VALU_DEP_3) | instskip(SKIP_1) | instid1(VALU_DEP_3)
	v_cmp_gt_f32_e32 vcc_lo, v14, v9
	v_cndmask_b32_e32 v9, v9, v14, vcc_lo
	v_dual_cndmask_b32 v8, v8, v13 :: v_dual_add_nc_u32 v11, s20, v11
	s_and_not1_b32 exec_lo, exec_lo, s21
	s_cbranch_execnz .LBB99_17
; %bb.18:                               ;   in Loop: Header=BB99_15 Depth=1
	s_or_b32 exec_lo, exec_lo, s21
.LBB99_19:                              ;   in Loop: Header=BB99_15 Depth=1
	s_delay_alu instid0(SALU_CYCLE_1)
	s_or_b32 exec_lo, exec_lo, s16
	;;#ASMSTART
	v_max_f32 v10, v9, v9 quad_perm:[1,0,3,2] row_mask:0xf bank_mask:0xf bound_ctrl:1
	;;#ASMEND
	;;#ASMSTART
	v_max_f32 v11, v10, v10 quad_perm:[2,3,0,1] row_mask:0xf bank_mask:0xf bound_ctrl:1
	;;#ASMEND
	;;#ASMSTART
	v_max_f32 v10, v11, v11 row_half_mirror row_mask:0xf bank_mask:0xf bound_ctrl:1
	;;#ASMEND
	;;#ASMSTART
	v_max_f32 v11, v10, v10 row_mirror row_mask:0xf bank_mask:0xf bound_ctrl:1
	;;#ASMEND
	v_permlanex16_b32 v10, v11, s19, 0xfedcba98 op_sel:[1,1]
	s_delay_alu instid0(VALU_DEP_1) | instskip(NEXT) | instid1(VALU_DEP_1)
	v_dual_max_f32 v11, v11, v11 :: v_dual_max_f32 v10, v10, v10
	v_max_f32_e32 v10, v11, v10
	s_delay_alu instid0(VALU_DEP_1)
	v_cmp_eq_f32_e32 vcc_lo, v9, v10
	s_ctz_i32_b32 s3, vcc_lo
	s_cmp_lg_u32 vcc_lo, 0
	s_cselect_b32 s3, s3, 0
	s_and_b32 vcc_lo, exec_lo, s12
	v_readlane_b32 s16, v8, s3
	s_cbranch_vccz .LBB99_14
; %bb.20:                               ;   in Loop: Header=BB99_15 Depth=1
	s_delay_alu instid0(VALU_DEP_1) | instskip(NEXT) | instid1(SALU_CYCLE_1)
	s_ashr_i32 s17, s16, 31
	s_lshl_b64 s[20:21], s[16:17], 1
	s_delay_alu instid0(SALU_CYCLE_1) | instskip(SKIP_4) | instid1(VALU_DEP_1)
	s_add_u32 s20, s6, s20
	s_addc_u32 s21, s7, s21
	global_load_u16 v8, v6, s[20:21]
	s_waitcnt vmcnt(0)
	v_lshlrev_b32_e32 v8, 16, v8
	v_sub_f32_e32 v10, v10, v8
	s_branch .LBB99_14
.LBB99_21:
	v_mov_b32_e32 v1, 0
	v_mov_b32_e32 v3, 0
.LBB99_22:
	s_mov_b32 s2, exec_lo
	v_cmpx_gt_i32_e64 s13, v0
	s_cbranch_execz .LBB99_25
; %bb.23:
	s_clause 0x1
	s_load_b32 s2, s[0:1], 0x34
	s_load_b32 s3, s[0:1], 0x44
	v_max_f32_e32 v3, v3, v3
	s_load_b64 s[0:1], s[0:1], 0x20
	s_ashr_i32 s4, s15, 31
	s_delay_alu instid0(VALU_DEP_1) | instskip(SKIP_1) | instid1(VALU_DEP_1)
	v_max_f32_e32 v3, 0x1e3ce508, v3
	s_waitcnt lgkmcnt(0)
	v_div_scale_f32 v4, null, v3, v3, s2
	v_div_scale_f32 v7, vcc_lo, s2, v3, s2
	s_mul_i32 s1, s15, s1
	s_delay_alu instid0(VALU_DEP_2) | instskip(SKIP_4) | instid1(VALU_DEP_1)
	v_rcp_f32_e32 v5, v4
	s_mul_i32 s4, s4, s0
	s_and_b32 s3, s3, 0xffff
	s_waitcnt_depctr 0xfff
	v_fma_f32 v6, -v4, v5, 1.0
	v_fmac_f32_e32 v5, v6, v5
	s_delay_alu instid0(VALU_DEP_1) | instskip(NEXT) | instid1(VALU_DEP_1)
	v_mul_f32_e32 v6, v7, v5
	v_fma_f32 v8, -v4, v6, v7
	s_delay_alu instid0(VALU_DEP_1) | instskip(NEXT) | instid1(VALU_DEP_1)
	v_fmac_f32_e32 v6, v8, v5
	v_fma_f32 v4, -v4, v6, v7
	s_delay_alu instid0(VALU_DEP_1) | instskip(NEXT) | instid1(VALU_DEP_1)
	v_div_fmas_f32 v4, v4, v5, v6
	v_div_fixup_f32 v3, v4, v3, s2
	s_mul_hi_u32 s2, s15, s0
	s_delay_alu instid0(SALU_CYCLE_1) | instskip(SKIP_1) | instid1(VALU_DEP_1)
	s_add_i32 s1, s2, s1
	s_mul_i32 s2, s15, s0
	v_mul_f32_e32 v2, v2, v3
	s_add_i32 s1, s1, s4
	s_mov_b32 s4, 0
	.p2align	6
.LBB99_24:                              ; =>This Inner Loop Header: Depth=1
	v_ashrrev_i32_e32 v4, 31, v0
	v_add_co_u32 v3, vcc_lo, s2, v0
	v_add_nc_u32_e32 v0, s3, v0
	s_delay_alu instid0(VALU_DEP_3) | instskip(NEXT) | instid1(VALU_DEP_2)
	v_add_co_ci_u32_e32 v4, vcc_lo, s1, v4, vcc_lo
	v_cmp_le_i32_e32 vcc_lo, s13, v0
	s_delay_alu instid0(VALU_DEP_2) | instskip(SKIP_1) | instid1(VALU_DEP_1)
	v_lshlrev_b64 v[3:4], 2, v[3:4]
	s_or_b32 s4, vcc_lo, s4
	v_add_co_u32 v5, s0, s8, v3
	s_delay_alu instid0(VALU_DEP_1) | instskip(SKIP_1) | instid1(VALU_DEP_1)
	v_add_co_ci_u32_e64 v6, s0, s9, v4, s0
	v_add_co_u32 v3, s0, s10, v3
	v_add_co_ci_u32_e64 v4, s0, s11, v4, s0
	global_store_b32 v[5:6], v2, off
	global_store_b32 v[3:4], v1, off
	s_and_not1_b32 exec_lo, exec_lo, s4
	s_cbranch_execnz .LBB99_24
.LBB99_25:
	s_nop 0
	s_sendmsg sendmsg(MSG_DEALLOC_VGPRS)
	s_endpgm
	.section	.rodata,"a",@progbits
	.p2align	6, 0x0
	.amdhsa_kernel _ZN5aiter20topk_softplus_kernelIf12hip_bfloat16Dv2_fLb1ELi0EEEvPKT_PKT0_PfPimiiif
		.amdhsa_group_segment_fixed_size 0
		.amdhsa_private_segment_fixed_size 0
		.amdhsa_kernarg_size 312
		.amdhsa_user_sgpr_count 15
		.amdhsa_user_sgpr_dispatch_ptr 0
		.amdhsa_user_sgpr_queue_ptr 0
		.amdhsa_user_sgpr_kernarg_segment_ptr 1
		.amdhsa_user_sgpr_dispatch_id 0
		.amdhsa_user_sgpr_private_segment_size 0
		.amdhsa_wavefront_size32 1
		.amdhsa_uses_dynamic_stack 0
		.amdhsa_enable_private_segment 0
		.amdhsa_system_sgpr_workgroup_id_x 1
		.amdhsa_system_sgpr_workgroup_id_y 0
		.amdhsa_system_sgpr_workgroup_id_z 0
		.amdhsa_system_sgpr_workgroup_info 0
		.amdhsa_system_vgpr_workitem_id 0
		.amdhsa_next_free_vgpr 15
		.amdhsa_next_free_sgpr 24
		.amdhsa_reserve_vcc 1
		.amdhsa_float_round_mode_32 0
		.amdhsa_float_round_mode_16_64 0
		.amdhsa_float_denorm_mode_32 3
		.amdhsa_float_denorm_mode_16_64 3
		.amdhsa_dx10_clamp 1
		.amdhsa_ieee_mode 1
		.amdhsa_fp16_overflow 0
		.amdhsa_workgroup_processor_mode 1
		.amdhsa_memory_ordered 1
		.amdhsa_forward_progress 0
		.amdhsa_shared_vgpr_count 0
		.amdhsa_exception_fp_ieee_invalid_op 0
		.amdhsa_exception_fp_denorm_src 0
		.amdhsa_exception_fp_ieee_div_zero 0
		.amdhsa_exception_fp_ieee_overflow 0
		.amdhsa_exception_fp_ieee_underflow 0
		.amdhsa_exception_fp_ieee_inexact 0
		.amdhsa_exception_int_div_zero 0
	.end_amdhsa_kernel
	.section	.text._ZN5aiter20topk_softplus_kernelIf12hip_bfloat16Dv2_fLb1ELi0EEEvPKT_PKT0_PfPimiiif,"axG",@progbits,_ZN5aiter20topk_softplus_kernelIf12hip_bfloat16Dv2_fLb1ELi0EEEvPKT_PKT0_PfPimiiif,comdat
.Lfunc_end99:
	.size	_ZN5aiter20topk_softplus_kernelIf12hip_bfloat16Dv2_fLb1ELi0EEEvPKT_PKT0_PfPimiiif, .Lfunc_end99-_ZN5aiter20topk_softplus_kernelIf12hip_bfloat16Dv2_fLb1ELi0EEEvPKT_PKT0_PfPimiiif
                                        ; -- End function
	.section	.AMDGPU.csdata,"",@progbits
; Kernel info:
; codeLenInByte = 2292
; NumSgprs: 26
; NumVgprs: 15
; ScratchSize: 0
; MemoryBound: 0
; FloatMode: 240
; IeeeMode: 1
; LDSByteSize: 0 bytes/workgroup (compile time only)
; SGPRBlocks: 3
; VGPRBlocks: 1
; NumSGPRsForWavesPerEU: 26
; NumVGPRsForWavesPerEU: 15
; Occupancy: 16
; WaveLimiterHint : 0
; COMPUTE_PGM_RSRC2:SCRATCH_EN: 0
; COMPUTE_PGM_RSRC2:USER_SGPR: 15
; COMPUTE_PGM_RSRC2:TRAP_HANDLER: 0
; COMPUTE_PGM_RSRC2:TGID_X_EN: 1
; COMPUTE_PGM_RSRC2:TGID_Y_EN: 0
; COMPUTE_PGM_RSRC2:TGID_Z_EN: 0
; COMPUTE_PGM_RSRC2:TIDIG_COMP_CNT: 0
	.section	.text._ZN5aiter20topk_softplus_kernelIf12hip_bfloat16Dv2_fLb0ELi0EEEvPKT_PKT0_PfPimiiif,"axG",@progbits,_ZN5aiter20topk_softplus_kernelIf12hip_bfloat16Dv2_fLb0ELi0EEEvPKT_PKT0_PfPimiiif,comdat
	.protected	_ZN5aiter20topk_softplus_kernelIf12hip_bfloat16Dv2_fLb0ELi0EEEvPKT_PKT0_PfPimiiif ; -- Begin function _ZN5aiter20topk_softplus_kernelIf12hip_bfloat16Dv2_fLb0ELi0EEEvPKT_PKT0_PfPimiiif
	.globl	_ZN5aiter20topk_softplus_kernelIf12hip_bfloat16Dv2_fLb0ELi0EEEvPKT_PKT0_PfPimiiif
	.p2align	8
	.type	_ZN5aiter20topk_softplus_kernelIf12hip_bfloat16Dv2_fLb0ELi0EEEvPKT_PKT0_PfPimiiif,@function
_ZN5aiter20topk_softplus_kernelIf12hip_bfloat16Dv2_fLb0ELi0EEEvPKT_PKT0_PfPimiiif: ; @_ZN5aiter20topk_softplus_kernelIf12hip_bfloat16Dv2_fLb0ELi0EEEvPKT_PKT0_PfPimiiif
; %bb.0:
	s_clause 0x1
	s_load_b64 s[12:13], s[0:1], 0x28
	s_load_b256 s[4:11], s[0:1], 0x0
	s_waitcnt lgkmcnt(0)
	s_lshr_b32 s2, s12, 31
	s_mul_i32 s16, s15, s12
	s_add_i32 s2, s12, s2
	s_ashr_i32 s17, s16, 31
	s_ashr_i32 s14, s2, 1
	s_delay_alu instid0(SALU_CYCLE_1) | instskip(NEXT) | instid1(VALU_DEP_1)
	v_cmp_gt_i32_e64 s2, s14, v0
	s_and_saveexec_b32 s18, s2
	s_cbranch_execz .LBB100_7
; %bb.1:
	s_load_b32 s3, s[0:1], 0x44
	v_lshlrev_b32_e32 v1, 2, v0
	s_cmp_lg_u64 s[6:7], 0
	v_dual_mov_b32 v8, v0 :: v_dual_lshlrev_b32 v3, 3, v0
	s_cselect_b32 s19, -1, 0
	s_delay_alu instid0(VALU_DEP_2) | instskip(SKIP_3) | instid1(VALU_DEP_3)
	v_add_co_u32 v1, s20, v1, s6
	s_lshl_b64 s[22:23], s[16:17], 2
	v_add_co_ci_u32_e64 v2, null, 0, s7, s20
	v_add_nc_u32_e32 v7, 0, v3
	v_add_co_u32 v1, vcc_lo, v1, 2
	s_delay_alu instid0(VALU_DEP_3)
	v_add_co_ci_u32_e32 v2, vcc_lo, 0, v2, vcc_lo
	s_waitcnt lgkmcnt(0)
	s_and_b32 s20, s3, 0xffff
	s_add_u32 s3, s4, s22
	s_addc_u32 s21, s5, s23
	v_add_co_u32 v3, s3, s3, v3
	s_delay_alu instid0(VALU_DEP_1)
	v_add_co_ci_u32_e64 v4, null, s21, 0, s3
	s_mov_b32 s21, 0
	s_lshl_b32 s22, s20, 3
	s_lshl_b32 s23, s20, 2
	s_branch .LBB100_3
.LBB100_2:                              ;   in Loop: Header=BB100_3 Depth=1
	v_add_nc_u32_e32 v8, s20, v8
	v_add_co_u32 v3, vcc_lo, v3, s22
	v_add_co_ci_u32_e32 v4, vcc_lo, 0, v4, vcc_lo
	s_delay_alu instid0(VALU_DEP_3)
	v_cmp_le_i32_e32 vcc_lo, s14, v8
	v_add_co_u32 v1, s3, v1, s23
	ds_store_b64 v7, v[5:6]
	v_add_co_ci_u32_e64 v2, s3, 0, v2, s3
	v_add_nc_u32_e32 v7, s22, v7
	s_or_b32 s21, vcc_lo, s21
	s_delay_alu instid0(SALU_CYCLE_1)
	s_and_not1_b32 exec_lo, exec_lo, s21
	s_cbranch_execz .LBB100_7
.LBB100_3:                              ; =>This Inner Loop Header: Depth=1
	global_load_b64 v[5:6], v[3:4], off
	s_waitcnt vmcnt(0)
	v_mul_f32_e32 v9, 0x3fb8aa3b, v5
	s_delay_alu instid0(VALU_DEP_1) | instskip(SKIP_2) | instid1(VALU_DEP_2)
	v_cmp_gt_f32_e32 vcc_lo, 0xc2fc0000, v9
	v_cndmask_b32_e64 v10, 0, 0x42800000, vcc_lo
	v_cndmask_b32_e64 v9, 1.0, 0x1f800000, vcc_lo
	v_fmac_f32_e32 v10, 0x3fb8aa3b, v5
	s_delay_alu instid0(VALU_DEP_1) | instskip(SKIP_2) | instid1(VALU_DEP_1)
	v_exp_f32_e32 v10, v10
	s_waitcnt_depctr 0xfff
	v_fma_f32 v9, v10, v9, 1.0
	v_cmp_gt_f32_e32 vcc_lo, 0x800000, v9
	v_cndmask_b32_e64 v10, 1.0, 0x4f800000, vcc_lo
	s_delay_alu instid0(VALU_DEP_1) | instskip(SKIP_2) | instid1(VALU_DEP_3)
	v_mul_f32_e32 v9, v9, v10
	v_cndmask_b32_e64 v10, 0, 0x42000000, vcc_lo
	v_cmp_lt_f32_e32 vcc_lo, 0x41a00000, v5
	v_log_f32_e32 v9, v9
	s_waitcnt_depctr 0xfff
	v_sub_f32_e32 v9, v9, v10
	s_delay_alu instid0(VALU_DEP_1) | instskip(NEXT) | instid1(VALU_DEP_1)
	v_mul_f32_e32 v9, 0x3f317218, v9
	v_cndmask_b32_e32 v5, v9, v5, vcc_lo
	s_delay_alu instid0(VALU_DEP_1) | instskip(SKIP_1) | instid1(VALU_DEP_2)
	v_mul_f32_e32 v9, 0x4f800000, v5
	v_cmp_gt_f32_e32 vcc_lo, 0xf800000, v5
	v_cndmask_b32_e32 v5, v5, v9, vcc_lo
	s_delay_alu instid0(VALU_DEP_1) | instskip(SKIP_3) | instid1(VALU_DEP_2)
	v_sqrt_f32_e32 v9, v5
	s_waitcnt_depctr 0xfff
	v_add_nc_u32_e32 v10, -1, v9
	v_add_nc_u32_e32 v11, 1, v9
	v_fma_f32 v12, -v10, v9, v5
	s_delay_alu instid0(VALU_DEP_2) | instskip(NEXT) | instid1(VALU_DEP_2)
	v_fma_f32 v13, -v11, v9, v5
	v_cmp_ge_f32_e64 s3, 0, v12
	s_delay_alu instid0(VALU_DEP_1) | instskip(NEXT) | instid1(VALU_DEP_3)
	v_cndmask_b32_e64 v9, v9, v10, s3
	v_cmp_lt_f32_e64 s3, 0, v13
	s_delay_alu instid0(VALU_DEP_1) | instskip(NEXT) | instid1(VALU_DEP_1)
	v_cndmask_b32_e64 v9, v9, v11, s3
	v_mul_f32_e32 v10, 0x37800000, v9
	s_delay_alu instid0(VALU_DEP_1) | instskip(SKIP_1) | instid1(VALU_DEP_2)
	v_cndmask_b32_e32 v9, v9, v10, vcc_lo
	v_cmp_class_f32_e64 vcc_lo, v5, 0x260
	v_cndmask_b32_e32 v5, v9, v5, vcc_lo
	s_and_not1_b32 vcc_lo, exec_lo, s19
	s_cbranch_vccnz .LBB100_5
; %bb.4:                                ;   in Loop: Header=BB100_3 Depth=1
	global_load_u16 v9, v[1:2], off offset:-2
	s_waitcnt vmcnt(0)
	v_lshlrev_b32_e32 v9, 16, v9
	s_delay_alu instid0(VALU_DEP_1)
	v_add_f32_e32 v5, v5, v9
.LBB100_5:                              ;   in Loop: Header=BB100_3 Depth=1
	v_mul_f32_e32 v9, 0x3fb8aa3b, v6
	s_delay_alu instid0(VALU_DEP_1) | instskip(SKIP_2) | instid1(VALU_DEP_2)
	v_cmp_gt_f32_e32 vcc_lo, 0xc2fc0000, v9
	v_cndmask_b32_e64 v10, 0, 0x42800000, vcc_lo
	v_cndmask_b32_e64 v9, 1.0, 0x1f800000, vcc_lo
	v_fmac_f32_e32 v10, 0x3fb8aa3b, v6
	s_delay_alu instid0(VALU_DEP_1) | instskip(SKIP_2) | instid1(VALU_DEP_1)
	v_exp_f32_e32 v10, v10
	s_waitcnt_depctr 0xfff
	v_fma_f32 v9, v10, v9, 1.0
	v_cmp_gt_f32_e32 vcc_lo, 0x800000, v9
	v_cndmask_b32_e64 v10, 1.0, 0x4f800000, vcc_lo
	s_delay_alu instid0(VALU_DEP_1) | instskip(SKIP_2) | instid1(VALU_DEP_3)
	v_mul_f32_e32 v9, v9, v10
	v_cndmask_b32_e64 v10, 0, 0x42000000, vcc_lo
	v_cmp_lt_f32_e32 vcc_lo, 0x41a00000, v6
	v_log_f32_e32 v9, v9
	s_waitcnt_depctr 0xfff
	v_sub_f32_e32 v9, v9, v10
	s_delay_alu instid0(VALU_DEP_1) | instskip(NEXT) | instid1(VALU_DEP_1)
	v_mul_f32_e32 v9, 0x3f317218, v9
	v_cndmask_b32_e32 v6, v9, v6, vcc_lo
	s_delay_alu instid0(VALU_DEP_1) | instskip(SKIP_1) | instid1(VALU_DEP_2)
	v_mul_f32_e32 v9, 0x4f800000, v6
	v_cmp_gt_f32_e32 vcc_lo, 0xf800000, v6
	v_cndmask_b32_e32 v6, v6, v9, vcc_lo
	s_delay_alu instid0(VALU_DEP_1) | instskip(SKIP_3) | instid1(VALU_DEP_2)
	v_sqrt_f32_e32 v9, v6
	s_waitcnt_depctr 0xfff
	v_add_nc_u32_e32 v10, -1, v9
	v_add_nc_u32_e32 v11, 1, v9
	v_fma_f32 v12, -v10, v9, v6
	s_delay_alu instid0(VALU_DEP_2) | instskip(NEXT) | instid1(VALU_DEP_2)
	v_fma_f32 v13, -v11, v9, v6
	v_cmp_ge_f32_e64 s3, 0, v12
	s_delay_alu instid0(VALU_DEP_1) | instskip(NEXT) | instid1(VALU_DEP_3)
	v_cndmask_b32_e64 v9, v9, v10, s3
	v_cmp_lt_f32_e64 s3, 0, v13
	s_delay_alu instid0(VALU_DEP_1) | instskip(NEXT) | instid1(VALU_DEP_1)
	v_cndmask_b32_e64 v9, v9, v11, s3
	v_mul_f32_e32 v10, 0x37800000, v9
	s_delay_alu instid0(VALU_DEP_1) | instskip(SKIP_1) | instid1(VALU_DEP_2)
	v_cndmask_b32_e32 v9, v9, v10, vcc_lo
	v_cmp_class_f32_e64 vcc_lo, v6, 0x260
	v_cndmask_b32_e32 v6, v9, v6, vcc_lo
	s_and_not1_b32 vcc_lo, exec_lo, s19
	s_cbranch_vccnz .LBB100_2
; %bb.6:                                ;   in Loop: Header=BB100_3 Depth=1
	global_load_u16 v9, v[1:2], off
	s_waitcnt vmcnt(0)
	v_lshlrev_b32_e32 v9, 16, v9
	s_delay_alu instid0(VALU_DEP_1)
	v_add_f32_e32 v6, v6, v9
	s_branch .LBB100_2
.LBB100_7:
	s_or_b32 exec_lo, exec_lo, s18
	v_lshl_add_u32 v1, s14, 1, v0
	s_mov_b32 s18, exec_lo
	s_delay_alu instid0(VALU_DEP_1)
	v_cmpx_gt_i32_e64 s12, v1
	s_cbranch_execz .LBB100_12
; %bb.8:
	s_load_b32 s3, s[0:1], 0x44
	s_lshl_b64 s[16:17], s[16:17], 2
	v_lshlrev_b32_e32 v2, 2, v0
	s_add_u32 s4, s4, s16
	s_addc_u32 s5, s5, s17
	s_cmp_lg_u64 s[6:7], 0
	s_mov_b32 s19, 0
	s_cselect_b32 s16, -1, 0
	s_lshl_b32 s17, s14, 3
	s_delay_alu instid0(SALU_CYCLE_1) | instskip(SKIP_2) | instid1(SALU_CYCLE_1)
	v_add3_u32 v3, 0, s17, v2
	s_waitcnt lgkmcnt(0)
	s_and_b32 s17, s3, 0xffff
	s_lshl_b32 s20, s17, 2
	s_branch .LBB100_10
.LBB100_9:                              ;   in Loop: Header=BB100_10 Depth=1
	v_add_nc_u32_e32 v1, s17, v1
	v_add_nc_u32_e32 v3, s20, v3
	s_delay_alu instid0(VALU_DEP_2) | instskip(SKIP_1) | instid1(SALU_CYCLE_1)
	v_cmp_le_i32_e32 vcc_lo, s12, v1
	s_or_b32 s19, vcc_lo, s19
	s_and_not1_b32 exec_lo, exec_lo, s19
	s_cbranch_execz .LBB100_12
.LBB100_10:                             ; =>This Inner Loop Header: Depth=1
	v_ashrrev_i32_e32 v2, 31, v1
	s_delay_alu instid0(VALU_DEP_1) | instskip(NEXT) | instid1(VALU_DEP_1)
	v_lshlrev_b64 v[4:5], 2, v[1:2]
	v_add_co_u32 v4, vcc_lo, s4, v4
	s_delay_alu instid0(VALU_DEP_2) | instskip(SKIP_3) | instid1(VALU_DEP_1)
	v_add_co_ci_u32_e32 v5, vcc_lo, s5, v5, vcc_lo
	global_load_b32 v4, v[4:5], off
	s_waitcnt vmcnt(0)
	v_mul_f32_e32 v5, 0x3fb8aa3b, v4
	v_cmp_gt_f32_e32 vcc_lo, 0xc2fc0000, v5
	v_cndmask_b32_e64 v5, 0, 0x42800000, vcc_lo
	v_cndmask_b32_e64 v6, 1.0, 0x1f800000, vcc_lo
	s_delay_alu instid0(VALU_DEP_2) | instskip(NEXT) | instid1(VALU_DEP_1)
	v_fmac_f32_e32 v5, 0x3fb8aa3b, v4
	v_exp_f32_e32 v5, v5
	s_waitcnt_depctr 0xfff
	v_fma_f32 v5, v5, v6, 1.0
	s_delay_alu instid0(VALU_DEP_1) | instskip(SKIP_1) | instid1(VALU_DEP_1)
	v_cmp_gt_f32_e32 vcc_lo, 0x800000, v5
	v_cndmask_b32_e64 v6, 1.0, 0x4f800000, vcc_lo
	v_mul_f32_e32 v5, v5, v6
	v_cndmask_b32_e64 v6, 0, 0x42000000, vcc_lo
	v_cmp_lt_f32_e32 vcc_lo, 0x41a00000, v4
	s_delay_alu instid0(VALU_DEP_3) | instskip(SKIP_2) | instid1(VALU_DEP_1)
	v_log_f32_e32 v5, v5
	s_waitcnt_depctr 0xfff
	v_sub_f32_e32 v5, v5, v6
	v_mul_f32_e32 v5, 0x3f317218, v5
	s_delay_alu instid0(VALU_DEP_1) | instskip(NEXT) | instid1(VALU_DEP_1)
	v_cndmask_b32_e32 v4, v5, v4, vcc_lo
	v_mul_f32_e32 v5, 0x4f800000, v4
	v_cmp_gt_f32_e32 vcc_lo, 0xf800000, v4
	s_delay_alu instid0(VALU_DEP_2) | instskip(NEXT) | instid1(VALU_DEP_1)
	v_cndmask_b32_e32 v4, v4, v5, vcc_lo
	v_sqrt_f32_e32 v5, v4
	s_waitcnt_depctr 0xfff
	v_add_nc_u32_e32 v6, -1, v5
	v_add_nc_u32_e32 v7, 1, v5
	s_delay_alu instid0(VALU_DEP_2) | instskip(NEXT) | instid1(VALU_DEP_2)
	v_fma_f32 v8, -v6, v5, v4
	v_fma_f32 v9, -v7, v5, v4
	s_delay_alu instid0(VALU_DEP_2) | instskip(NEXT) | instid1(VALU_DEP_1)
	v_cmp_ge_f32_e64 s3, 0, v8
	v_cndmask_b32_e64 v5, v5, v6, s3
	s_delay_alu instid0(VALU_DEP_3) | instskip(NEXT) | instid1(VALU_DEP_1)
	v_cmp_lt_f32_e64 s3, 0, v9
	v_cndmask_b32_e64 v5, v5, v7, s3
	s_delay_alu instid0(VALU_DEP_1) | instskip(NEXT) | instid1(VALU_DEP_1)
	v_mul_f32_e32 v6, 0x37800000, v5
	v_cndmask_b32_e32 v5, v5, v6, vcc_lo
	v_cmp_class_f32_e64 vcc_lo, v4, 0x260
	s_delay_alu instid0(VALU_DEP_2)
	v_cndmask_b32_e32 v4, v5, v4, vcc_lo
	s_and_not1_b32 vcc_lo, exec_lo, s16
	ds_store_b32 v3, v4
	s_cbranch_vccnz .LBB100_9
; %bb.11:                               ;   in Loop: Header=BB100_10 Depth=1
	v_lshlrev_b64 v[5:6], 1, v[1:2]
	s_delay_alu instid0(VALU_DEP_1) | instskip(NEXT) | instid1(VALU_DEP_2)
	v_add_co_u32 v5, vcc_lo, s6, v5
	v_add_co_ci_u32_e32 v6, vcc_lo, s7, v6, vcc_lo
	global_load_u16 v2, v[5:6], off
	s_waitcnt vmcnt(0)
	v_lshlrev_b32_e32 v2, 16, v2
	s_delay_alu instid0(VALU_DEP_1)
	v_add_f32_e32 v2, v4, v2
	ds_store_b32 v3, v2
	s_branch .LBB100_9
.LBB100_12:
	s_or_b32 exec_lo, exec_lo, s18
	s_cmp_lt_i32 s13, 1
	s_waitcnt lgkmcnt(0)
	s_barrier
	buffer_gl0_inv
	s_cbranch_scc1 .LBB100_21
; %bb.13:
	s_add_u32 s4, s0, 56
	s_addc_u32 s5, s1, 0
	v_dual_mov_b32 v6, 0xff800000 :: v_dual_lshlrev_b32 v3, 1, v0
	v_lshl_add_u32 v4, v0, 3, 0
	v_dual_mov_b32 v5, 0 :: v_dual_mov_b32 v2, 0
	v_mov_b32_e32 v1, 0
	s_cmp_lg_u64 s[6:7], 0
	s_mov_b32 s18, 0
	s_cselect_b32 s12, -1, 0
	s_mov_b32 s19, 0x76543210
	s_branch .LBB100_15
.LBB100_14:                             ;   in Loop: Header=BB100_15 Depth=1
	v_cmp_eq_u32_e32 vcc_lo, s18, v0
	s_delay_alu instid0(VALU_DEP_2)
	s_lshl_b32 s3, s16, 2
	s_add_i32 s18, s18, 1
	s_add_i32 s3, s3, 0
	s_cmp_eq_u32 s18, s13
	v_cndmask_b32_e64 v1, v1, s16, vcc_lo
	v_dual_mov_b32 v7, s3 :: v_dual_cndmask_b32 v2, v2, v9
	ds_store_b32 v7, v6
	s_cbranch_scc1 .LBB100_22
.LBB100_15:                             ; =>This Loop Header: Depth=1
                                        ;     Child Loop BB100_17 Depth 2
	v_dual_mov_b32 v7, s18 :: v_dual_mov_b32 v8, 0xff800000
	s_and_saveexec_b32 s16, s2
	s_cbranch_execz .LBB100_19
; %bb.16:                               ;   in Loop: Header=BB100_15 Depth=1
	s_load_b32 s3, s[4:5], 0xc
	v_dual_mov_b32 v7, s18 :: v_dual_mov_b32 v8, 0xff800000
	v_dual_mov_b32 v9, v4 :: v_dual_mov_b32 v10, v3
	v_mov_b32_e32 v11, v0
	s_mov_b32 s21, 0
	s_waitcnt lgkmcnt(0)
	s_and_b32 s17, s3, 0xffff
	s_delay_alu instid0(SALU_CYCLE_1)
	s_lshl_b32 s20, s17, 1
	s_lshl_b32 s22, s17, 3
	.p2align	6
.LBB100_17:                             ;   Parent Loop BB100_15 Depth=1
                                        ; =>  This Inner Loop Header: Depth=2
	ds_load_b64 v[12:13], v9
	v_add_nc_u32_e32 v9, s22, v9
	v_add_nc_u32_e32 v11, s17, v11
	s_delay_alu instid0(VALU_DEP_1) | instskip(NEXT) | instid1(VALU_DEP_1)
	v_cmp_le_i32_e64 s3, s14, v11
	s_or_b32 s21, s3, s21
	s_waitcnt lgkmcnt(0)
	v_cmp_gt_f32_e32 vcc_lo, v12, v8
	v_cndmask_b32_e32 v8, v8, v12, vcc_lo
	v_add_nc_u32_e32 v12, 1, v10
	v_cndmask_b32_e32 v7, v7, v10, vcc_lo
	s_delay_alu instid0(VALU_DEP_3) | instskip(SKIP_1) | instid1(VALU_DEP_3)
	v_cmp_gt_f32_e32 vcc_lo, v13, v8
	v_cndmask_b32_e32 v8, v8, v13, vcc_lo
	v_dual_cndmask_b32 v7, v7, v12 :: v_dual_add_nc_u32 v10, s20, v10
	s_and_not1_b32 exec_lo, exec_lo, s21
	s_cbranch_execnz .LBB100_17
; %bb.18:                               ;   in Loop: Header=BB100_15 Depth=1
	s_or_b32 exec_lo, exec_lo, s21
.LBB100_19:                             ;   in Loop: Header=BB100_15 Depth=1
	s_delay_alu instid0(SALU_CYCLE_1)
	s_or_b32 exec_lo, exec_lo, s16
	;;#ASMSTART
	v_max_f32 v9, v8, v8 quad_perm:[1,0,3,2] row_mask:0xf bank_mask:0xf bound_ctrl:1
	;;#ASMEND
	;;#ASMSTART
	v_max_f32 v10, v9, v9 quad_perm:[2,3,0,1] row_mask:0xf bank_mask:0xf bound_ctrl:1
	;;#ASMEND
	;;#ASMSTART
	v_max_f32 v9, v10, v10 row_half_mirror row_mask:0xf bank_mask:0xf bound_ctrl:1
	;;#ASMEND
	;;#ASMSTART
	v_max_f32 v10, v9, v9 row_mirror row_mask:0xf bank_mask:0xf bound_ctrl:1
	;;#ASMEND
	v_permlanex16_b32 v9, v10, s19, 0xfedcba98 op_sel:[1,1]
	s_delay_alu instid0(VALU_DEP_1) | instskip(NEXT) | instid1(VALU_DEP_1)
	v_dual_max_f32 v10, v10, v10 :: v_dual_max_f32 v9, v9, v9
	v_max_f32_e32 v9, v10, v9
	s_delay_alu instid0(VALU_DEP_1)
	v_cmp_eq_f32_e32 vcc_lo, v8, v9
	s_ctz_i32_b32 s3, vcc_lo
	s_cmp_lg_u32 vcc_lo, 0
	s_cselect_b32 s3, s3, 0
	s_and_b32 vcc_lo, exec_lo, s12
	v_readlane_b32 s16, v7, s3
	s_cbranch_vccz .LBB100_14
; %bb.20:                               ;   in Loop: Header=BB100_15 Depth=1
	s_delay_alu instid0(VALU_DEP_1) | instskip(NEXT) | instid1(SALU_CYCLE_1)
	s_ashr_i32 s17, s16, 31
	s_lshl_b64 s[20:21], s[16:17], 1
	s_delay_alu instid0(SALU_CYCLE_1) | instskip(SKIP_4) | instid1(VALU_DEP_1)
	s_add_u32 s20, s6, s20
	s_addc_u32 s21, s7, s21
	global_load_u16 v7, v5, s[20:21]
	s_waitcnt vmcnt(0)
	v_lshlrev_b32_e32 v7, 16, v7
	v_sub_f32_e32 v9, v9, v7
	s_branch .LBB100_14
.LBB100_21:
	v_dual_mov_b32 v2, 0 :: v_dual_mov_b32 v1, 0
.LBB100_22:
	s_mov_b32 s2, exec_lo
	v_cmpx_gt_i32_e64 s13, v0
	s_cbranch_execz .LBB100_25
; %bb.23:
	s_clause 0x2
	s_load_b32 s4, s[0:1], 0x34
	s_load_b64 s[2:3], s[0:1], 0x20
	s_load_b32 s0, s[0:1], 0x44
	s_ashr_i32 s1, s15, 31
	s_waitcnt lgkmcnt(0)
	v_mul_f32_e32 v2, s4, v2
	s_mul_i32 s3, s15, s3
	s_mul_hi_u32 s4, s15, s2
	s_mul_i32 s5, s1, s2
	s_add_i32 s3, s4, s3
	s_mul_i32 s1, s15, s2
	s_and_b32 s2, s0, 0xffff
	s_add_i32 s3, s3, s5
	s_mov_b32 s4, 0
	.p2align	6
.LBB100_24:                             ; =>This Inner Loop Header: Depth=1
	v_ashrrev_i32_e32 v4, 31, v0
	v_add_co_u32 v3, vcc_lo, s1, v0
	v_add_nc_u32_e32 v0, s2, v0
	s_delay_alu instid0(VALU_DEP_3) | instskip(NEXT) | instid1(VALU_DEP_2)
	v_add_co_ci_u32_e32 v4, vcc_lo, s3, v4, vcc_lo
	v_cmp_le_i32_e32 vcc_lo, s13, v0
	s_delay_alu instid0(VALU_DEP_2) | instskip(SKIP_1) | instid1(VALU_DEP_1)
	v_lshlrev_b64 v[3:4], 2, v[3:4]
	s_or_b32 s4, vcc_lo, s4
	v_add_co_u32 v5, s0, s8, v3
	s_delay_alu instid0(VALU_DEP_1) | instskip(SKIP_1) | instid1(VALU_DEP_1)
	v_add_co_ci_u32_e64 v6, s0, s9, v4, s0
	v_add_co_u32 v3, s0, s10, v3
	v_add_co_ci_u32_e64 v4, s0, s11, v4, s0
	global_store_b32 v[5:6], v2, off
	global_store_b32 v[3:4], v1, off
	s_and_not1_b32 exec_lo, exec_lo, s4
	s_cbranch_execnz .LBB100_24
.LBB100_25:
	s_nop 0
	s_sendmsg sendmsg(MSG_DEALLOC_VGPRS)
	s_endpgm
	.section	.rodata,"a",@progbits
	.p2align	6, 0x0
	.amdhsa_kernel _ZN5aiter20topk_softplus_kernelIf12hip_bfloat16Dv2_fLb0ELi0EEEvPKT_PKT0_PfPimiiif
		.amdhsa_group_segment_fixed_size 0
		.amdhsa_private_segment_fixed_size 0
		.amdhsa_kernarg_size 312
		.amdhsa_user_sgpr_count 15
		.amdhsa_user_sgpr_dispatch_ptr 0
		.amdhsa_user_sgpr_queue_ptr 0
		.amdhsa_user_sgpr_kernarg_segment_ptr 1
		.amdhsa_user_sgpr_dispatch_id 0
		.amdhsa_user_sgpr_private_segment_size 0
		.amdhsa_wavefront_size32 1
		.amdhsa_uses_dynamic_stack 0
		.amdhsa_enable_private_segment 0
		.amdhsa_system_sgpr_workgroup_id_x 1
		.amdhsa_system_sgpr_workgroup_id_y 0
		.amdhsa_system_sgpr_workgroup_id_z 0
		.amdhsa_system_sgpr_workgroup_info 0
		.amdhsa_system_vgpr_workitem_id 0
		.amdhsa_next_free_vgpr 14
		.amdhsa_next_free_sgpr 24
		.amdhsa_reserve_vcc 1
		.amdhsa_float_round_mode_32 0
		.amdhsa_float_round_mode_16_64 0
		.amdhsa_float_denorm_mode_32 3
		.amdhsa_float_denorm_mode_16_64 3
		.amdhsa_dx10_clamp 1
		.amdhsa_ieee_mode 1
		.amdhsa_fp16_overflow 0
		.amdhsa_workgroup_processor_mode 1
		.amdhsa_memory_ordered 1
		.amdhsa_forward_progress 0
		.amdhsa_shared_vgpr_count 0
		.amdhsa_exception_fp_ieee_invalid_op 0
		.amdhsa_exception_fp_denorm_src 0
		.amdhsa_exception_fp_ieee_div_zero 0
		.amdhsa_exception_fp_ieee_overflow 0
		.amdhsa_exception_fp_ieee_underflow 0
		.amdhsa_exception_fp_ieee_inexact 0
		.amdhsa_exception_int_div_zero 0
	.end_amdhsa_kernel
	.section	.text._ZN5aiter20topk_softplus_kernelIf12hip_bfloat16Dv2_fLb0ELi0EEEvPKT_PKT0_PfPimiiif,"axG",@progbits,_ZN5aiter20topk_softplus_kernelIf12hip_bfloat16Dv2_fLb0ELi0EEEvPKT_PKT0_PfPimiiif,comdat
.Lfunc_end100:
	.size	_ZN5aiter20topk_softplus_kernelIf12hip_bfloat16Dv2_fLb0ELi0EEEvPKT_PKT0_PfPimiiif, .Lfunc_end100-_ZN5aiter20topk_softplus_kernelIf12hip_bfloat16Dv2_fLb0ELi0EEEvPKT_PKT0_PfPimiiif
                                        ; -- End function
	.section	.AMDGPU.csdata,"",@progbits
; Kernel info:
; codeLenInByte = 2168
; NumSgprs: 26
; NumVgprs: 14
; ScratchSize: 0
; MemoryBound: 0
; FloatMode: 240
; IeeeMode: 1
; LDSByteSize: 0 bytes/workgroup (compile time only)
; SGPRBlocks: 3
; VGPRBlocks: 1
; NumSGPRsForWavesPerEU: 26
; NumVGPRsForWavesPerEU: 14
; Occupancy: 16
; WaveLimiterHint : 0
; COMPUTE_PGM_RSRC2:SCRATCH_EN: 0
; COMPUTE_PGM_RSRC2:USER_SGPR: 15
; COMPUTE_PGM_RSRC2:TRAP_HANDLER: 0
; COMPUTE_PGM_RSRC2:TGID_X_EN: 1
; COMPUTE_PGM_RSRC2:TGID_Y_EN: 0
; COMPUTE_PGM_RSRC2:TGID_Z_EN: 0
; COMPUTE_PGM_RSRC2:TIDIG_COMP_CNT: 0
	.section	.text._ZN5aiter20topk_softplus_kernelIf12hip_bfloat16Dv1_fLb1ELi0EEEvPKT_PKT0_PfPimiiif,"axG",@progbits,_ZN5aiter20topk_softplus_kernelIf12hip_bfloat16Dv1_fLb1ELi0EEEvPKT_PKT0_PfPimiiif,comdat
	.protected	_ZN5aiter20topk_softplus_kernelIf12hip_bfloat16Dv1_fLb1ELi0EEEvPKT_PKT0_PfPimiiif ; -- Begin function _ZN5aiter20topk_softplus_kernelIf12hip_bfloat16Dv1_fLb1ELi0EEEvPKT_PKT0_PfPimiiif
	.globl	_ZN5aiter20topk_softplus_kernelIf12hip_bfloat16Dv1_fLb1ELi0EEEvPKT_PKT0_PfPimiiif
	.p2align	8
	.type	_ZN5aiter20topk_softplus_kernelIf12hip_bfloat16Dv1_fLb1ELi0EEEvPKT_PKT0_PfPimiiif,@function
_ZN5aiter20topk_softplus_kernelIf12hip_bfloat16Dv1_fLb1ELi0EEEvPKT_PKT0_PfPimiiif: ; @_ZN5aiter20topk_softplus_kernelIf12hip_bfloat16Dv1_fLb1ELi0EEEvPKT_PKT0_PfPimiiif
; %bb.0:
	s_clause 0x1
	s_load_b64 s[12:13], s[0:1], 0x28
	s_load_b256 s[4:11], s[0:1], 0x0
	v_lshl_add_u32 v3, v0, 2, 0
	s_waitcnt lgkmcnt(0)
	s_mul_i32 s16, s15, s12
	v_cmp_gt_i32_e64 s2, s12, v0
	s_ashr_i32 s17, s16, 31
	s_delay_alu instid0(SALU_CYCLE_1) | instskip(NEXT) | instid1(SALU_CYCLE_1)
	s_lshl_b64 s[16:17], s[16:17], 2
	s_add_u32 s4, s4, s16
	s_addc_u32 s5, s5, s17
	s_and_saveexec_b32 s14, s2
	s_cbranch_execz .LBB101_5
; %bb.1:
	s_load_b32 s3, s[0:1], 0x44
	s_cmp_lg_u64 s[6:7], 0
	v_lshl_add_u32 v4, v0, 2, 0
	v_mov_b32_e32 v1, v0
	s_cselect_b32 s16, -1, 0
	s_mov_b32 s18, 0
	s_waitcnt lgkmcnt(0)
	s_and_b32 s17, s3, 0xffff
	s_delay_alu instid0(SALU_CYCLE_1)
	s_lshl_b32 s19, s17, 2
	s_branch .LBB101_3
.LBB101_2:                              ;   in Loop: Header=BB101_3 Depth=1
	v_add_nc_u32_e32 v1, s17, v1
	ds_store_b32 v4, v5
	v_add_nc_u32_e32 v4, s19, v4
	v_cmp_le_i32_e32 vcc_lo, s12, v1
	s_or_b32 s18, vcc_lo, s18
	s_delay_alu instid0(SALU_CYCLE_1)
	s_and_not1_b32 exec_lo, exec_lo, s18
	s_cbranch_execz .LBB101_5
.LBB101_3:                              ; =>This Inner Loop Header: Depth=1
	v_ashrrev_i32_e32 v2, 31, v1
	s_delay_alu instid0(VALU_DEP_1) | instskip(NEXT) | instid1(VALU_DEP_1)
	v_lshlrev_b64 v[5:6], 2, v[1:2]
	v_add_co_u32 v5, vcc_lo, s4, v5
	s_delay_alu instid0(VALU_DEP_2) | instskip(SKIP_3) | instid1(VALU_DEP_1)
	v_add_co_ci_u32_e32 v6, vcc_lo, s5, v6, vcc_lo
	global_load_b32 v5, v[5:6], off
	s_waitcnt vmcnt(0)
	v_mul_f32_e32 v6, 0x3fb8aa3b, v5
	v_cmp_gt_f32_e32 vcc_lo, 0xc2fc0000, v6
	v_cndmask_b32_e64 v6, 0, 0x42800000, vcc_lo
	v_cndmask_b32_e64 v7, 1.0, 0x1f800000, vcc_lo
	s_delay_alu instid0(VALU_DEP_2) | instskip(NEXT) | instid1(VALU_DEP_1)
	v_fmac_f32_e32 v6, 0x3fb8aa3b, v5
	v_exp_f32_e32 v6, v6
	s_waitcnt_depctr 0xfff
	v_fma_f32 v6, v6, v7, 1.0
	s_delay_alu instid0(VALU_DEP_1) | instskip(SKIP_1) | instid1(VALU_DEP_1)
	v_cmp_gt_f32_e32 vcc_lo, 0x800000, v6
	v_cndmask_b32_e64 v7, 1.0, 0x4f800000, vcc_lo
	v_mul_f32_e32 v6, v6, v7
	v_cndmask_b32_e64 v7, 0, 0x42000000, vcc_lo
	v_cmp_lt_f32_e32 vcc_lo, 0x41a00000, v5
	s_delay_alu instid0(VALU_DEP_3) | instskip(SKIP_2) | instid1(VALU_DEP_1)
	v_log_f32_e32 v6, v6
	s_waitcnt_depctr 0xfff
	v_sub_f32_e32 v6, v6, v7
	v_mul_f32_e32 v6, 0x3f317218, v6
	s_delay_alu instid0(VALU_DEP_1) | instskip(NEXT) | instid1(VALU_DEP_1)
	v_cndmask_b32_e32 v5, v6, v5, vcc_lo
	v_mul_f32_e32 v6, 0x4f800000, v5
	v_cmp_gt_f32_e32 vcc_lo, 0xf800000, v5
	s_delay_alu instid0(VALU_DEP_2) | instskip(NEXT) | instid1(VALU_DEP_1)
	v_cndmask_b32_e32 v5, v5, v6, vcc_lo
	v_sqrt_f32_e32 v6, v5
	s_waitcnt_depctr 0xfff
	v_add_nc_u32_e32 v7, -1, v6
	v_add_nc_u32_e32 v8, 1, v6
	s_delay_alu instid0(VALU_DEP_2) | instskip(NEXT) | instid1(VALU_DEP_2)
	v_fma_f32 v9, -v7, v6, v5
	v_fma_f32 v10, -v8, v6, v5
	s_delay_alu instid0(VALU_DEP_2) | instskip(NEXT) | instid1(VALU_DEP_1)
	v_cmp_ge_f32_e64 s3, 0, v9
	v_cndmask_b32_e64 v6, v6, v7, s3
	s_delay_alu instid0(VALU_DEP_3) | instskip(NEXT) | instid1(VALU_DEP_1)
	v_cmp_lt_f32_e64 s3, 0, v10
	v_cndmask_b32_e64 v6, v6, v8, s3
	s_delay_alu instid0(VALU_DEP_1) | instskip(NEXT) | instid1(VALU_DEP_1)
	v_mul_f32_e32 v7, 0x37800000, v6
	v_cndmask_b32_e32 v6, v6, v7, vcc_lo
	v_cmp_class_f32_e64 vcc_lo, v5, 0x260
	s_delay_alu instid0(VALU_DEP_2)
	v_cndmask_b32_e32 v5, v6, v5, vcc_lo
	s_and_not1_b32 vcc_lo, exec_lo, s16
	s_cbranch_vccnz .LBB101_2
; %bb.4:                                ;   in Loop: Header=BB101_3 Depth=1
	v_lshlrev_b64 v[6:7], 1, v[1:2]
	s_delay_alu instid0(VALU_DEP_1) | instskip(NEXT) | instid1(VALU_DEP_2)
	v_add_co_u32 v6, vcc_lo, s6, v6
	v_add_co_ci_u32_e32 v7, vcc_lo, s7, v7, vcc_lo
	global_load_u16 v2, v[6:7], off
	s_waitcnt vmcnt(0)
	v_lshlrev_b32_e32 v2, 16, v2
	s_delay_alu instid0(VALU_DEP_1)
	v_add_f32_e32 v5, v5, v2
	s_branch .LBB101_2
.LBB101_5:
	s_or_b32 exec_lo, exec_lo, s14
	v_add_nc_u32_e32 v1, s12, v0
	s_mov_b32 s14, exec_lo
	s_delay_alu instid0(VALU_DEP_1)
	v_cmpx_gt_i32_e64 s12, v1
	s_cbranch_execz .LBB101_10
; %bb.6:
	s_load_b32 s3, s[0:1], 0x44
	s_cmp_lg_u64 s[6:7], 0
	v_lshl_add_u32 v4, v1, 2, 0
	s_cselect_b32 s16, -1, 0
	s_mov_b32 s18, 0
	s_waitcnt lgkmcnt(0)
	s_and_b32 s17, s3, 0xffff
	s_delay_alu instid0(SALU_CYCLE_1)
	s_lshl_b32 s19, s17, 2
	s_branch .LBB101_8
.LBB101_7:                              ;   in Loop: Header=BB101_8 Depth=1
	v_add_nc_u32_e32 v1, s17, v1
	v_add_nc_u32_e32 v4, s19, v4
	s_delay_alu instid0(VALU_DEP_2) | instskip(SKIP_1) | instid1(SALU_CYCLE_1)
	v_cmp_le_i32_e32 vcc_lo, s12, v1
	s_or_b32 s18, vcc_lo, s18
	s_and_not1_b32 exec_lo, exec_lo, s18
	s_cbranch_execz .LBB101_10
.LBB101_8:                              ; =>This Inner Loop Header: Depth=1
	v_ashrrev_i32_e32 v2, 31, v1
	s_delay_alu instid0(VALU_DEP_1) | instskip(NEXT) | instid1(VALU_DEP_1)
	v_lshlrev_b64 v[5:6], 2, v[1:2]
	v_add_co_u32 v5, vcc_lo, s4, v5
	s_delay_alu instid0(VALU_DEP_2) | instskip(SKIP_3) | instid1(VALU_DEP_1)
	v_add_co_ci_u32_e32 v6, vcc_lo, s5, v6, vcc_lo
	global_load_b32 v5, v[5:6], off
	s_waitcnt vmcnt(0)
	v_mul_f32_e32 v6, 0x3fb8aa3b, v5
	v_cmp_gt_f32_e32 vcc_lo, 0xc2fc0000, v6
	v_cndmask_b32_e64 v6, 0, 0x42800000, vcc_lo
	v_cndmask_b32_e64 v7, 1.0, 0x1f800000, vcc_lo
	s_delay_alu instid0(VALU_DEP_2) | instskip(NEXT) | instid1(VALU_DEP_1)
	v_fmac_f32_e32 v6, 0x3fb8aa3b, v5
	v_exp_f32_e32 v6, v6
	s_waitcnt_depctr 0xfff
	v_fma_f32 v6, v6, v7, 1.0
	s_delay_alu instid0(VALU_DEP_1) | instskip(SKIP_1) | instid1(VALU_DEP_1)
	v_cmp_gt_f32_e32 vcc_lo, 0x800000, v6
	v_cndmask_b32_e64 v7, 1.0, 0x4f800000, vcc_lo
	v_mul_f32_e32 v6, v6, v7
	v_cndmask_b32_e64 v7, 0, 0x42000000, vcc_lo
	v_cmp_lt_f32_e32 vcc_lo, 0x41a00000, v5
	s_delay_alu instid0(VALU_DEP_3) | instskip(SKIP_2) | instid1(VALU_DEP_1)
	v_log_f32_e32 v6, v6
	s_waitcnt_depctr 0xfff
	v_sub_f32_e32 v6, v6, v7
	v_mul_f32_e32 v6, 0x3f317218, v6
	s_delay_alu instid0(VALU_DEP_1) | instskip(NEXT) | instid1(VALU_DEP_1)
	v_cndmask_b32_e32 v5, v6, v5, vcc_lo
	v_mul_f32_e32 v6, 0x4f800000, v5
	v_cmp_gt_f32_e32 vcc_lo, 0xf800000, v5
	s_delay_alu instid0(VALU_DEP_2) | instskip(NEXT) | instid1(VALU_DEP_1)
	v_cndmask_b32_e32 v5, v5, v6, vcc_lo
	v_sqrt_f32_e32 v6, v5
	s_waitcnt_depctr 0xfff
	v_add_nc_u32_e32 v7, -1, v6
	v_add_nc_u32_e32 v8, 1, v6
	s_delay_alu instid0(VALU_DEP_2) | instskip(NEXT) | instid1(VALU_DEP_2)
	v_fma_f32 v9, -v7, v6, v5
	v_fma_f32 v10, -v8, v6, v5
	s_delay_alu instid0(VALU_DEP_2) | instskip(NEXT) | instid1(VALU_DEP_1)
	v_cmp_ge_f32_e64 s3, 0, v9
	v_cndmask_b32_e64 v6, v6, v7, s3
	s_delay_alu instid0(VALU_DEP_3) | instskip(NEXT) | instid1(VALU_DEP_1)
	v_cmp_lt_f32_e64 s3, 0, v10
	v_cndmask_b32_e64 v6, v6, v8, s3
	s_delay_alu instid0(VALU_DEP_1) | instskip(NEXT) | instid1(VALU_DEP_1)
	v_mul_f32_e32 v7, 0x37800000, v6
	v_cndmask_b32_e32 v6, v6, v7, vcc_lo
	v_cmp_class_f32_e64 vcc_lo, v5, 0x260
	s_delay_alu instid0(VALU_DEP_2)
	v_cndmask_b32_e32 v5, v6, v5, vcc_lo
	s_and_not1_b32 vcc_lo, exec_lo, s16
	ds_store_b32 v4, v5
	s_cbranch_vccnz .LBB101_7
; %bb.9:                                ;   in Loop: Header=BB101_8 Depth=1
	v_lshlrev_b64 v[6:7], 1, v[1:2]
	s_delay_alu instid0(VALU_DEP_1) | instskip(NEXT) | instid1(VALU_DEP_2)
	v_add_co_u32 v6, vcc_lo, s6, v6
	v_add_co_ci_u32_e32 v7, vcc_lo, s7, v7, vcc_lo
	global_load_u16 v2, v[6:7], off
	s_waitcnt vmcnt(0)
	v_lshlrev_b32_e32 v2, 16, v2
	s_delay_alu instid0(VALU_DEP_1)
	v_add_f32_e32 v2, v5, v2
	ds_store_b32 v4, v2
	s_branch .LBB101_7
.LBB101_10:
	s_or_b32 exec_lo, exec_lo, s14
	v_mov_b32_e32 v2, 0
	s_cmp_lt_i32 s13, 1
	s_waitcnt lgkmcnt(0)
	s_barrier
	buffer_gl0_inv
	s_cbranch_scc1 .LBB101_19
; %bb.11:
	s_add_u32 s4, s0, 56
	s_addc_u32 s5, s1, 0
	v_dual_mov_b32 v2, 0 :: v_dual_mov_b32 v5, 0
	v_dual_mov_b32 v6, 0xff800000 :: v_dual_mov_b32 v1, 0
	v_mov_b32_e32 v4, 0
	s_cmp_lg_u64 s[6:7], 0
	s_mov_b32 s14, 0
	s_cselect_b32 s3, -1, 0
	s_mov_b32 s18, 0x76543210
	s_branch .LBB101_13
.LBB101_12:                             ;   in Loop: Header=BB101_13 Depth=1
	v_cmp_eq_u32_e32 vcc_lo, s14, v0
	s_delay_alu instid0(VALU_DEP_2) | instskip(NEXT) | instid1(VALU_DEP_2)
	s_lshl_b32 s17, s16, 2
	v_add_f32_e32 v4, v4, v9
	s_add_i32 s17, s17, 0
	s_add_i32 s14, s14, 1
	v_cndmask_b32_e64 v1, v1, s16, vcc_lo
	v_dual_mov_b32 v7, s17 :: v_dual_cndmask_b32 v2, v2, v9
	s_cmp_eq_u32 s14, s13
	ds_store_b32 v7, v6
	s_cbranch_scc1 .LBB101_20
.LBB101_13:                             ; =>This Loop Header: Depth=1
                                        ;     Child Loop BB101_15 Depth 2
	v_dual_mov_b32 v7, s14 :: v_dual_mov_b32 v8, 0xff800000
	s_and_saveexec_b32 s16, s2
	s_cbranch_execz .LBB101_17
; %bb.14:                               ;   in Loop: Header=BB101_13 Depth=1
	s_load_b32 s17, s[4:5], 0xc
	v_dual_mov_b32 v7, s14 :: v_dual_mov_b32 v8, 0xff800000
	v_dual_mov_b32 v9, v3 :: v_dual_mov_b32 v10, v0
	s_mov_b32 s19, 0
	s_waitcnt lgkmcnt(0)
	s_and_b32 s17, s17, 0xffff
	s_delay_alu instid0(SALU_CYCLE_1)
	s_lshl_b32 s20, s17, 2
.LBB101_15:                             ;   Parent Loop BB101_13 Depth=1
                                        ; =>  This Inner Loop Header: Depth=2
	ds_load_b32 v11, v9
	v_add_nc_u32_e32 v9, s20, v9
	s_waitcnt lgkmcnt(0)
	v_cmp_gt_f32_e32 vcc_lo, v11, v8
	v_dual_cndmask_b32 v8, v8, v11 :: v_dual_cndmask_b32 v7, v7, v10
	v_add_nc_u32_e32 v10, s17, v10
	s_delay_alu instid0(VALU_DEP_1) | instskip(SKIP_1) | instid1(SALU_CYCLE_1)
	v_cmp_le_i32_e32 vcc_lo, s12, v10
	s_or_b32 s19, vcc_lo, s19
	s_and_not1_b32 exec_lo, exec_lo, s19
	s_cbranch_execnz .LBB101_15
; %bb.16:                               ;   in Loop: Header=BB101_13 Depth=1
	s_or_b32 exec_lo, exec_lo, s19
.LBB101_17:                             ;   in Loop: Header=BB101_13 Depth=1
	s_delay_alu instid0(SALU_CYCLE_1)
	s_or_b32 exec_lo, exec_lo, s16
	;;#ASMSTART
	v_max_f32 v9, v8, v8 quad_perm:[1,0,3,2] row_mask:0xf bank_mask:0xf bound_ctrl:1
	;;#ASMEND
	;;#ASMSTART
	v_max_f32 v10, v9, v9 quad_perm:[2,3,0,1] row_mask:0xf bank_mask:0xf bound_ctrl:1
	;;#ASMEND
	;;#ASMSTART
	v_max_f32 v9, v10, v10 row_half_mirror row_mask:0xf bank_mask:0xf bound_ctrl:1
	;;#ASMEND
	;;#ASMSTART
	v_max_f32 v10, v9, v9 row_mirror row_mask:0xf bank_mask:0xf bound_ctrl:1
	;;#ASMEND
	v_permlanex16_b32 v9, v10, s18, 0xfedcba98 op_sel:[1,1]
	s_delay_alu instid0(VALU_DEP_1) | instskip(NEXT) | instid1(VALU_DEP_1)
	v_dual_max_f32 v10, v10, v10 :: v_dual_max_f32 v9, v9, v9
	v_max_f32_e32 v9, v10, v9
	s_delay_alu instid0(VALU_DEP_1)
	v_cmp_eq_f32_e32 vcc_lo, v8, v9
	s_ctz_i32_b32 s16, vcc_lo
	s_cmp_lg_u32 vcc_lo, 0
	s_cselect_b32 s16, s16, 0
	s_and_b32 vcc_lo, exec_lo, s3
	v_readlane_b32 s16, v7, s16
	s_cbranch_vccz .LBB101_12
; %bb.18:                               ;   in Loop: Header=BB101_13 Depth=1
	s_delay_alu instid0(VALU_DEP_1) | instskip(NEXT) | instid1(SALU_CYCLE_1)
	s_ashr_i32 s17, s16, 31
	s_lshl_b64 s[20:21], s[16:17], 1
	s_delay_alu instid0(SALU_CYCLE_1) | instskip(SKIP_4) | instid1(VALU_DEP_1)
	s_add_u32 s20, s6, s20
	s_addc_u32 s21, s7, s21
	global_load_u16 v7, v5, s[20:21]
	s_waitcnt vmcnt(0)
	v_lshlrev_b32_e32 v7, 16, v7
	v_sub_f32_e32 v9, v9, v7
	s_branch .LBB101_12
.LBB101_19:
	v_dual_mov_b32 v1, 0 :: v_dual_mov_b32 v4, 0
.LBB101_20:
	s_mov_b32 s2, exec_lo
	v_cmpx_gt_i32_e64 s13, v0
	s_cbranch_execz .LBB101_23
; %bb.21:
	s_clause 0x1
	s_load_b32 s2, s[0:1], 0x34
	s_load_b32 s3, s[0:1], 0x44
	v_max_f32_e32 v3, v4, v4
	s_load_b64 s[0:1], s[0:1], 0x20
	s_ashr_i32 s4, s15, 31
	s_delay_alu instid0(VALU_DEP_1) | instskip(SKIP_1) | instid1(VALU_DEP_1)
	v_max_f32_e32 v3, 0x1e3ce508, v3
	s_waitcnt lgkmcnt(0)
	v_div_scale_f32 v4, null, v3, v3, s2
	v_div_scale_f32 v7, vcc_lo, s2, v3, s2
	s_mul_i32 s1, s15, s1
	s_delay_alu instid0(VALU_DEP_2) | instskip(SKIP_4) | instid1(VALU_DEP_1)
	v_rcp_f32_e32 v5, v4
	s_mul_i32 s4, s4, s0
	s_and_b32 s3, s3, 0xffff
	s_waitcnt_depctr 0xfff
	v_fma_f32 v6, -v4, v5, 1.0
	v_fmac_f32_e32 v5, v6, v5
	s_delay_alu instid0(VALU_DEP_1) | instskip(NEXT) | instid1(VALU_DEP_1)
	v_mul_f32_e32 v6, v7, v5
	v_fma_f32 v8, -v4, v6, v7
	s_delay_alu instid0(VALU_DEP_1) | instskip(NEXT) | instid1(VALU_DEP_1)
	v_fmac_f32_e32 v6, v8, v5
	v_fma_f32 v4, -v4, v6, v7
	s_delay_alu instid0(VALU_DEP_1) | instskip(NEXT) | instid1(VALU_DEP_1)
	v_div_fmas_f32 v4, v4, v5, v6
	v_div_fixup_f32 v3, v4, v3, s2
	s_mul_hi_u32 s2, s15, s0
	s_delay_alu instid0(SALU_CYCLE_1) | instskip(SKIP_1) | instid1(VALU_DEP_1)
	s_add_i32 s1, s2, s1
	s_mul_i32 s2, s15, s0
	v_mul_f32_e32 v2, v2, v3
	s_add_i32 s1, s1, s4
	s_mov_b32 s4, 0
	.p2align	6
.LBB101_22:                             ; =>This Inner Loop Header: Depth=1
	v_ashrrev_i32_e32 v4, 31, v0
	v_add_co_u32 v3, vcc_lo, s2, v0
	v_add_nc_u32_e32 v0, s3, v0
	s_delay_alu instid0(VALU_DEP_3) | instskip(NEXT) | instid1(VALU_DEP_2)
	v_add_co_ci_u32_e32 v4, vcc_lo, s1, v4, vcc_lo
	v_cmp_le_i32_e32 vcc_lo, s13, v0
	s_delay_alu instid0(VALU_DEP_2) | instskip(SKIP_1) | instid1(VALU_DEP_1)
	v_lshlrev_b64 v[3:4], 2, v[3:4]
	s_or_b32 s4, vcc_lo, s4
	v_add_co_u32 v5, s0, s8, v3
	s_delay_alu instid0(VALU_DEP_1) | instskip(SKIP_1) | instid1(VALU_DEP_1)
	v_add_co_ci_u32_e64 v6, s0, s9, v4, s0
	v_add_co_u32 v3, s0, s10, v3
	v_add_co_ci_u32_e64 v4, s0, s11, v4, s0
	global_store_b32 v[5:6], v2, off
	global_store_b32 v[3:4], v1, off
	s_and_not1_b32 exec_lo, exec_lo, s4
	s_cbranch_execnz .LBB101_22
.LBB101_23:
	s_nop 0
	s_sendmsg sendmsg(MSG_DEALLOC_VGPRS)
	s_endpgm
	.section	.rodata,"a",@progbits
	.p2align	6, 0x0
	.amdhsa_kernel _ZN5aiter20topk_softplus_kernelIf12hip_bfloat16Dv1_fLb1ELi0EEEvPKT_PKT0_PfPimiiif
		.amdhsa_group_segment_fixed_size 0
		.amdhsa_private_segment_fixed_size 0
		.amdhsa_kernarg_size 312
		.amdhsa_user_sgpr_count 15
		.amdhsa_user_sgpr_dispatch_ptr 0
		.amdhsa_user_sgpr_queue_ptr 0
		.amdhsa_user_sgpr_kernarg_segment_ptr 1
		.amdhsa_user_sgpr_dispatch_id 0
		.amdhsa_user_sgpr_private_segment_size 0
		.amdhsa_wavefront_size32 1
		.amdhsa_uses_dynamic_stack 0
		.amdhsa_enable_private_segment 0
		.amdhsa_system_sgpr_workgroup_id_x 1
		.amdhsa_system_sgpr_workgroup_id_y 0
		.amdhsa_system_sgpr_workgroup_id_z 0
		.amdhsa_system_sgpr_workgroup_info 0
		.amdhsa_system_vgpr_workitem_id 0
		.amdhsa_next_free_vgpr 12
		.amdhsa_next_free_sgpr 22
		.amdhsa_reserve_vcc 1
		.amdhsa_float_round_mode_32 0
		.amdhsa_float_round_mode_16_64 0
		.amdhsa_float_denorm_mode_32 3
		.amdhsa_float_denorm_mode_16_64 3
		.amdhsa_dx10_clamp 1
		.amdhsa_ieee_mode 1
		.amdhsa_fp16_overflow 0
		.amdhsa_workgroup_processor_mode 1
		.amdhsa_memory_ordered 1
		.amdhsa_forward_progress 0
		.amdhsa_shared_vgpr_count 0
		.amdhsa_exception_fp_ieee_invalid_op 0
		.amdhsa_exception_fp_denorm_src 0
		.amdhsa_exception_fp_ieee_div_zero 0
		.amdhsa_exception_fp_ieee_overflow 0
		.amdhsa_exception_fp_ieee_underflow 0
		.amdhsa_exception_fp_ieee_inexact 0
		.amdhsa_exception_int_div_zero 0
	.end_amdhsa_kernel
	.section	.text._ZN5aiter20topk_softplus_kernelIf12hip_bfloat16Dv1_fLb1ELi0EEEvPKT_PKT0_PfPimiiif,"axG",@progbits,_ZN5aiter20topk_softplus_kernelIf12hip_bfloat16Dv1_fLb1ELi0EEEvPKT_PKT0_PfPimiiif,comdat
.Lfunc_end101:
	.size	_ZN5aiter20topk_softplus_kernelIf12hip_bfloat16Dv1_fLb1ELi0EEEvPKT_PKT0_PfPimiiif, .Lfunc_end101-_ZN5aiter20topk_softplus_kernelIf12hip_bfloat16Dv1_fLb1ELi0EEEvPKT_PKT0_PfPimiiif
                                        ; -- End function
	.section	.AMDGPU.csdata,"",@progbits
; Kernel info:
; codeLenInByte = 1864
; NumSgprs: 24
; NumVgprs: 12
; ScratchSize: 0
; MemoryBound: 0
; FloatMode: 240
; IeeeMode: 1
; LDSByteSize: 0 bytes/workgroup (compile time only)
; SGPRBlocks: 2
; VGPRBlocks: 1
; NumSGPRsForWavesPerEU: 24
; NumVGPRsForWavesPerEU: 12
; Occupancy: 16
; WaveLimiterHint : 0
; COMPUTE_PGM_RSRC2:SCRATCH_EN: 0
; COMPUTE_PGM_RSRC2:USER_SGPR: 15
; COMPUTE_PGM_RSRC2:TRAP_HANDLER: 0
; COMPUTE_PGM_RSRC2:TGID_X_EN: 1
; COMPUTE_PGM_RSRC2:TGID_Y_EN: 0
; COMPUTE_PGM_RSRC2:TGID_Z_EN: 0
; COMPUTE_PGM_RSRC2:TIDIG_COMP_CNT: 0
	.section	.text._ZN5aiter20topk_softplus_kernelIf12hip_bfloat16Dv1_fLb0ELi0EEEvPKT_PKT0_PfPimiiif,"axG",@progbits,_ZN5aiter20topk_softplus_kernelIf12hip_bfloat16Dv1_fLb0ELi0EEEvPKT_PKT0_PfPimiiif,comdat
	.protected	_ZN5aiter20topk_softplus_kernelIf12hip_bfloat16Dv1_fLb0ELi0EEEvPKT_PKT0_PfPimiiif ; -- Begin function _ZN5aiter20topk_softplus_kernelIf12hip_bfloat16Dv1_fLb0ELi0EEEvPKT_PKT0_PfPimiiif
	.globl	_ZN5aiter20topk_softplus_kernelIf12hip_bfloat16Dv1_fLb0ELi0EEEvPKT_PKT0_PfPimiiif
	.p2align	8
	.type	_ZN5aiter20topk_softplus_kernelIf12hip_bfloat16Dv1_fLb0ELi0EEEvPKT_PKT0_PfPimiiif,@function
_ZN5aiter20topk_softplus_kernelIf12hip_bfloat16Dv1_fLb0ELi0EEEvPKT_PKT0_PfPimiiif: ; @_ZN5aiter20topk_softplus_kernelIf12hip_bfloat16Dv1_fLb0ELi0EEEvPKT_PKT0_PfPimiiif
; %bb.0:
	s_clause 0x1
	s_load_b64 s[12:13], s[0:1], 0x28
	s_load_b256 s[4:11], s[0:1], 0x0
	v_lshl_add_u32 v3, v0, 2, 0
	s_waitcnt lgkmcnt(0)
	s_mul_i32 s16, s15, s12
	v_cmp_gt_i32_e64 s2, s12, v0
	s_ashr_i32 s17, s16, 31
	s_delay_alu instid0(SALU_CYCLE_1) | instskip(NEXT) | instid1(SALU_CYCLE_1)
	s_lshl_b64 s[16:17], s[16:17], 2
	s_add_u32 s4, s4, s16
	s_addc_u32 s5, s5, s17
	s_and_saveexec_b32 s14, s2
	s_cbranch_execz .LBB102_5
; %bb.1:
	s_load_b32 s3, s[0:1], 0x44
	s_cmp_lg_u64 s[6:7], 0
	v_lshl_add_u32 v4, v0, 2, 0
	v_mov_b32_e32 v1, v0
	s_cselect_b32 s16, -1, 0
	s_mov_b32 s18, 0
	s_waitcnt lgkmcnt(0)
	s_and_b32 s17, s3, 0xffff
	s_delay_alu instid0(SALU_CYCLE_1)
	s_lshl_b32 s19, s17, 2
	s_branch .LBB102_3
.LBB102_2:                              ;   in Loop: Header=BB102_3 Depth=1
	v_add_nc_u32_e32 v1, s17, v1
	ds_store_b32 v4, v5
	v_add_nc_u32_e32 v4, s19, v4
	v_cmp_le_i32_e32 vcc_lo, s12, v1
	s_or_b32 s18, vcc_lo, s18
	s_delay_alu instid0(SALU_CYCLE_1)
	s_and_not1_b32 exec_lo, exec_lo, s18
	s_cbranch_execz .LBB102_5
.LBB102_3:                              ; =>This Inner Loop Header: Depth=1
	v_ashrrev_i32_e32 v2, 31, v1
	s_delay_alu instid0(VALU_DEP_1) | instskip(NEXT) | instid1(VALU_DEP_1)
	v_lshlrev_b64 v[5:6], 2, v[1:2]
	v_add_co_u32 v5, vcc_lo, s4, v5
	s_delay_alu instid0(VALU_DEP_2) | instskip(SKIP_3) | instid1(VALU_DEP_1)
	v_add_co_ci_u32_e32 v6, vcc_lo, s5, v6, vcc_lo
	global_load_b32 v5, v[5:6], off
	s_waitcnt vmcnt(0)
	v_mul_f32_e32 v6, 0x3fb8aa3b, v5
	v_cmp_gt_f32_e32 vcc_lo, 0xc2fc0000, v6
	v_cndmask_b32_e64 v6, 0, 0x42800000, vcc_lo
	v_cndmask_b32_e64 v7, 1.0, 0x1f800000, vcc_lo
	s_delay_alu instid0(VALU_DEP_2) | instskip(NEXT) | instid1(VALU_DEP_1)
	v_fmac_f32_e32 v6, 0x3fb8aa3b, v5
	v_exp_f32_e32 v6, v6
	s_waitcnt_depctr 0xfff
	v_fma_f32 v6, v6, v7, 1.0
	s_delay_alu instid0(VALU_DEP_1) | instskip(SKIP_1) | instid1(VALU_DEP_1)
	v_cmp_gt_f32_e32 vcc_lo, 0x800000, v6
	v_cndmask_b32_e64 v7, 1.0, 0x4f800000, vcc_lo
	v_mul_f32_e32 v6, v6, v7
	v_cndmask_b32_e64 v7, 0, 0x42000000, vcc_lo
	v_cmp_lt_f32_e32 vcc_lo, 0x41a00000, v5
	s_delay_alu instid0(VALU_DEP_3) | instskip(SKIP_2) | instid1(VALU_DEP_1)
	v_log_f32_e32 v6, v6
	s_waitcnt_depctr 0xfff
	v_sub_f32_e32 v6, v6, v7
	v_mul_f32_e32 v6, 0x3f317218, v6
	s_delay_alu instid0(VALU_DEP_1) | instskip(NEXT) | instid1(VALU_DEP_1)
	v_cndmask_b32_e32 v5, v6, v5, vcc_lo
	v_mul_f32_e32 v6, 0x4f800000, v5
	v_cmp_gt_f32_e32 vcc_lo, 0xf800000, v5
	s_delay_alu instid0(VALU_DEP_2) | instskip(NEXT) | instid1(VALU_DEP_1)
	v_cndmask_b32_e32 v5, v5, v6, vcc_lo
	v_sqrt_f32_e32 v6, v5
	s_waitcnt_depctr 0xfff
	v_add_nc_u32_e32 v7, -1, v6
	v_add_nc_u32_e32 v8, 1, v6
	s_delay_alu instid0(VALU_DEP_2) | instskip(NEXT) | instid1(VALU_DEP_2)
	v_fma_f32 v9, -v7, v6, v5
	v_fma_f32 v10, -v8, v6, v5
	s_delay_alu instid0(VALU_DEP_2) | instskip(NEXT) | instid1(VALU_DEP_1)
	v_cmp_ge_f32_e64 s3, 0, v9
	v_cndmask_b32_e64 v6, v6, v7, s3
	s_delay_alu instid0(VALU_DEP_3) | instskip(NEXT) | instid1(VALU_DEP_1)
	v_cmp_lt_f32_e64 s3, 0, v10
	v_cndmask_b32_e64 v6, v6, v8, s3
	s_delay_alu instid0(VALU_DEP_1) | instskip(NEXT) | instid1(VALU_DEP_1)
	v_mul_f32_e32 v7, 0x37800000, v6
	v_cndmask_b32_e32 v6, v6, v7, vcc_lo
	v_cmp_class_f32_e64 vcc_lo, v5, 0x260
	s_delay_alu instid0(VALU_DEP_2)
	v_cndmask_b32_e32 v5, v6, v5, vcc_lo
	s_and_not1_b32 vcc_lo, exec_lo, s16
	s_cbranch_vccnz .LBB102_2
; %bb.4:                                ;   in Loop: Header=BB102_3 Depth=1
	v_lshlrev_b64 v[6:7], 1, v[1:2]
	s_delay_alu instid0(VALU_DEP_1) | instskip(NEXT) | instid1(VALU_DEP_2)
	v_add_co_u32 v6, vcc_lo, s6, v6
	v_add_co_ci_u32_e32 v7, vcc_lo, s7, v7, vcc_lo
	global_load_u16 v2, v[6:7], off
	s_waitcnt vmcnt(0)
	v_lshlrev_b32_e32 v2, 16, v2
	s_delay_alu instid0(VALU_DEP_1)
	v_add_f32_e32 v5, v5, v2
	s_branch .LBB102_2
.LBB102_5:
	s_or_b32 exec_lo, exec_lo, s14
	v_add_nc_u32_e32 v1, s12, v0
	s_mov_b32 s14, exec_lo
	s_delay_alu instid0(VALU_DEP_1)
	v_cmpx_gt_i32_e64 s12, v1
	s_cbranch_execz .LBB102_10
; %bb.6:
	s_load_b32 s3, s[0:1], 0x44
	s_cmp_lg_u64 s[6:7], 0
	v_lshl_add_u32 v4, v1, 2, 0
	s_cselect_b32 s16, -1, 0
	s_mov_b32 s18, 0
	s_waitcnt lgkmcnt(0)
	s_and_b32 s17, s3, 0xffff
	s_delay_alu instid0(SALU_CYCLE_1)
	s_lshl_b32 s19, s17, 2
	s_branch .LBB102_8
.LBB102_7:                              ;   in Loop: Header=BB102_8 Depth=1
	v_add_nc_u32_e32 v1, s17, v1
	v_add_nc_u32_e32 v4, s19, v4
	s_delay_alu instid0(VALU_DEP_2) | instskip(SKIP_1) | instid1(SALU_CYCLE_1)
	v_cmp_le_i32_e32 vcc_lo, s12, v1
	s_or_b32 s18, vcc_lo, s18
	s_and_not1_b32 exec_lo, exec_lo, s18
	s_cbranch_execz .LBB102_10
.LBB102_8:                              ; =>This Inner Loop Header: Depth=1
	v_ashrrev_i32_e32 v2, 31, v1
	s_delay_alu instid0(VALU_DEP_1) | instskip(NEXT) | instid1(VALU_DEP_1)
	v_lshlrev_b64 v[5:6], 2, v[1:2]
	v_add_co_u32 v5, vcc_lo, s4, v5
	s_delay_alu instid0(VALU_DEP_2) | instskip(SKIP_3) | instid1(VALU_DEP_1)
	v_add_co_ci_u32_e32 v6, vcc_lo, s5, v6, vcc_lo
	global_load_b32 v5, v[5:6], off
	s_waitcnt vmcnt(0)
	v_mul_f32_e32 v6, 0x3fb8aa3b, v5
	v_cmp_gt_f32_e32 vcc_lo, 0xc2fc0000, v6
	v_cndmask_b32_e64 v6, 0, 0x42800000, vcc_lo
	v_cndmask_b32_e64 v7, 1.0, 0x1f800000, vcc_lo
	s_delay_alu instid0(VALU_DEP_2) | instskip(NEXT) | instid1(VALU_DEP_1)
	v_fmac_f32_e32 v6, 0x3fb8aa3b, v5
	v_exp_f32_e32 v6, v6
	s_waitcnt_depctr 0xfff
	v_fma_f32 v6, v6, v7, 1.0
	s_delay_alu instid0(VALU_DEP_1) | instskip(SKIP_1) | instid1(VALU_DEP_1)
	v_cmp_gt_f32_e32 vcc_lo, 0x800000, v6
	v_cndmask_b32_e64 v7, 1.0, 0x4f800000, vcc_lo
	v_mul_f32_e32 v6, v6, v7
	v_cndmask_b32_e64 v7, 0, 0x42000000, vcc_lo
	v_cmp_lt_f32_e32 vcc_lo, 0x41a00000, v5
	s_delay_alu instid0(VALU_DEP_3) | instskip(SKIP_2) | instid1(VALU_DEP_1)
	v_log_f32_e32 v6, v6
	s_waitcnt_depctr 0xfff
	v_sub_f32_e32 v6, v6, v7
	v_mul_f32_e32 v6, 0x3f317218, v6
	s_delay_alu instid0(VALU_DEP_1) | instskip(NEXT) | instid1(VALU_DEP_1)
	v_cndmask_b32_e32 v5, v6, v5, vcc_lo
	v_mul_f32_e32 v6, 0x4f800000, v5
	v_cmp_gt_f32_e32 vcc_lo, 0xf800000, v5
	s_delay_alu instid0(VALU_DEP_2) | instskip(NEXT) | instid1(VALU_DEP_1)
	v_cndmask_b32_e32 v5, v5, v6, vcc_lo
	v_sqrt_f32_e32 v6, v5
	s_waitcnt_depctr 0xfff
	v_add_nc_u32_e32 v7, -1, v6
	v_add_nc_u32_e32 v8, 1, v6
	s_delay_alu instid0(VALU_DEP_2) | instskip(NEXT) | instid1(VALU_DEP_2)
	v_fma_f32 v9, -v7, v6, v5
	v_fma_f32 v10, -v8, v6, v5
	s_delay_alu instid0(VALU_DEP_2) | instskip(NEXT) | instid1(VALU_DEP_1)
	v_cmp_ge_f32_e64 s3, 0, v9
	v_cndmask_b32_e64 v6, v6, v7, s3
	s_delay_alu instid0(VALU_DEP_3) | instskip(NEXT) | instid1(VALU_DEP_1)
	v_cmp_lt_f32_e64 s3, 0, v10
	v_cndmask_b32_e64 v6, v6, v8, s3
	s_delay_alu instid0(VALU_DEP_1) | instskip(NEXT) | instid1(VALU_DEP_1)
	v_mul_f32_e32 v7, 0x37800000, v6
	v_cndmask_b32_e32 v6, v6, v7, vcc_lo
	v_cmp_class_f32_e64 vcc_lo, v5, 0x260
	s_delay_alu instid0(VALU_DEP_2)
	v_cndmask_b32_e32 v5, v6, v5, vcc_lo
	s_and_not1_b32 vcc_lo, exec_lo, s16
	ds_store_b32 v4, v5
	s_cbranch_vccnz .LBB102_7
; %bb.9:                                ;   in Loop: Header=BB102_8 Depth=1
	v_lshlrev_b64 v[6:7], 1, v[1:2]
	s_delay_alu instid0(VALU_DEP_1) | instskip(NEXT) | instid1(VALU_DEP_2)
	v_add_co_u32 v6, vcc_lo, s6, v6
	v_add_co_ci_u32_e32 v7, vcc_lo, s7, v7, vcc_lo
	global_load_u16 v2, v[6:7], off
	s_waitcnt vmcnt(0)
	v_lshlrev_b32_e32 v2, 16, v2
	s_delay_alu instid0(VALU_DEP_1)
	v_add_f32_e32 v2, v5, v2
	ds_store_b32 v4, v2
	s_branch .LBB102_7
.LBB102_10:
	s_or_b32 exec_lo, exec_lo, s14
	s_cmp_lt_i32 s13, 1
	s_waitcnt lgkmcnt(0)
	s_barrier
	buffer_gl0_inv
	s_cbranch_scc1 .LBB102_19
; %bb.11:
	s_add_u32 s4, s0, 56
	s_addc_u32 s5, s1, 0
	v_dual_mov_b32 v4, 0 :: v_dual_mov_b32 v1, 0
	v_dual_mov_b32 v5, 0xff800000 :: v_dual_mov_b32 v2, 0
	s_cmp_lg_u64 s[6:7], 0
	s_mov_b32 s14, 0
	s_cselect_b32 s3, -1, 0
	s_mov_b32 s18, 0x76543210
	s_branch .LBB102_13
.LBB102_12:                             ;   in Loop: Header=BB102_13 Depth=1
	v_cmp_eq_u32_e32 vcc_lo, s14, v0
	s_delay_alu instid0(VALU_DEP_2)
	s_lshl_b32 s17, s16, 2
	s_add_i32 s14, s14, 1
	s_add_i32 s17, s17, 0
	s_cmp_eq_u32 s14, s13
	v_cndmask_b32_e64 v1, v1, s16, vcc_lo
	v_mov_b32_e32 v6, s17
	v_cndmask_b32_e32 v2, v2, v8, vcc_lo
	ds_store_b32 v6, v5
	s_cbranch_scc1 .LBB102_20
.LBB102_13:                             ; =>This Loop Header: Depth=1
                                        ;     Child Loop BB102_15 Depth 2
	v_dual_mov_b32 v6, s14 :: v_dual_mov_b32 v7, 0xff800000
	s_and_saveexec_b32 s16, s2
	s_cbranch_execz .LBB102_17
; %bb.14:                               ;   in Loop: Header=BB102_13 Depth=1
	s_load_b32 s17, s[4:5], 0xc
	v_dual_mov_b32 v6, s14 :: v_dual_mov_b32 v7, 0xff800000
	v_dual_mov_b32 v8, v3 :: v_dual_mov_b32 v9, v0
	s_mov_b32 s19, 0
	s_waitcnt lgkmcnt(0)
	s_and_b32 s17, s17, 0xffff
	s_delay_alu instid0(SALU_CYCLE_1)
	s_lshl_b32 s20, s17, 2
.LBB102_15:                             ;   Parent Loop BB102_13 Depth=1
                                        ; =>  This Inner Loop Header: Depth=2
	ds_load_b32 v10, v8
	v_add_nc_u32_e32 v8, s20, v8
	s_waitcnt lgkmcnt(0)
	v_cmp_gt_f32_e32 vcc_lo, v10, v7
	v_dual_cndmask_b32 v7, v7, v10 :: v_dual_cndmask_b32 v6, v6, v9
	v_add_nc_u32_e32 v9, s17, v9
	s_delay_alu instid0(VALU_DEP_1) | instskip(SKIP_1) | instid1(SALU_CYCLE_1)
	v_cmp_le_i32_e32 vcc_lo, s12, v9
	s_or_b32 s19, vcc_lo, s19
	s_and_not1_b32 exec_lo, exec_lo, s19
	s_cbranch_execnz .LBB102_15
; %bb.16:                               ;   in Loop: Header=BB102_13 Depth=1
	s_or_b32 exec_lo, exec_lo, s19
.LBB102_17:                             ;   in Loop: Header=BB102_13 Depth=1
	s_delay_alu instid0(SALU_CYCLE_1)
	s_or_b32 exec_lo, exec_lo, s16
	;;#ASMSTART
	v_max_f32 v8, v7, v7 quad_perm:[1,0,3,2] row_mask:0xf bank_mask:0xf bound_ctrl:1
	;;#ASMEND
	;;#ASMSTART
	v_max_f32 v9, v8, v8 quad_perm:[2,3,0,1] row_mask:0xf bank_mask:0xf bound_ctrl:1
	;;#ASMEND
	;;#ASMSTART
	v_max_f32 v8, v9, v9 row_half_mirror row_mask:0xf bank_mask:0xf bound_ctrl:1
	;;#ASMEND
	;;#ASMSTART
	v_max_f32 v9, v8, v8 row_mirror row_mask:0xf bank_mask:0xf bound_ctrl:1
	;;#ASMEND
	v_permlanex16_b32 v8, v9, s18, 0xfedcba98 op_sel:[1,1]
	s_delay_alu instid0(VALU_DEP_1) | instskip(NEXT) | instid1(VALU_DEP_1)
	v_dual_max_f32 v9, v9, v9 :: v_dual_max_f32 v8, v8, v8
	v_max_f32_e32 v8, v9, v8
	s_delay_alu instid0(VALU_DEP_1)
	v_cmp_eq_f32_e32 vcc_lo, v7, v8
	s_ctz_i32_b32 s16, vcc_lo
	s_cmp_lg_u32 vcc_lo, 0
	s_cselect_b32 s16, s16, 0
	s_and_b32 vcc_lo, exec_lo, s3
	v_readlane_b32 s16, v6, s16
	s_cbranch_vccz .LBB102_12
; %bb.18:                               ;   in Loop: Header=BB102_13 Depth=1
	s_delay_alu instid0(VALU_DEP_1) | instskip(NEXT) | instid1(SALU_CYCLE_1)
	s_ashr_i32 s17, s16, 31
	s_lshl_b64 s[20:21], s[16:17], 1
	s_delay_alu instid0(SALU_CYCLE_1) | instskip(SKIP_4) | instid1(VALU_DEP_1)
	s_add_u32 s20, s6, s20
	s_addc_u32 s21, s7, s21
	global_load_u16 v6, v4, s[20:21]
	s_waitcnt vmcnt(0)
	v_lshlrev_b32_e32 v6, 16, v6
	v_sub_f32_e32 v8, v8, v6
	s_branch .LBB102_12
.LBB102_19:
	v_dual_mov_b32 v2, 0 :: v_dual_mov_b32 v1, 0
.LBB102_20:
	s_mov_b32 s2, exec_lo
	v_cmpx_gt_i32_e64 s13, v0
	s_cbranch_execz .LBB102_23
; %bb.21:
	s_clause 0x2
	s_load_b32 s4, s[0:1], 0x34
	s_load_b64 s[2:3], s[0:1], 0x20
	s_load_b32 s0, s[0:1], 0x44
	s_ashr_i32 s1, s15, 31
	s_waitcnt lgkmcnt(0)
	v_mul_f32_e32 v2, s4, v2
	s_mul_i32 s3, s15, s3
	s_mul_hi_u32 s4, s15, s2
	s_mul_i32 s5, s1, s2
	s_add_i32 s3, s4, s3
	s_mul_i32 s1, s15, s2
	s_and_b32 s2, s0, 0xffff
	s_add_i32 s3, s3, s5
	s_mov_b32 s4, 0
	.p2align	6
.LBB102_22:                             ; =>This Inner Loop Header: Depth=1
	v_ashrrev_i32_e32 v4, 31, v0
	v_add_co_u32 v3, vcc_lo, s1, v0
	v_add_nc_u32_e32 v0, s2, v0
	s_delay_alu instid0(VALU_DEP_3) | instskip(NEXT) | instid1(VALU_DEP_2)
	v_add_co_ci_u32_e32 v4, vcc_lo, s3, v4, vcc_lo
	v_cmp_le_i32_e32 vcc_lo, s13, v0
	s_delay_alu instid0(VALU_DEP_2) | instskip(SKIP_1) | instid1(VALU_DEP_1)
	v_lshlrev_b64 v[3:4], 2, v[3:4]
	s_or_b32 s4, vcc_lo, s4
	v_add_co_u32 v5, s0, s8, v3
	s_delay_alu instid0(VALU_DEP_1) | instskip(SKIP_1) | instid1(VALU_DEP_1)
	v_add_co_ci_u32_e64 v6, s0, s9, v4, s0
	v_add_co_u32 v3, s0, s10, v3
	v_add_co_ci_u32_e64 v4, s0, s11, v4, s0
	global_store_b32 v[5:6], v2, off
	global_store_b32 v[3:4], v1, off
	s_and_not1_b32 exec_lo, exec_lo, s4
	s_cbranch_execnz .LBB102_22
.LBB102_23:
	s_nop 0
	s_sendmsg sendmsg(MSG_DEALLOC_VGPRS)
	s_endpgm
	.section	.rodata,"a",@progbits
	.p2align	6, 0x0
	.amdhsa_kernel _ZN5aiter20topk_softplus_kernelIf12hip_bfloat16Dv1_fLb0ELi0EEEvPKT_PKT0_PfPimiiif
		.amdhsa_group_segment_fixed_size 0
		.amdhsa_private_segment_fixed_size 0
		.amdhsa_kernarg_size 312
		.amdhsa_user_sgpr_count 15
		.amdhsa_user_sgpr_dispatch_ptr 0
		.amdhsa_user_sgpr_queue_ptr 0
		.amdhsa_user_sgpr_kernarg_segment_ptr 1
		.amdhsa_user_sgpr_dispatch_id 0
		.amdhsa_user_sgpr_private_segment_size 0
		.amdhsa_wavefront_size32 1
		.amdhsa_uses_dynamic_stack 0
		.amdhsa_enable_private_segment 0
		.amdhsa_system_sgpr_workgroup_id_x 1
		.amdhsa_system_sgpr_workgroup_id_y 0
		.amdhsa_system_sgpr_workgroup_id_z 0
		.amdhsa_system_sgpr_workgroup_info 0
		.amdhsa_system_vgpr_workitem_id 0
		.amdhsa_next_free_vgpr 11
		.amdhsa_next_free_sgpr 22
		.amdhsa_reserve_vcc 1
		.amdhsa_float_round_mode_32 0
		.amdhsa_float_round_mode_16_64 0
		.amdhsa_float_denorm_mode_32 3
		.amdhsa_float_denorm_mode_16_64 3
		.amdhsa_dx10_clamp 1
		.amdhsa_ieee_mode 1
		.amdhsa_fp16_overflow 0
		.amdhsa_workgroup_processor_mode 1
		.amdhsa_memory_ordered 1
		.amdhsa_forward_progress 0
		.amdhsa_shared_vgpr_count 0
		.amdhsa_exception_fp_ieee_invalid_op 0
		.amdhsa_exception_fp_denorm_src 0
		.amdhsa_exception_fp_ieee_div_zero 0
		.amdhsa_exception_fp_ieee_overflow 0
		.amdhsa_exception_fp_ieee_underflow 0
		.amdhsa_exception_fp_ieee_inexact 0
		.amdhsa_exception_int_div_zero 0
	.end_amdhsa_kernel
	.section	.text._ZN5aiter20topk_softplus_kernelIf12hip_bfloat16Dv1_fLb0ELi0EEEvPKT_PKT0_PfPimiiif,"axG",@progbits,_ZN5aiter20topk_softplus_kernelIf12hip_bfloat16Dv1_fLb0ELi0EEEvPKT_PKT0_PfPimiiif,comdat
.Lfunc_end102:
	.size	_ZN5aiter20topk_softplus_kernelIf12hip_bfloat16Dv1_fLb0ELi0EEEvPKT_PKT0_PfPimiiif, .Lfunc_end102-_ZN5aiter20topk_softplus_kernelIf12hip_bfloat16Dv1_fLb0ELi0EEEvPKT_PKT0_PfPimiiif
                                        ; -- End function
	.section	.AMDGPU.csdata,"",@progbits
; Kernel info:
; codeLenInByte = 1740
; NumSgprs: 24
; NumVgprs: 11
; ScratchSize: 0
; MemoryBound: 0
; FloatMode: 240
; IeeeMode: 1
; LDSByteSize: 0 bytes/workgroup (compile time only)
; SGPRBlocks: 2
; VGPRBlocks: 1
; NumSGPRsForWavesPerEU: 24
; NumVGPRsForWavesPerEU: 11
; Occupancy: 16
; WaveLimiterHint : 0
; COMPUTE_PGM_RSRC2:SCRATCH_EN: 0
; COMPUTE_PGM_RSRC2:USER_SGPR: 15
; COMPUTE_PGM_RSRC2:TRAP_HANDLER: 0
; COMPUTE_PGM_RSRC2:TGID_X_EN: 1
; COMPUTE_PGM_RSRC2:TGID_Y_EN: 0
; COMPUTE_PGM_RSRC2:TGID_Z_EN: 0
; COMPUTE_PGM_RSRC2:TIDIG_COMP_CNT: 0
	.section	.text._ZN5aiter24topk_softplus_kernel_optI6__halffLi64ELb1ELi1EEEvPKT_PKT0_PfPimiif,"axG",@progbits,_ZN5aiter24topk_softplus_kernel_optI6__halffLi64ELb1ELi1EEEvPKT_PKT0_PfPimiif,comdat
	.protected	_ZN5aiter24topk_softplus_kernel_optI6__halffLi64ELb1ELi1EEEvPKT_PKT0_PfPimiif ; -- Begin function _ZN5aiter24topk_softplus_kernel_optI6__halffLi64ELb1ELi1EEEvPKT_PKT0_PfPimiif
	.globl	_ZN5aiter24topk_softplus_kernel_optI6__halffLi64ELb1ELi1EEEvPKT_PKT0_PfPimiif
	.p2align	8
	.type	_ZN5aiter24topk_softplus_kernel_optI6__halffLi64ELb1ELi1EEEvPKT_PKT0_PfPimiif,@function
_ZN5aiter24topk_softplus_kernel_optI6__halffLi64ELb1ELi1EEEvPKT_PKT0_PfPimiif: ; @_ZN5aiter24topk_softplus_kernel_optI6__halffLi64ELb1ELi1EEEvPKT_PKT0_PfPimiif
; %bb.0:
	s_load_b128 s[4:7], s[0:1], 0x0
	s_lshl_b32 s2, s15, 6
	v_lshlrev_b32_e32 v1, 1, v0
	s_ashr_i32 s3, s2, 31
	s_delay_alu instid0(SALU_CYCLE_1)
	s_lshl_b64 s[2:3], s[2:3], 1
	s_waitcnt lgkmcnt(0)
	s_add_u32 s4, s4, s2
	s_addc_u32 s5, s5, s3
	s_mov_b32 s3, 0xbfb8aa3b
	global_load_u16 v2, v1, s[4:5]
	s_cmp_lg_u64 s[6:7], 0
	s_cselect_b32 s2, -1, 0
	s_waitcnt vmcnt(0)
	v_cvt_f32_f16_e32 v3, v2
	s_delay_alu instid0(VALU_DEP_1) | instskip(NEXT) | instid1(VALU_DEP_1)
	v_mul_f32_e32 v3, 0xbfb8aa3b, v3
	v_cmp_gt_f32_e32 vcc_lo, 0xc2fc0000, v3
	v_cndmask_b32_e64 v3, 0, 0x42800000, vcc_lo
	s_delay_alu instid0(VALU_DEP_1) | instskip(SKIP_2) | instid1(VALU_DEP_2)
	v_fma_mix_f32 v2, v2, s3, v3 op_sel_hi:[1,0,0]
	v_cndmask_b32_e64 v3, 1.0, 0x1f800000, vcc_lo
	s_and_b32 vcc_lo, exec_lo, s2
	v_exp_f32_e32 v2, v2
	s_waitcnt_depctr 0xfff
	v_fma_f32 v2, v2, v3, 1.0
	v_lshlrev_b32_e32 v3, 2, v0
	s_delay_alu instid0(VALU_DEP_2) | instskip(SKIP_3) | instid1(VALU_DEP_1)
	v_rcp_f32_e32 v10, v2
	s_waitcnt_depctr 0xfff
	v_mov_b32_e32 v8, v10
	v_add_co_u32 v1, s4, s4, v1
	v_add_co_ci_u32_e64 v2, null, s5, 0, s4
	s_cbranch_vccz .LBB103_2
; %bb.1:
	global_load_b32 v4, v3, s[6:7]
	s_waitcnt vmcnt(0)
	v_add_f32_e32 v8, v10, v4
.LBB103_2:
	global_load_u16 v1, v[1:2], off offset:64
	s_waitcnt vmcnt(0)
	v_cvt_f32_f16_e32 v2, v1
	s_delay_alu instid0(VALU_DEP_1) | instskip(NEXT) | instid1(VALU_DEP_1)
	v_mul_f32_e32 v2, 0xbfb8aa3b, v2
	v_cmp_gt_f32_e32 vcc_lo, 0xc2fc0000, v2
	v_cndmask_b32_e64 v4, 0, 0x42800000, vcc_lo
	v_cndmask_b32_e64 v2, 1.0, 0x1f800000, vcc_lo
	s_and_not1_b32 vcc_lo, exec_lo, s2
	s_delay_alu instid0(VALU_DEP_2) | instskip(NEXT) | instid1(VALU_DEP_1)
	v_fma_mix_f32 v1, v1, s3, v4 op_sel_hi:[1,0,0]
	v_exp_f32_e32 v1, v1
	s_waitcnt_depctr 0xfff
	v_fma_f32 v1, v1, v2, 1.0
	s_delay_alu instid0(VALU_DEP_1)
	v_rcp_f32_e32 v11, v1
	s_waitcnt_depctr 0xfff
	v_mov_b32_e32 v9, v11
	s_cbranch_vccnz .LBB103_4
; %bb.3:
	global_load_b32 v1, v3, s[6:7] offset:128
	s_waitcnt vmcnt(0)
	v_add_f32_e32 v9, v11, v1
.LBB103_4:
	s_clause 0x1
	s_load_b32 s8, s[0:1], 0x28
	s_load_b128 s[4:7], s[0:1], 0x10
	v_dual_mov_b32 v4, 0 :: v_dual_mov_b32 v1, 0
	v_mov_b32_e32 v2, 0
	s_waitcnt lgkmcnt(0)
	s_cmp_gt_i32 s8, 0
	s_cbranch_scc0 .LBB103_7
; %bb.5:
	v_cmp_lt_f32_e32 vcc_lo, v8, v9
	v_add_nc_u32_e32 v1, 32, v0
	s_mov_b32 s9, 0x76543210
	s_mov_b32 s10, s8
	v_dual_mov_b32 v4, 0 :: v_dual_cndmask_b32 v7, v9, v8
	s_delay_alu instid0(VALU_DEP_2)
	v_dual_cndmask_b32 v8, v8, v9 :: v_dual_cndmask_b32 v5, v1, v0
	v_dual_cndmask_b32 v6, v0, v1 :: v_dual_cndmask_b32 v9, v11, v10
	v_dual_cndmask_b32 v10, v10, v11 :: v_dual_mov_b32 v11, 0
	v_dual_mov_b32 v12, v0 :: v_dual_mov_b32 v1, 0
	v_mov_b32_e32 v2, 0
.LBB103_6:                              ; =>This Inner Loop Header: Depth=1
	s_delay_alu instid0(VALU_DEP_3) | instskip(SKIP_2) | instid1(VALU_DEP_1)
	v_cmp_eq_u32_e32 vcc_lo, 1, v11
	v_cmp_gt_u32_e64 s2, 2, v11
	v_dual_cndmask_b32 v13, v8, v7 :: v_dual_cndmask_b32 v14, v6, v5
	v_cndmask_b32_e64 v13, 0xff800000, v13, s2
	;;#ASMSTART
	v_max_f32 v16, v13, v13 quad_perm:[1,0,3,2] row_mask:0xf bank_mask:0xf bound_ctrl:1
	;;#ASMEND
	;;#ASMSTART
	v_max_f32 v17, v16, v16 quad_perm:[2,3,0,1] row_mask:0xf bank_mask:0xf bound_ctrl:1
	;;#ASMEND
	;;#ASMSTART
	v_max_f32 v16, v17, v17 row_half_mirror row_mask:0xf bank_mask:0xf bound_ctrl:1
	;;#ASMEND
	;;#ASMSTART
	v_max_f32 v17, v16, v16 row_mirror row_mask:0xf bank_mask:0xf bound_ctrl:1
	;;#ASMEND
	v_permlanex16_b32 v16, v17, s9, 0xfedcba98 op_sel:[1,1]
	v_max_f32_e32 v17, v17, v17
	v_cndmask_b32_e64 v15, 0, v14, s2
	s_delay_alu instid0(VALU_DEP_3) | instskip(NEXT) | instid1(VALU_DEP_1)
	v_max_f32_e32 v16, v16, v16
	v_max_f32_e32 v16, v17, v16
	s_delay_alu instid0(VALU_DEP_1) | instskip(SKIP_1) | instid1(VALU_DEP_2)
	v_cmp_eq_f32_e64 s3, v13, v16
	v_cndmask_b32_e32 v13, v10, v9, vcc_lo
	s_ctz_i32_b32 s11, s3
	s_cmp_lg_u32 s3, 0
	s_cselect_b32 s3, s11, 0
	s_add_i32 s10, s10, -1
	v_readlane_b32 s3, v15, s3
	s_delay_alu instid0(VALU_DEP_1)
	v_cmp_eq_u32_e32 vcc_lo, s3, v14
	s_and_b32 vcc_lo, s2, vcc_lo
	s_and_b32 s2, s3, 31
	v_cndmask_b32_e32 v13, 0, v13, vcc_lo
	v_add_co_ci_u32_e32 v11, vcc_lo, 0, v11, vcc_lo
	s_cmp_eq_u32 s10, 0
	s_delay_alu instid0(VALU_DEP_2) | instskip(SKIP_2) | instid1(VALU_DEP_3)
	v_readlane_b32 s11, v13, s2
	v_cmp_eq_u32_e64 s2, 0, v12
	v_add_nc_u32_e32 v12, -1, v12
	v_add_f32_e32 v4, s11, v4
	s_delay_alu instid0(VALU_DEP_3)
	v_cndmask_b32_e64 v2, v2, s11, s2
	v_cndmask_b32_e64 v1, v1, s3, s2
	s_cbranch_scc0 .LBB103_6
.LBB103_7:
	s_mov_b32 s2, exec_lo
	v_cmpx_gt_i32_e64 s8, v0
	s_cbranch_execz .LBB103_9
; %bb.8:
	s_load_b32 s2, s[0:1], 0x30
	v_max_f32_e32 v0, v4, v4
	s_load_b64 s[0:1], s[0:1], 0x20
	s_ashr_i32 s3, s15, 31
	s_delay_alu instid0(VALU_DEP_1) | instskip(SKIP_1) | instid1(VALU_DEP_1)
	v_max_f32_e32 v0, 0x1e3ce508, v0
	s_waitcnt lgkmcnt(0)
	v_div_scale_f32 v4, null, v0, v0, s2
	v_div_scale_f32 v7, vcc_lo, s2, v0, s2
	s_mul_i32 s1, s15, s1
	s_delay_alu instid0(VALU_DEP_2)
	v_rcp_f32_e32 v5, v4
	s_mul_hi_u32 s8, s15, s0
	s_mul_i32 s3, s3, s0
	s_add_i32 s1, s8, s1
	s_mul_i32 s0, s15, s0
	s_add_i32 s1, s1, s3
	s_delay_alu instid0(SALU_CYCLE_1) | instskip(SKIP_2) | instid1(VALU_DEP_1)
	s_lshl_b64 s[0:1], s[0:1], 2
	s_waitcnt_depctr 0xfff
	v_fma_f32 v6, -v4, v5, 1.0
	v_fmac_f32_e32 v5, v6, v5
	s_delay_alu instid0(VALU_DEP_1) | instskip(NEXT) | instid1(VALU_DEP_1)
	v_mul_f32_e32 v6, v7, v5
	v_fma_f32 v8, -v4, v6, v7
	s_delay_alu instid0(VALU_DEP_1) | instskip(NEXT) | instid1(VALU_DEP_1)
	v_fmac_f32_e32 v6, v8, v5
	v_fma_f32 v4, -v4, v6, v7
	s_delay_alu instid0(VALU_DEP_1) | instskip(NEXT) | instid1(VALU_DEP_1)
	v_div_fmas_f32 v4, v4, v5, v6
	v_div_fixup_f32 v0, v4, v0, s2
	s_add_u32 s2, s4, s0
	s_addc_u32 s3, s5, s1
	s_add_u32 s0, s6, s0
	s_addc_u32 s1, s7, s1
	v_mul_f32_e32 v0, v2, v0
	s_clause 0x1
	global_store_b32 v3, v0, s[2:3]
	global_store_b32 v3, v1, s[0:1]
.LBB103_9:
	s_nop 0
	s_sendmsg sendmsg(MSG_DEALLOC_VGPRS)
	s_endpgm
	.section	.rodata,"a",@progbits
	.p2align	6, 0x0
	.amdhsa_kernel _ZN5aiter24topk_softplus_kernel_optI6__halffLi64ELb1ELi1EEEvPKT_PKT0_PfPimiif
		.amdhsa_group_segment_fixed_size 0
		.amdhsa_private_segment_fixed_size 0
		.amdhsa_kernarg_size 52
		.amdhsa_user_sgpr_count 15
		.amdhsa_user_sgpr_dispatch_ptr 0
		.amdhsa_user_sgpr_queue_ptr 0
		.amdhsa_user_sgpr_kernarg_segment_ptr 1
		.amdhsa_user_sgpr_dispatch_id 0
		.amdhsa_user_sgpr_private_segment_size 0
		.amdhsa_wavefront_size32 1
		.amdhsa_uses_dynamic_stack 0
		.amdhsa_enable_private_segment 0
		.amdhsa_system_sgpr_workgroup_id_x 1
		.amdhsa_system_sgpr_workgroup_id_y 0
		.amdhsa_system_sgpr_workgroup_id_z 0
		.amdhsa_system_sgpr_workgroup_info 0
		.amdhsa_system_vgpr_workitem_id 0
		.amdhsa_next_free_vgpr 18
		.amdhsa_next_free_sgpr 16
		.amdhsa_reserve_vcc 1
		.amdhsa_float_round_mode_32 0
		.amdhsa_float_round_mode_16_64 0
		.amdhsa_float_denorm_mode_32 3
		.amdhsa_float_denorm_mode_16_64 3
		.amdhsa_dx10_clamp 1
		.amdhsa_ieee_mode 1
		.amdhsa_fp16_overflow 0
		.amdhsa_workgroup_processor_mode 1
		.amdhsa_memory_ordered 1
		.amdhsa_forward_progress 0
		.amdhsa_shared_vgpr_count 0
		.amdhsa_exception_fp_ieee_invalid_op 0
		.amdhsa_exception_fp_denorm_src 0
		.amdhsa_exception_fp_ieee_div_zero 0
		.amdhsa_exception_fp_ieee_overflow 0
		.amdhsa_exception_fp_ieee_underflow 0
		.amdhsa_exception_fp_ieee_inexact 0
		.amdhsa_exception_int_div_zero 0
	.end_amdhsa_kernel
	.section	.text._ZN5aiter24topk_softplus_kernel_optI6__halffLi64ELb1ELi1EEEvPKT_PKT0_PfPimiif,"axG",@progbits,_ZN5aiter24topk_softplus_kernel_optI6__halffLi64ELb1ELi1EEEvPKT_PKT0_PfPimiif,comdat
.Lfunc_end103:
	.size	_ZN5aiter24topk_softplus_kernel_optI6__halffLi64ELb1ELi1EEEvPKT_PKT0_PfPimiif, .Lfunc_end103-_ZN5aiter24topk_softplus_kernel_optI6__halffLi64ELb1ELi1EEEvPKT_PKT0_PfPimiif
                                        ; -- End function
	.section	.AMDGPU.csdata,"",@progbits
; Kernel info:
; codeLenInByte = 948
; NumSgprs: 18
; NumVgprs: 18
; ScratchSize: 0
; MemoryBound: 0
; FloatMode: 240
; IeeeMode: 1
; LDSByteSize: 0 bytes/workgroup (compile time only)
; SGPRBlocks: 2
; VGPRBlocks: 2
; NumSGPRsForWavesPerEU: 18
; NumVGPRsForWavesPerEU: 18
; Occupancy: 16
; WaveLimiterHint : 0
; COMPUTE_PGM_RSRC2:SCRATCH_EN: 0
; COMPUTE_PGM_RSRC2:USER_SGPR: 15
; COMPUTE_PGM_RSRC2:TRAP_HANDLER: 0
; COMPUTE_PGM_RSRC2:TGID_X_EN: 1
; COMPUTE_PGM_RSRC2:TGID_Y_EN: 0
; COMPUTE_PGM_RSRC2:TGID_Z_EN: 0
; COMPUTE_PGM_RSRC2:TIDIG_COMP_CNT: 0
	.section	.text._ZN5aiter24topk_softplus_kernel_optI6__halffLi64ELb0ELi1EEEvPKT_PKT0_PfPimiif,"axG",@progbits,_ZN5aiter24topk_softplus_kernel_optI6__halffLi64ELb0ELi1EEEvPKT_PKT0_PfPimiif,comdat
	.protected	_ZN5aiter24topk_softplus_kernel_optI6__halffLi64ELb0ELi1EEEvPKT_PKT0_PfPimiif ; -- Begin function _ZN5aiter24topk_softplus_kernel_optI6__halffLi64ELb0ELi1EEEvPKT_PKT0_PfPimiif
	.globl	_ZN5aiter24topk_softplus_kernel_optI6__halffLi64ELb0ELi1EEEvPKT_PKT0_PfPimiif
	.p2align	8
	.type	_ZN5aiter24topk_softplus_kernel_optI6__halffLi64ELb0ELi1EEEvPKT_PKT0_PfPimiif,@function
_ZN5aiter24topk_softplus_kernel_optI6__halffLi64ELb0ELi1EEEvPKT_PKT0_PfPimiif: ; @_ZN5aiter24topk_softplus_kernel_optI6__halffLi64ELb0ELi1EEEvPKT_PKT0_PfPimiif
; %bb.0:
	s_load_b128 s[4:7], s[0:1], 0x0
	s_lshl_b32 s2, s15, 6
	v_lshlrev_b32_e32 v1, 1, v0
	s_ashr_i32 s3, s2, 31
	s_delay_alu instid0(SALU_CYCLE_1)
	s_lshl_b64 s[2:3], s[2:3], 1
	s_waitcnt lgkmcnt(0)
	s_add_u32 s4, s4, s2
	s_addc_u32 s5, s5, s3
	s_mov_b32 s3, 0xbfb8aa3b
	global_load_u16 v2, v1, s[4:5]
	v_add_co_u32 v1, s4, s4, v1
	s_cmp_lg_u64 s[6:7], 0
	s_cselect_b32 s2, -1, 0
	s_waitcnt vmcnt(0)
	v_cvt_f32_f16_e32 v3, v2
	s_delay_alu instid0(VALU_DEP_1) | instskip(NEXT) | instid1(VALU_DEP_1)
	v_mul_f32_e32 v3, 0xbfb8aa3b, v3
	v_cmp_gt_f32_e32 vcc_lo, 0xc2fc0000, v3
	v_cndmask_b32_e64 v3, 0, 0x42800000, vcc_lo
	s_delay_alu instid0(VALU_DEP_1) | instskip(SKIP_2) | instid1(VALU_DEP_2)
	v_fma_mix_f32 v2, v2, s3, v3 op_sel_hi:[1,0,0]
	v_cndmask_b32_e64 v3, 1.0, 0x1f800000, vcc_lo
	s_and_b32 vcc_lo, exec_lo, s2
	v_exp_f32_e32 v2, v2
	s_waitcnt_depctr 0xfff
	v_fma_f32 v2, v2, v3, 1.0
	v_lshlrev_b32_e32 v3, 2, v0
	s_delay_alu instid0(VALU_DEP_2)
	v_rcp_f32_e32 v9, v2
	v_add_co_ci_u32_e64 v2, null, s5, 0, s4
	s_waitcnt_depctr 0xfff
	v_mov_b32_e32 v7, v9
	s_cbranch_vccz .LBB104_2
; %bb.1:
	global_load_b32 v4, v3, s[6:7]
	s_waitcnt vmcnt(0)
	v_add_f32_e32 v7, v9, v4
.LBB104_2:
	global_load_u16 v1, v[1:2], off offset:64
	s_waitcnt vmcnt(0)
	v_cvt_f32_f16_e32 v2, v1
	s_delay_alu instid0(VALU_DEP_1) | instskip(NEXT) | instid1(VALU_DEP_1)
	v_mul_f32_e32 v2, 0xbfb8aa3b, v2
	v_cmp_gt_f32_e32 vcc_lo, 0xc2fc0000, v2
	v_cndmask_b32_e64 v4, 0, 0x42800000, vcc_lo
	v_cndmask_b32_e64 v2, 1.0, 0x1f800000, vcc_lo
	s_and_not1_b32 vcc_lo, exec_lo, s2
	s_delay_alu instid0(VALU_DEP_2) | instskip(NEXT) | instid1(VALU_DEP_1)
	v_fma_mix_f32 v1, v1, s3, v4 op_sel_hi:[1,0,0]
	v_exp_f32_e32 v1, v1
	s_waitcnt_depctr 0xfff
	v_fma_f32 v1, v1, v2, 1.0
	s_delay_alu instid0(VALU_DEP_1)
	v_rcp_f32_e32 v2, v1
	s_waitcnt_depctr 0xfff
	v_mov_b32_e32 v8, v2
	s_cbranch_vccnz .LBB104_4
; %bb.3:
	global_load_b32 v1, v3, s[6:7] offset:128
	s_waitcnt vmcnt(0)
	v_add_f32_e32 v8, v2, v1
.LBB104_4:
	s_clause 0x1
	s_load_b32 s8, s[0:1], 0x28
	s_load_b128 s[4:7], s[0:1], 0x10
	v_mov_b32_e32 v1, 0
	s_waitcnt lgkmcnt(0)
	s_cmp_gt_i32 s8, 0
	s_cbranch_scc0 .LBB104_10
; %bb.5:
	v_cmp_lt_f32_e32 vcc_lo, v7, v8
	v_add_nc_u32_e32 v1, 32, v0
	s_mov_b32 s9, 0x76543210
	s_mov_b32 s10, s8
	v_mov_b32_e32 v10, 0
	v_cndmask_b32_e32 v6, v8, v7, vcc_lo
	v_dual_cndmask_b32 v4, v1, v0 :: v_dual_cndmask_b32 v5, v0, v1
	v_dual_cndmask_b32 v7, v7, v8 :: v_dual_cndmask_b32 v8, v2, v9
	v_dual_cndmask_b32 v9, v9, v2 :: v_dual_mov_b32 v2, 0
	v_mov_b32_e32 v11, v0
	v_mov_b32_e32 v1, 0
.LBB104_6:                              ; =>This Inner Loop Header: Depth=1
	v_cmp_eq_u32_e32 vcc_lo, 1, v10
	v_cmp_gt_u32_e64 s2, 2, v10
	v_cndmask_b32_e32 v12, v7, v6, vcc_lo
	s_delay_alu instid0(VALU_DEP_1)
	v_cndmask_b32_e64 v12, 0xff800000, v12, s2
	;;#ASMSTART
	v_max_f32 v13, v12, v12 quad_perm:[1,0,3,2] row_mask:0xf bank_mask:0xf bound_ctrl:1
	;;#ASMEND
	;;#ASMSTART
	v_max_f32 v14, v13, v13 quad_perm:[2,3,0,1] row_mask:0xf bank_mask:0xf bound_ctrl:1
	;;#ASMEND
	;;#ASMSTART
	v_max_f32 v13, v14, v14 row_half_mirror row_mask:0xf bank_mask:0xf bound_ctrl:1
	;;#ASMEND
	;;#ASMSTART
	v_max_f32 v14, v13, v13 row_mirror row_mask:0xf bank_mask:0xf bound_ctrl:1
	;;#ASMEND
	v_permlanex16_b32 v13, v14, s9, 0xfedcba98 op_sel:[1,1]
	s_delay_alu instid0(VALU_DEP_1) | instskip(NEXT) | instid1(VALU_DEP_1)
	v_dual_max_f32 v14, v14, v14 :: v_dual_max_f32 v13, v13, v13
	v_dual_max_f32 v13, v14, v13 :: v_dual_cndmask_b32 v14, v5, v4
	s_delay_alu instid0(VALU_DEP_1) | instskip(NEXT) | instid1(VALU_DEP_2)
	v_cmp_eq_f32_e64 s3, v12, v13
	v_cndmask_b32_e64 v12, 0, v14, s2
	s_delay_alu instid0(VALU_DEP_2)
	s_ctz_i32_b32 s11, s3
	s_cmp_lg_u32 s3, 0
	s_cselect_b32 s3, s11, 0
	s_add_i32 s10, s10, -1
	v_readlane_b32 s3, v12, s3
	v_cndmask_b32_e32 v12, v9, v8, vcc_lo
	s_delay_alu instid0(VALU_DEP_2) | instskip(SKIP_2) | instid1(VALU_DEP_2)
	v_cmp_eq_u32_e32 vcc_lo, s3, v14
	s_and_b32 vcc_lo, s2, vcc_lo
	s_and_b32 s2, s3, 31
	v_cndmask_b32_e32 v12, 0, v12, vcc_lo
	v_add_co_ci_u32_e32 v10, vcc_lo, 0, v10, vcc_lo
	s_cmp_eq_u32 s10, 0
	s_delay_alu instid0(VALU_DEP_2) | instskip(SKIP_2) | instid1(VALU_DEP_2)
	v_readlane_b32 s11, v12, s2
	v_cmp_eq_u32_e64 s2, 0, v11
	v_add_nc_u32_e32 v11, -1, v11
	v_cndmask_b32_e64 v2, v2, s11, s2
	v_cndmask_b32_e64 v1, v1, s3, s2
	s_cbranch_scc0 .LBB104_6
; %bb.7:
	s_mov_b32 s2, exec_lo
	v_cmpx_gt_i32_e64 s8, v0
	s_cbranch_execz .LBB104_9
.LBB104_8:
	s_clause 0x1
	s_load_b64 s[2:3], s[0:1], 0x20
	s_load_b32 s8, s[0:1], 0x30
	s_ashr_i32 s0, s15, 31
	s_waitcnt lgkmcnt(0)
	s_mul_i32 s1, s15, s3
	s_mul_hi_u32 s3, s15, s2
	s_mul_i32 s0, s0, s2
	s_add_i32 s1, s3, s1
	v_mul_f32_e32 v0, s8, v2
	s_add_i32 s1, s1, s0
	s_mul_i32 s0, s15, s2
	s_delay_alu instid0(SALU_CYCLE_1) | instskip(NEXT) | instid1(SALU_CYCLE_1)
	s_lshl_b64 s[0:1], s[0:1], 2
	s_add_u32 s2, s4, s0
	s_addc_u32 s3, s5, s1
	s_add_u32 s0, s6, s0
	s_addc_u32 s1, s7, s1
	s_clause 0x1
	global_store_b32 v3, v0, s[2:3]
	global_store_b32 v3, v1, s[0:1]
.LBB104_9:
	s_nop 0
	s_sendmsg sendmsg(MSG_DEALLOC_VGPRS)
	s_endpgm
.LBB104_10:
	v_mov_b32_e32 v2, 0
	s_mov_b32 s2, exec_lo
	v_cmpx_gt_i32_e64 s8, v0
	s_cbranch_execnz .LBB104_8
	s_branch .LBB104_9
	.section	.rodata,"a",@progbits
	.p2align	6, 0x0
	.amdhsa_kernel _ZN5aiter24topk_softplus_kernel_optI6__halffLi64ELb0ELi1EEEvPKT_PKT0_PfPimiif
		.amdhsa_group_segment_fixed_size 0
		.amdhsa_private_segment_fixed_size 0
		.amdhsa_kernarg_size 52
		.amdhsa_user_sgpr_count 15
		.amdhsa_user_sgpr_dispatch_ptr 0
		.amdhsa_user_sgpr_queue_ptr 0
		.amdhsa_user_sgpr_kernarg_segment_ptr 1
		.amdhsa_user_sgpr_dispatch_id 0
		.amdhsa_user_sgpr_private_segment_size 0
		.amdhsa_wavefront_size32 1
		.amdhsa_uses_dynamic_stack 0
		.amdhsa_enable_private_segment 0
		.amdhsa_system_sgpr_workgroup_id_x 1
		.amdhsa_system_sgpr_workgroup_id_y 0
		.amdhsa_system_sgpr_workgroup_id_z 0
		.amdhsa_system_sgpr_workgroup_info 0
		.amdhsa_system_vgpr_workitem_id 0
		.amdhsa_next_free_vgpr 15
		.amdhsa_next_free_sgpr 16
		.amdhsa_reserve_vcc 1
		.amdhsa_float_round_mode_32 0
		.amdhsa_float_round_mode_16_64 0
		.amdhsa_float_denorm_mode_32 3
		.amdhsa_float_denorm_mode_16_64 3
		.amdhsa_dx10_clamp 1
		.amdhsa_ieee_mode 1
		.amdhsa_fp16_overflow 0
		.amdhsa_workgroup_processor_mode 1
		.amdhsa_memory_ordered 1
		.amdhsa_forward_progress 0
		.amdhsa_shared_vgpr_count 0
		.amdhsa_exception_fp_ieee_invalid_op 0
		.amdhsa_exception_fp_denorm_src 0
		.amdhsa_exception_fp_ieee_div_zero 0
		.amdhsa_exception_fp_ieee_overflow 0
		.amdhsa_exception_fp_ieee_underflow 0
		.amdhsa_exception_fp_ieee_inexact 0
		.amdhsa_exception_int_div_zero 0
	.end_amdhsa_kernel
	.section	.text._ZN5aiter24topk_softplus_kernel_optI6__halffLi64ELb0ELi1EEEvPKT_PKT0_PfPimiif,"axG",@progbits,_ZN5aiter24topk_softplus_kernel_optI6__halffLi64ELb0ELi1EEEvPKT_PKT0_PfPimiif,comdat
.Lfunc_end104:
	.size	_ZN5aiter24topk_softplus_kernel_optI6__halffLi64ELb0ELi1EEEvPKT_PKT0_PfPimiif, .Lfunc_end104-_ZN5aiter24topk_softplus_kernel_optI6__halffLi64ELb0ELi1EEEvPKT_PKT0_PfPimiif
                                        ; -- End function
	.section	.AMDGPU.csdata,"",@progbits
; Kernel info:
; codeLenInByte = 848
; NumSgprs: 18
; NumVgprs: 15
; ScratchSize: 0
; MemoryBound: 0
; FloatMode: 240
; IeeeMode: 1
; LDSByteSize: 0 bytes/workgroup (compile time only)
; SGPRBlocks: 2
; VGPRBlocks: 1
; NumSGPRsForWavesPerEU: 18
; NumVGPRsForWavesPerEU: 15
; Occupancy: 16
; WaveLimiterHint : 0
; COMPUTE_PGM_RSRC2:SCRATCH_EN: 0
; COMPUTE_PGM_RSRC2:USER_SGPR: 15
; COMPUTE_PGM_RSRC2:TRAP_HANDLER: 0
; COMPUTE_PGM_RSRC2:TGID_X_EN: 1
; COMPUTE_PGM_RSRC2:TGID_Y_EN: 0
; COMPUTE_PGM_RSRC2:TGID_Z_EN: 0
; COMPUTE_PGM_RSRC2:TIDIG_COMP_CNT: 0
	.section	.text._ZN5aiter24topk_softplus_kernel_optI6__halffLi128ELb1ELi1EEEvPKT_PKT0_PfPimiif,"axG",@progbits,_ZN5aiter24topk_softplus_kernel_optI6__halffLi128ELb1ELi1EEEvPKT_PKT0_PfPimiif,comdat
	.protected	_ZN5aiter24topk_softplus_kernel_optI6__halffLi128ELb1ELi1EEEvPKT_PKT0_PfPimiif ; -- Begin function _ZN5aiter24topk_softplus_kernel_optI6__halffLi128ELb1ELi1EEEvPKT_PKT0_PfPimiif
	.globl	_ZN5aiter24topk_softplus_kernel_optI6__halffLi128ELb1ELi1EEEvPKT_PKT0_PfPimiif
	.p2align	8
	.type	_ZN5aiter24topk_softplus_kernel_optI6__halffLi128ELb1ELi1EEEvPKT_PKT0_PfPimiif,@function
_ZN5aiter24topk_softplus_kernel_optI6__halffLi128ELb1ELi1EEEvPKT_PKT0_PfPimiif: ; @_ZN5aiter24topk_softplus_kernel_optI6__halffLi128ELb1ELi1EEEvPKT_PKT0_PfPimiif
; %bb.0:
	s_load_b128 s[4:7], s[0:1], 0x0
	s_lshl_b32 s2, s15, 7
	v_lshlrev_b32_e32 v1, 1, v0
	s_ashr_i32 s3, s2, 31
	s_delay_alu instid0(SALU_CYCLE_1)
	s_lshl_b64 s[2:3], s[2:3], 1
	s_waitcnt lgkmcnt(0)
	s_add_u32 s4, s4, s2
	s_addc_u32 s5, s5, s3
	s_mov_b32 s3, 0xbfb8aa3b
	global_load_u16 v2, v1, s[4:5]
	v_add_co_u32 v1, s4, s4, v1
	s_cmp_lg_u64 s[6:7], 0
	s_cselect_b32 s2, -1, 0
	s_waitcnt vmcnt(0)
	v_cvt_f32_f16_e32 v3, v2
	s_delay_alu instid0(VALU_DEP_1) | instskip(NEXT) | instid1(VALU_DEP_1)
	v_mul_f32_e32 v3, 0xbfb8aa3b, v3
	v_cmp_gt_f32_e32 vcc_lo, 0xc2fc0000, v3
	v_cndmask_b32_e64 v3, 0, 0x42800000, vcc_lo
	s_delay_alu instid0(VALU_DEP_1) | instskip(SKIP_2) | instid1(VALU_DEP_2)
	v_fma_mix_f32 v2, v2, s3, v3 op_sel_hi:[1,0,0]
	v_cndmask_b32_e64 v3, 1.0, 0x1f800000, vcc_lo
	s_and_b32 vcc_lo, exec_lo, s2
	v_exp_f32_e32 v2, v2
	s_waitcnt_depctr 0xfff
	v_fma_f32 v2, v2, v3, 1.0
	v_lshlrev_b32_e32 v3, 2, v0
	s_delay_alu instid0(VALU_DEP_2)
	v_rcp_f32_e32 v6, v2
	v_add_co_ci_u32_e64 v2, null, s5, 0, s4
	s_waitcnt_depctr 0xfff
	v_mov_b32_e32 v11, v6
	s_cbranch_vccz .LBB105_2
; %bb.1:
	global_load_b32 v4, v3, s[6:7]
	s_waitcnt vmcnt(0)
	v_add_f32_e32 v11, v6, v4
.LBB105_2:
	global_load_u16 v4, v[1:2], off offset:64
	s_waitcnt vmcnt(0)
	v_cvt_f32_f16_e32 v5, v4
	s_delay_alu instid0(VALU_DEP_1) | instskip(NEXT) | instid1(VALU_DEP_1)
	v_mul_f32_e32 v5, 0xbfb8aa3b, v5
	v_cmp_gt_f32_e32 vcc_lo, 0xc2fc0000, v5
	v_cndmask_b32_e64 v7, 0, 0x42800000, vcc_lo
	v_cndmask_b32_e64 v5, 1.0, 0x1f800000, vcc_lo
	s_and_not1_b32 vcc_lo, exec_lo, s2
	s_delay_alu instid0(VALU_DEP_2) | instskip(NEXT) | instid1(VALU_DEP_1)
	v_fma_mix_f32 v4, v4, s3, v7 op_sel_hi:[1,0,0]
	v_exp_f32_e32 v4, v4
	s_waitcnt_depctr 0xfff
	v_fma_f32 v4, v4, v5, 1.0
	s_delay_alu instid0(VALU_DEP_1)
	v_rcp_f32_e32 v9, v4
	v_cndmask_b32_e64 v4, 0, 1, s2
	s_waitcnt_depctr 0xfff
	v_mov_b32_e32 v13, v9
	s_cbranch_vccnz .LBB105_4
; %bb.3:
	global_load_b32 v5, v3, s[6:7] offset:128
	s_waitcnt vmcnt(0)
	v_add_f32_e32 v13, v9, v5
.LBB105_4:
	global_load_u16 v5, v[1:2], off offset:128
	s_mov_b32 s2, 0xbfb8aa3b
	s_waitcnt vmcnt(0)
	v_cvt_f32_f16_e32 v7, v5
	s_delay_alu instid0(VALU_DEP_1) | instskip(NEXT) | instid1(VALU_DEP_1)
	v_mul_f32_e32 v7, 0xbfb8aa3b, v7
	v_cmp_gt_f32_e32 vcc_lo, 0xc2fc0000, v7
	v_cndmask_b32_e64 v8, 0, 0x42800000, vcc_lo
	v_cndmask_b32_e64 v7, 1.0, 0x1f800000, vcc_lo
	v_cmp_ne_u32_e32 vcc_lo, 1, v4
	s_delay_alu instid0(VALU_DEP_3) | instskip(SKIP_1) | instid1(VALU_DEP_1)
	v_fma_mix_f32 v5, v5, s2, v8 op_sel_hi:[1,0,0]
	s_and_b32 vcc_lo, exec_lo, vcc_lo
	v_exp_f32_e32 v5, v5
	s_waitcnt_depctr 0xfff
	v_fma_f32 v5, v5, v7, 1.0
	s_delay_alu instid0(VALU_DEP_1)
	v_rcp_f32_e32 v5, v5
	s_waitcnt_depctr 0xfff
	v_mov_b32_e32 v7, v5
	s_cbranch_vccnz .LBB105_6
; %bb.5:
	global_load_b32 v7, v3, s[6:7] offset:256
	s_waitcnt vmcnt(0)
	v_add_f32_e32 v7, v5, v7
.LBB105_6:
	global_load_u16 v1, v[1:2], off offset:192
	s_waitcnt vmcnt(0)
	v_cvt_f32_f16_e32 v2, v1
	s_delay_alu instid0(VALU_DEP_1) | instskip(NEXT) | instid1(VALU_DEP_1)
	v_mul_f32_e32 v2, 0xbfb8aa3b, v2
	v_cmp_gt_f32_e32 vcc_lo, 0xc2fc0000, v2
	v_cndmask_b32_e64 v8, 0, 0x42800000, vcc_lo
	v_cndmask_b32_e64 v2, 1.0, 0x1f800000, vcc_lo
	v_cmp_ne_u32_e32 vcc_lo, 1, v4
	s_delay_alu instid0(VALU_DEP_3) | instskip(SKIP_1) | instid1(VALU_DEP_1)
	v_fma_mix_f32 v1, v1, s2, v8 op_sel_hi:[1,0,0]
	s_and_b32 vcc_lo, exec_lo, vcc_lo
	v_exp_f32_e32 v1, v1
	s_waitcnt_depctr 0xfff
	v_fma_f32 v1, v1, v2, 1.0
	s_delay_alu instid0(VALU_DEP_1)
	v_rcp_f32_e32 v1, v1
	s_waitcnt_depctr 0xfff
	v_mov_b32_e32 v2, v1
	s_cbranch_vccnz .LBB105_8
; %bb.7:
	global_load_b32 v2, v3, s[6:7] offset:384
	s_waitcnt vmcnt(0)
	v_add_f32_e32 v2, v1, v2
.LBB105_8:
	v_cmp_lt_f32_e32 vcc_lo, v11, v13
	v_add_nc_u32_e32 v12, 32, v0
	v_add_nc_u32_e32 v14, 64, v0
	v_dual_mov_b32 v15, v7 :: v_dual_add_nc_u32 v4, 0x60, v0
	v_cndmask_b32_e32 v8, v9, v6, vcc_lo
	v_dual_cndmask_b32 v6, v6, v9 :: v_dual_cndmask_b32 v9, v13, v11
	v_cndmask_b32_e32 v10, v12, v0, vcc_lo
	v_dual_cndmask_b32 v12, v0, v12 :: v_dual_cndmask_b32 v11, v11, v13
	s_mov_b32 s2, exec_lo
	v_cmpx_lt_f32_e32 v7, v2
	s_xor_b32 s2, exec_lo, s2
; %bb.9:
	v_dual_mov_b32 v13, v5 :: v_dual_mov_b32 v16, v7
	v_mov_b32_e32 v15, v14
	v_swap_b32 v5, v1
	v_swap_b32 v14, v4
	v_mov_b32_e32 v7, v2
	v_dual_mov_b32 v15, v2 :: v_dual_mov_b32 v2, v16
; %bb.10:
	s_or_b32 exec_lo, exec_lo, s2
	s_delay_alu instid0(VALU_DEP_2)
	v_cmp_lt_f32_e32 vcc_lo, v11, v7
	s_mov_b32 s2, exec_lo
	v_dual_cndmask_b32 v16, v5, v6 :: v_dual_cndmask_b32 v5, v6, v5
	v_dual_cndmask_b32 v13, v14, v12 :: v_dual_cndmask_b32 v6, v12, v14
	v_dual_cndmask_b32 v14, v15, v11 :: v_dual_mov_b32 v15, v9
	v_cndmask_b32_e32 v7, v11, v7, vcc_lo
	v_cmpx_lt_f32_e32 v9, v2
; %bb.11:
	v_mov_b32_e32 v17, v9
	v_dual_mov_b32 v11, v8 :: v_dual_mov_b32 v12, v10
	v_swap_b32 v8, v1
	v_swap_b32 v10, v4
	v_mov_b32_e32 v9, v2
	v_dual_mov_b32 v15, v2 :: v_dual_mov_b32 v2, v17
; %bb.12:
	s_or_b32 exec_lo, exec_lo, s2
	s_clause 0x1
	s_load_b32 s8, s[0:1], 0x28
	s_load_b128 s[4:7], s[0:1], 0x10
	v_mov_b32_e32 v11, 0
	s_waitcnt lgkmcnt(0)
	s_cmp_lt_i32 s8, 1
	s_cbranch_scc1 .LBB105_18
; %bb.13:
	v_cmp_lt_f32_e32 vcc_lo, v9, v14
	v_mov_b32_e32 v18, v0
	s_mov_b32 s9, 0x76543210
	s_mov_b32 s10, s8
	v_dual_mov_b32 v11, 0 :: v_dual_cndmask_b32 v12, v13, v10
	v_cndmask_b32_e32 v10, v10, v13, vcc_lo
	v_dual_cndmask_b32 v13, v14, v9 :: v_dual_cndmask_b32 v14, v15, v14
	v_cndmask_b32_e32 v15, v16, v8, vcc_lo
	v_dual_cndmask_b32 v16, v8, v16 :: v_dual_mov_b32 v17, 0
	v_dual_mov_b32 v8, 0 :: v_dual_mov_b32 v9, 0
.LBB105_14:                             ; =>This Inner Loop Header: Depth=1
	s_delay_alu instid0(VALU_DEP_2) | instskip(SKIP_1) | instid1(VALU_DEP_4)
	v_cmp_eq_u32_e32 vcc_lo, 1, v17
	v_cmp_eq_u32_e64 s2, 2, v17
	v_dual_cndmask_b32 v20, v6, v10 :: v_dual_cndmask_b32 v21, v5, v16
	s_delay_alu instid0(VALU_DEP_1) | instskip(SKIP_2) | instid1(VALU_DEP_4)
	v_cndmask_b32_e64 v20, v20, v12, s2
	v_cndmask_b32_e32 v19, v7, v14, vcc_lo
	v_cmp_eq_u32_e32 vcc_lo, 3, v17
	v_cndmask_b32_e64 v21, v21, v15, s2
	s_delay_alu instid0(VALU_DEP_4) | instskip(NEXT) | instid1(VALU_DEP_4)
	v_cndmask_b32_e32 v20, v20, v4, vcc_lo
	v_cndmask_b32_e64 v19, v19, v13, s2
	v_cmp_gt_u32_e64 s2, 4, v17
	s_delay_alu instid0(VALU_DEP_2) | instskip(NEXT) | instid1(VALU_DEP_2)
	v_cndmask_b32_e32 v19, v19, v2, vcc_lo
	v_cndmask_b32_e64 v22, 0, v20, s2
	s_delay_alu instid0(VALU_DEP_2)
	v_cndmask_b32_e64 v19, 0xff800000, v19, s2
	;;#ASMSTART
	v_max_f32 v23, v19, v19 quad_perm:[1,0,3,2] row_mask:0xf bank_mask:0xf bound_ctrl:1
	;;#ASMEND
	;;#ASMSTART
	v_max_f32 v24, v23, v23 quad_perm:[2,3,0,1] row_mask:0xf bank_mask:0xf bound_ctrl:1
	;;#ASMEND
	;;#ASMSTART
	v_max_f32 v23, v24, v24 row_half_mirror row_mask:0xf bank_mask:0xf bound_ctrl:1
	;;#ASMEND
	;;#ASMSTART
	v_max_f32 v24, v23, v23 row_mirror row_mask:0xf bank_mask:0xf bound_ctrl:1
	;;#ASMEND
	v_permlanex16_b32 v23, v24, s9, 0xfedcba98 op_sel:[1,1]
	s_delay_alu instid0(VALU_DEP_1) | instskip(NEXT) | instid1(VALU_DEP_1)
	v_dual_max_f32 v24, v24, v24 :: v_dual_max_f32 v23, v23, v23
	v_max_f32_e32 v23, v24, v23
	s_delay_alu instid0(VALU_DEP_1) | instskip(SKIP_1) | instid1(VALU_DEP_2)
	v_cmp_eq_f32_e64 s3, v19, v23
	v_cndmask_b32_e32 v19, v21, v1, vcc_lo
	s_ctz_i32_b32 s11, s3
	s_cmp_lg_u32 s3, 0
	s_cselect_b32 s3, s11, 0
	s_add_i32 s10, s10, -1
	v_readlane_b32 s3, v22, s3
	s_delay_alu instid0(VALU_DEP_1)
	v_cmp_eq_u32_e32 vcc_lo, s3, v20
	s_and_b32 vcc_lo, s2, vcc_lo
	s_and_b32 s2, s3, 31
	v_cndmask_b32_e32 v19, 0, v19, vcc_lo
	v_add_co_ci_u32_e32 v17, vcc_lo, 0, v17, vcc_lo
	s_cmp_eq_u32 s10, 0
	s_delay_alu instid0(VALU_DEP_2) | instskip(SKIP_1) | instid1(VALU_DEP_2)
	v_readlane_b32 s11, v19, s2
	v_cmp_eq_u32_e64 s2, 0, v18
	v_dual_add_f32 v11, s11, v11 :: v_dual_add_nc_u32 v18, -1, v18
	s_delay_alu instid0(VALU_DEP_2)
	v_cndmask_b32_e64 v9, v9, s11, s2
	v_cndmask_b32_e64 v8, v8, s3, s2
	s_cbranch_scc0 .LBB105_14
; %bb.15:
	s_mov_b32 s2, exec_lo
	v_cmpx_gt_i32_e64 s8, v0
	s_cbranch_execz .LBB105_17
.LBB105_16:
	s_load_b32 s2, s[0:1], 0x30
	v_max_f32_e32 v0, v11, v11
	s_load_b64 s[0:1], s[0:1], 0x20
	s_ashr_i32 s3, s15, 31
	s_delay_alu instid0(VALU_DEP_1) | instskip(SKIP_1) | instid1(VALU_DEP_1)
	v_max_f32_e32 v0, 0x1e3ce508, v0
	s_waitcnt lgkmcnt(0)
	v_div_scale_f32 v1, null, v0, v0, s2
	v_div_scale_f32 v5, vcc_lo, s2, v0, s2
	s_mul_i32 s1, s15, s1
	s_delay_alu instid0(VALU_DEP_2)
	v_rcp_f32_e32 v2, v1
	s_mul_hi_u32 s8, s15, s0
	s_mul_i32 s3, s3, s0
	s_add_i32 s1, s8, s1
	s_mul_i32 s0, s15, s0
	s_add_i32 s1, s1, s3
	s_delay_alu instid0(SALU_CYCLE_1) | instskip(SKIP_2) | instid1(VALU_DEP_1)
	s_lshl_b64 s[0:1], s[0:1], 2
	s_waitcnt_depctr 0xfff
	v_fma_f32 v4, -v1, v2, 1.0
	v_fmac_f32_e32 v2, v4, v2
	s_delay_alu instid0(VALU_DEP_1) | instskip(NEXT) | instid1(VALU_DEP_1)
	v_mul_f32_e32 v4, v5, v2
	v_fma_f32 v6, -v1, v4, v5
	s_delay_alu instid0(VALU_DEP_1) | instskip(NEXT) | instid1(VALU_DEP_1)
	v_fmac_f32_e32 v4, v6, v2
	v_fma_f32 v1, -v1, v4, v5
	s_delay_alu instid0(VALU_DEP_1) | instskip(NEXT) | instid1(VALU_DEP_1)
	v_div_fmas_f32 v1, v1, v2, v4
	v_div_fixup_f32 v0, v1, v0, s2
	s_add_u32 s2, s4, s0
	s_addc_u32 s3, s5, s1
	s_add_u32 s0, s6, s0
	s_addc_u32 s1, s7, s1
	v_mul_f32_e32 v0, v9, v0
	s_clause 0x1
	global_store_b32 v3, v0, s[2:3]
	global_store_b32 v3, v8, s[0:1]
.LBB105_17:
	s_nop 0
	s_sendmsg sendmsg(MSG_DEALLOC_VGPRS)
	s_endpgm
.LBB105_18:
	v_dual_mov_b32 v8, 0 :: v_dual_mov_b32 v9, 0
	s_mov_b32 s2, exec_lo
	v_cmpx_gt_i32_e64 s8, v0
	s_cbranch_execnz .LBB105_16
	s_branch .LBB105_17
	.section	.rodata,"a",@progbits
	.p2align	6, 0x0
	.amdhsa_kernel _ZN5aiter24topk_softplus_kernel_optI6__halffLi128ELb1ELi1EEEvPKT_PKT0_PfPimiif
		.amdhsa_group_segment_fixed_size 0
		.amdhsa_private_segment_fixed_size 0
		.amdhsa_kernarg_size 52
		.amdhsa_user_sgpr_count 15
		.amdhsa_user_sgpr_dispatch_ptr 0
		.amdhsa_user_sgpr_queue_ptr 0
		.amdhsa_user_sgpr_kernarg_segment_ptr 1
		.amdhsa_user_sgpr_dispatch_id 0
		.amdhsa_user_sgpr_private_segment_size 0
		.amdhsa_wavefront_size32 1
		.amdhsa_uses_dynamic_stack 0
		.amdhsa_enable_private_segment 0
		.amdhsa_system_sgpr_workgroup_id_x 1
		.amdhsa_system_sgpr_workgroup_id_y 0
		.amdhsa_system_sgpr_workgroup_id_z 0
		.amdhsa_system_sgpr_workgroup_info 0
		.amdhsa_system_vgpr_workitem_id 0
		.amdhsa_next_free_vgpr 25
		.amdhsa_next_free_sgpr 16
		.amdhsa_reserve_vcc 1
		.amdhsa_float_round_mode_32 0
		.amdhsa_float_round_mode_16_64 0
		.amdhsa_float_denorm_mode_32 3
		.amdhsa_float_denorm_mode_16_64 3
		.amdhsa_dx10_clamp 1
		.amdhsa_ieee_mode 1
		.amdhsa_fp16_overflow 0
		.amdhsa_workgroup_processor_mode 1
		.amdhsa_memory_ordered 1
		.amdhsa_forward_progress 0
		.amdhsa_shared_vgpr_count 0
		.amdhsa_exception_fp_ieee_invalid_op 0
		.amdhsa_exception_fp_denorm_src 0
		.amdhsa_exception_fp_ieee_div_zero 0
		.amdhsa_exception_fp_ieee_overflow 0
		.amdhsa_exception_fp_ieee_underflow 0
		.amdhsa_exception_fp_ieee_inexact 0
		.amdhsa_exception_int_div_zero 0
	.end_amdhsa_kernel
	.section	.text._ZN5aiter24topk_softplus_kernel_optI6__halffLi128ELb1ELi1EEEvPKT_PKT0_PfPimiif,"axG",@progbits,_ZN5aiter24topk_softplus_kernel_optI6__halffLi128ELb1ELi1EEEvPKT_PKT0_PfPimiif,comdat
.Lfunc_end105:
	.size	_ZN5aiter24topk_softplus_kernel_optI6__halffLi128ELb1ELi1EEEvPKT_PKT0_PfPimiif, .Lfunc_end105-_ZN5aiter24topk_softplus_kernel_optI6__halffLi128ELb1ELi1EEEvPKT_PKT0_PfPimiif
                                        ; -- End function
	.section	.AMDGPU.csdata,"",@progbits
; Kernel info:
; codeLenInByte = 1480
; NumSgprs: 18
; NumVgprs: 25
; ScratchSize: 0
; MemoryBound: 0
; FloatMode: 240
; IeeeMode: 1
; LDSByteSize: 0 bytes/workgroup (compile time only)
; SGPRBlocks: 2
; VGPRBlocks: 3
; NumSGPRsForWavesPerEU: 18
; NumVGPRsForWavesPerEU: 25
; Occupancy: 16
; WaveLimiterHint : 0
; COMPUTE_PGM_RSRC2:SCRATCH_EN: 0
; COMPUTE_PGM_RSRC2:USER_SGPR: 15
; COMPUTE_PGM_RSRC2:TRAP_HANDLER: 0
; COMPUTE_PGM_RSRC2:TGID_X_EN: 1
; COMPUTE_PGM_RSRC2:TGID_Y_EN: 0
; COMPUTE_PGM_RSRC2:TGID_Z_EN: 0
; COMPUTE_PGM_RSRC2:TIDIG_COMP_CNT: 0
	.section	.text._ZN5aiter24topk_softplus_kernel_optI6__halffLi128ELb0ELi1EEEvPKT_PKT0_PfPimiif,"axG",@progbits,_ZN5aiter24topk_softplus_kernel_optI6__halffLi128ELb0ELi1EEEvPKT_PKT0_PfPimiif,comdat
	.protected	_ZN5aiter24topk_softplus_kernel_optI6__halffLi128ELb0ELi1EEEvPKT_PKT0_PfPimiif ; -- Begin function _ZN5aiter24topk_softplus_kernel_optI6__halffLi128ELb0ELi1EEEvPKT_PKT0_PfPimiif
	.globl	_ZN5aiter24topk_softplus_kernel_optI6__halffLi128ELb0ELi1EEEvPKT_PKT0_PfPimiif
	.p2align	8
	.type	_ZN5aiter24topk_softplus_kernel_optI6__halffLi128ELb0ELi1EEEvPKT_PKT0_PfPimiif,@function
_ZN5aiter24topk_softplus_kernel_optI6__halffLi128ELb0ELi1EEEvPKT_PKT0_PfPimiif: ; @_ZN5aiter24topk_softplus_kernel_optI6__halffLi128ELb0ELi1EEEvPKT_PKT0_PfPimiif
; %bb.0:
	s_load_b128 s[4:7], s[0:1], 0x0
	s_lshl_b32 s2, s15, 7
	v_lshlrev_b32_e32 v1, 1, v0
	s_ashr_i32 s3, s2, 31
	s_delay_alu instid0(SALU_CYCLE_1)
	s_lshl_b64 s[2:3], s[2:3], 1
	s_waitcnt lgkmcnt(0)
	s_add_u32 s4, s4, s2
	s_addc_u32 s5, s5, s3
	s_mov_b32 s3, 0xbfb8aa3b
	global_load_u16 v2, v1, s[4:5]
	v_add_co_u32 v1, s4, s4, v1
	s_cmp_lg_u64 s[6:7], 0
	s_cselect_b32 s2, -1, 0
	s_waitcnt vmcnt(0)
	v_cvt_f32_f16_e32 v3, v2
	s_delay_alu instid0(VALU_DEP_1) | instskip(NEXT) | instid1(VALU_DEP_1)
	v_mul_f32_e32 v3, 0xbfb8aa3b, v3
	v_cmp_gt_f32_e32 vcc_lo, 0xc2fc0000, v3
	v_cndmask_b32_e64 v3, 0, 0x42800000, vcc_lo
	s_delay_alu instid0(VALU_DEP_1) | instskip(SKIP_2) | instid1(VALU_DEP_2)
	v_fma_mix_f32 v2, v2, s3, v3 op_sel_hi:[1,0,0]
	v_cndmask_b32_e64 v3, 1.0, 0x1f800000, vcc_lo
	s_and_b32 vcc_lo, exec_lo, s2
	v_exp_f32_e32 v2, v2
	s_waitcnt_depctr 0xfff
	v_fma_f32 v2, v2, v3, 1.0
	v_lshlrev_b32_e32 v3, 2, v0
	s_delay_alu instid0(VALU_DEP_2)
	v_rcp_f32_e32 v6, v2
	v_add_co_ci_u32_e64 v2, null, s5, 0, s4
	s_waitcnt_depctr 0xfff
	v_mov_b32_e32 v11, v6
	s_cbranch_vccz .LBB106_2
; %bb.1:
	global_load_b32 v4, v3, s[6:7]
	s_waitcnt vmcnt(0)
	v_add_f32_e32 v11, v6, v4
.LBB106_2:
	global_load_u16 v4, v[1:2], off offset:64
	s_waitcnt vmcnt(0)
	v_cvt_f32_f16_e32 v5, v4
	s_delay_alu instid0(VALU_DEP_1) | instskip(NEXT) | instid1(VALU_DEP_1)
	v_mul_f32_e32 v5, 0xbfb8aa3b, v5
	v_cmp_gt_f32_e32 vcc_lo, 0xc2fc0000, v5
	v_cndmask_b32_e64 v7, 0, 0x42800000, vcc_lo
	v_cndmask_b32_e64 v5, 1.0, 0x1f800000, vcc_lo
	s_and_not1_b32 vcc_lo, exec_lo, s2
	s_delay_alu instid0(VALU_DEP_2) | instskip(NEXT) | instid1(VALU_DEP_1)
	v_fma_mix_f32 v4, v4, s3, v7 op_sel_hi:[1,0,0]
	v_exp_f32_e32 v4, v4
	s_waitcnt_depctr 0xfff
	v_fma_f32 v4, v4, v5, 1.0
	s_delay_alu instid0(VALU_DEP_1)
	v_rcp_f32_e32 v9, v4
	v_cndmask_b32_e64 v4, 0, 1, s2
	s_waitcnt_depctr 0xfff
	v_mov_b32_e32 v12, v9
	s_cbranch_vccnz .LBB106_4
; %bb.3:
	global_load_b32 v5, v3, s[6:7] offset:128
	s_waitcnt vmcnt(0)
	v_add_f32_e32 v12, v9, v5
.LBB106_4:
	global_load_u16 v5, v[1:2], off offset:128
	s_mov_b32 s2, 0xbfb8aa3b
	s_waitcnt vmcnt(0)
	v_cvt_f32_f16_e32 v7, v5
	s_delay_alu instid0(VALU_DEP_1) | instskip(NEXT) | instid1(VALU_DEP_1)
	v_mul_f32_e32 v7, 0xbfb8aa3b, v7
	v_cmp_gt_f32_e32 vcc_lo, 0xc2fc0000, v7
	v_cndmask_b32_e64 v8, 0, 0x42800000, vcc_lo
	v_cndmask_b32_e64 v7, 1.0, 0x1f800000, vcc_lo
	v_cmp_ne_u32_e32 vcc_lo, 1, v4
	s_delay_alu instid0(VALU_DEP_3) | instskip(SKIP_1) | instid1(VALU_DEP_1)
	v_fma_mix_f32 v5, v5, s2, v8 op_sel_hi:[1,0,0]
	s_and_b32 vcc_lo, exec_lo, vcc_lo
	v_exp_f32_e32 v5, v5
	s_waitcnt_depctr 0xfff
	v_fma_f32 v5, v5, v7, 1.0
	s_delay_alu instid0(VALU_DEP_1)
	v_rcp_f32_e32 v5, v5
	s_waitcnt_depctr 0xfff
	v_mov_b32_e32 v7, v5
	s_cbranch_vccnz .LBB106_6
; %bb.5:
	global_load_b32 v7, v3, s[6:7] offset:256
	s_waitcnt vmcnt(0)
	v_add_f32_e32 v7, v5, v7
.LBB106_6:
	global_load_u16 v1, v[1:2], off offset:192
	s_waitcnt vmcnt(0)
	v_cvt_f32_f16_e32 v2, v1
	s_delay_alu instid0(VALU_DEP_1) | instskip(NEXT) | instid1(VALU_DEP_1)
	v_mul_f32_e32 v2, 0xbfb8aa3b, v2
	v_cmp_gt_f32_e32 vcc_lo, 0xc2fc0000, v2
	v_cndmask_b32_e64 v8, 0, 0x42800000, vcc_lo
	v_cndmask_b32_e64 v2, 1.0, 0x1f800000, vcc_lo
	v_cmp_ne_u32_e32 vcc_lo, 1, v4
	s_delay_alu instid0(VALU_DEP_3) | instskip(SKIP_1) | instid1(VALU_DEP_1)
	v_fma_mix_f32 v1, v1, s2, v8 op_sel_hi:[1,0,0]
	s_and_b32 vcc_lo, exec_lo, vcc_lo
	v_exp_f32_e32 v1, v1
	s_waitcnt_depctr 0xfff
	v_fma_f32 v1, v1, v2, 1.0
	s_delay_alu instid0(VALU_DEP_1)
	v_rcp_f32_e32 v1, v1
	s_waitcnt_depctr 0xfff
	v_mov_b32_e32 v2, v1
	s_cbranch_vccnz .LBB106_8
; %bb.7:
	global_load_b32 v2, v3, s[6:7] offset:384
	s_waitcnt vmcnt(0)
	v_add_f32_e32 v2, v1, v2
.LBB106_8:
	v_cmp_lt_f32_e32 vcc_lo, v11, v12
	v_add_nc_u32_e32 v13, 32, v0
	v_add_nc_u32_e32 v4, 0x60, v0
	v_mov_b32_e32 v16, v7
	s_mov_b32 s2, exec_lo
	v_cndmask_b32_e32 v8, v9, v6, vcc_lo
	v_add_nc_u32_e32 v14, 64, v0
	v_cndmask_b32_e32 v6, v6, v9, vcc_lo
	v_dual_cndmask_b32 v10, v13, v0 :: v_dual_cndmask_b32 v13, v0, v13
	v_cndmask_b32_e32 v9, v12, v11, vcc_lo
	v_cndmask_b32_e32 v11, v11, v12, vcc_lo
	v_cmpx_lt_f32_e32 v7, v2
	s_xor_b32 s2, exec_lo, s2
; %bb.9:
	v_dual_mov_b32 v17, v7 :: v_dual_mov_b32 v16, v2
	v_dual_mov_b32 v12, v5 :: v_dual_mov_b32 v15, v14
	v_swap_b32 v5, v1
	v_swap_b32 v14, v4
	s_delay_alu instid0(VALU_DEP_4)
	v_dual_mov_b32 v7, v2 :: v_dual_mov_b32 v2, v17
; %bb.10:
	s_or_b32 exec_lo, exec_lo, s2
	s_delay_alu instid0(VALU_DEP_1) | instskip(SKIP_1) | instid1(VALU_DEP_3)
	v_cmp_lt_f32_e32 vcc_lo, v11, v7
	s_mov_b32 s2, exec_lo
	v_dual_cndmask_b32 v15, v5, v6 :: v_dual_cndmask_b32 v12, v14, v13
	v_dual_cndmask_b32 v5, v6, v5 :: v_dual_cndmask_b32 v6, v13, v14
	v_dual_cndmask_b32 v13, v16, v11 :: v_dual_mov_b32 v14, v9
	v_cndmask_b32_e32 v7, v11, v7, vcc_lo
	v_cmpx_lt_f32_e32 v9, v2
; %bb.11:
	v_dual_mov_b32 v16, v9 :: v_dual_mov_b32 v9, v2
	v_dual_mov_b32 v11, v8 :: v_dual_mov_b32 v14, v10
	v_swap_b32 v8, v1
	v_swap_b32 v10, v4
	v_mov_b32_e32 v14, v2
	v_mov_b32_e32 v2, v16
; %bb.12:
	s_or_b32 exec_lo, exec_lo, s2
	s_clause 0x1
	s_load_b32 s8, s[0:1], 0x28
	s_load_b128 s[4:7], s[0:1], 0x10
	s_waitcnt lgkmcnt(0)
	s_cmp_lt_i32 s8, 1
	s_cbranch_scc1 .LBB106_18
; %bb.13:
	v_cmp_lt_f32_e32 vcc_lo, v9, v13
	v_dual_mov_b32 v16, 0 :: v_dual_mov_b32 v17, v0
	s_mov_b32 s9, 0x76543210
	s_mov_b32 s10, s8
	v_dual_cndmask_b32 v11, v12, v10 :: v_dual_cndmask_b32 v10, v10, v12
	v_cndmask_b32_e32 v12, v13, v9, vcc_lo
	v_dual_cndmask_b32 v13, v14, v13 :: v_dual_cndmask_b32 v14, v15, v8
	v_cndmask_b32_e32 v15, v8, v15, vcc_lo
	v_dual_mov_b32 v9, 0 :: v_dual_mov_b32 v8, 0
.LBB106_14:                             ; =>This Inner Loop Header: Depth=1
	v_cmp_eq_u32_e32 vcc_lo, 1, v16
	v_cmp_eq_u32_e64 s2, 2, v16
	v_cmp_gt_u32_e64 s3, 4, v16
	v_dual_cndmask_b32 v18, v7, v13 :: v_dual_cndmask_b32 v19, v6, v10
	v_cndmask_b32_e32 v20, v5, v15, vcc_lo
	v_cmp_eq_u32_e32 vcc_lo, 3, v16
	s_delay_alu instid0(VALU_DEP_3) | instskip(NEXT) | instid1(VALU_DEP_4)
	v_cndmask_b32_e64 v18, v18, v12, s2
	v_cndmask_b32_e64 v19, v19, v11, s2
	s_delay_alu instid0(VALU_DEP_1) | instskip(NEXT) | instid1(VALU_DEP_1)
	v_dual_cndmask_b32 v18, v18, v2 :: v_dual_cndmask_b32 v19, v19, v4
	v_cndmask_b32_e64 v18, 0xff800000, v18, s3
	;;#ASMSTART
	v_max_f32 v21, v18, v18 quad_perm:[1,0,3,2] row_mask:0xf bank_mask:0xf bound_ctrl:1
	;;#ASMEND
	;;#ASMSTART
	v_max_f32 v22, v21, v21 quad_perm:[2,3,0,1] row_mask:0xf bank_mask:0xf bound_ctrl:1
	;;#ASMEND
	;;#ASMSTART
	v_max_f32 v21, v22, v22 row_half_mirror row_mask:0xf bank_mask:0xf bound_ctrl:1
	;;#ASMEND
	;;#ASMSTART
	v_max_f32 v22, v21, v21 row_mirror row_mask:0xf bank_mask:0xf bound_ctrl:1
	;;#ASMEND
	v_permlanex16_b32 v21, v22, s9, 0xfedcba98 op_sel:[1,1]
	s_delay_alu instid0(VALU_DEP_1) | instskip(NEXT) | instid1(VALU_DEP_1)
	v_dual_max_f32 v22, v22, v22 :: v_dual_max_f32 v21, v21, v21
	v_max_f32_e32 v21, v22, v21
	v_cndmask_b32_e64 v20, v20, v14, s2
	s_delay_alu instid0(VALU_DEP_2) | instskip(SKIP_1) | instid1(VALU_DEP_2)
	v_cmp_eq_f32_e64 s2, v18, v21
	v_cndmask_b32_e64 v18, 0, v19, s3
	s_ctz_i32_b32 s11, s2
	s_cmp_lg_u32 s2, 0
	s_cselect_b32 s2, s11, 0
	s_add_i32 s10, s10, -1
	v_readlane_b32 s11, v18, s2
	v_cndmask_b32_e32 v18, v20, v1, vcc_lo
	s_delay_alu instid0(VALU_DEP_2)
	v_cmp_eq_u32_e32 vcc_lo, s11, v19
	s_and_b32 s2, s11, 31
	s_and_b32 vcc_lo, s3, vcc_lo
	s_cmp_eq_u32 s10, 0
	v_cndmask_b32_e32 v18, 0, v18, vcc_lo
	v_add_co_ci_u32_e32 v16, vcc_lo, 0, v16, vcc_lo
	s_delay_alu instid0(VALU_DEP_2) | instskip(SKIP_2) | instid1(VALU_DEP_2)
	v_readlane_b32 s3, v18, s2
	v_cmp_eq_u32_e64 s2, 0, v17
	v_add_nc_u32_e32 v17, -1, v17
	v_cndmask_b32_e64 v9, v9, s3, s2
	v_cndmask_b32_e64 v8, v8, s11, s2
	s_cbranch_scc0 .LBB106_14
; %bb.15:
	s_mov_b32 s2, exec_lo
	v_cmpx_gt_i32_e64 s8, v0
	s_cbranch_execz .LBB106_17
.LBB106_16:
	s_clause 0x1
	s_load_b64 s[2:3], s[0:1], 0x20
	s_load_b32 s8, s[0:1], 0x30
	s_ashr_i32 s0, s15, 31
	s_waitcnt lgkmcnt(0)
	s_mul_i32 s1, s15, s3
	s_mul_hi_u32 s3, s15, s2
	s_mul_i32 s0, s0, s2
	s_add_i32 s1, s3, s1
	v_mul_f32_e32 v0, s8, v9
	s_add_i32 s1, s1, s0
	s_mul_i32 s0, s15, s2
	s_delay_alu instid0(SALU_CYCLE_1) | instskip(NEXT) | instid1(SALU_CYCLE_1)
	s_lshl_b64 s[0:1], s[0:1], 2
	s_add_u32 s2, s4, s0
	s_addc_u32 s3, s5, s1
	s_add_u32 s0, s6, s0
	s_addc_u32 s1, s7, s1
	s_clause 0x1
	global_store_b32 v3, v0, s[2:3]
	global_store_b32 v3, v8, s[0:1]
.LBB106_17:
	s_nop 0
	s_sendmsg sendmsg(MSG_DEALLOC_VGPRS)
	s_endpgm
.LBB106_18:
	v_dual_mov_b32 v8, 0 :: v_dual_mov_b32 v9, 0
	s_mov_b32 s2, exec_lo
	v_cmpx_gt_i32_e64 s8, v0
	s_cbranch_execnz .LBB106_16
	s_branch .LBB106_17
	.section	.rodata,"a",@progbits
	.p2align	6, 0x0
	.amdhsa_kernel _ZN5aiter24topk_softplus_kernel_optI6__halffLi128ELb0ELi1EEEvPKT_PKT0_PfPimiif
		.amdhsa_group_segment_fixed_size 0
		.amdhsa_private_segment_fixed_size 0
		.amdhsa_kernarg_size 52
		.amdhsa_user_sgpr_count 15
		.amdhsa_user_sgpr_dispatch_ptr 0
		.amdhsa_user_sgpr_queue_ptr 0
		.amdhsa_user_sgpr_kernarg_segment_ptr 1
		.amdhsa_user_sgpr_dispatch_id 0
		.amdhsa_user_sgpr_private_segment_size 0
		.amdhsa_wavefront_size32 1
		.amdhsa_uses_dynamic_stack 0
		.amdhsa_enable_private_segment 0
		.amdhsa_system_sgpr_workgroup_id_x 1
		.amdhsa_system_sgpr_workgroup_id_y 0
		.amdhsa_system_sgpr_workgroup_id_z 0
		.amdhsa_system_sgpr_workgroup_info 0
		.amdhsa_system_vgpr_workitem_id 0
		.amdhsa_next_free_vgpr 23
		.amdhsa_next_free_sgpr 16
		.amdhsa_reserve_vcc 1
		.amdhsa_float_round_mode_32 0
		.amdhsa_float_round_mode_16_64 0
		.amdhsa_float_denorm_mode_32 3
		.amdhsa_float_denorm_mode_16_64 3
		.amdhsa_dx10_clamp 1
		.amdhsa_ieee_mode 1
		.amdhsa_fp16_overflow 0
		.amdhsa_workgroup_processor_mode 1
		.amdhsa_memory_ordered 1
		.amdhsa_forward_progress 0
		.amdhsa_shared_vgpr_count 0
		.amdhsa_exception_fp_ieee_invalid_op 0
		.amdhsa_exception_fp_denorm_src 0
		.amdhsa_exception_fp_ieee_div_zero 0
		.amdhsa_exception_fp_ieee_overflow 0
		.amdhsa_exception_fp_ieee_underflow 0
		.amdhsa_exception_fp_ieee_inexact 0
		.amdhsa_exception_int_div_zero 0
	.end_amdhsa_kernel
	.section	.text._ZN5aiter24topk_softplus_kernel_optI6__halffLi128ELb0ELi1EEEvPKT_PKT0_PfPimiif,"axG",@progbits,_ZN5aiter24topk_softplus_kernel_optI6__halffLi128ELb0ELi1EEEvPKT_PKT0_PfPimiif,comdat
.Lfunc_end106:
	.size	_ZN5aiter24topk_softplus_kernel_optI6__halffLi128ELb0ELi1EEEvPKT_PKT0_PfPimiif, .Lfunc_end106-_ZN5aiter24topk_softplus_kernel_optI6__halffLi128ELb0ELi1EEEvPKT_PKT0_PfPimiif
                                        ; -- End function
	.section	.AMDGPU.csdata,"",@progbits
; Kernel info:
; codeLenInByte = 1352
; NumSgprs: 18
; NumVgprs: 23
; ScratchSize: 0
; MemoryBound: 0
; FloatMode: 240
; IeeeMode: 1
; LDSByteSize: 0 bytes/workgroup (compile time only)
; SGPRBlocks: 2
; VGPRBlocks: 2
; NumSGPRsForWavesPerEU: 18
; NumVGPRsForWavesPerEU: 23
; Occupancy: 16
; WaveLimiterHint : 0
; COMPUTE_PGM_RSRC2:SCRATCH_EN: 0
; COMPUTE_PGM_RSRC2:USER_SGPR: 15
; COMPUTE_PGM_RSRC2:TRAP_HANDLER: 0
; COMPUTE_PGM_RSRC2:TGID_X_EN: 1
; COMPUTE_PGM_RSRC2:TGID_Y_EN: 0
; COMPUTE_PGM_RSRC2:TGID_Z_EN: 0
; COMPUTE_PGM_RSRC2:TIDIG_COMP_CNT: 0
	.section	.text._ZN5aiter24topk_softplus_kernel_optI6__halffLi256ELb1ELi1EEEvPKT_PKT0_PfPimiif,"axG",@progbits,_ZN5aiter24topk_softplus_kernel_optI6__halffLi256ELb1ELi1EEEvPKT_PKT0_PfPimiif,comdat
	.protected	_ZN5aiter24topk_softplus_kernel_optI6__halffLi256ELb1ELi1EEEvPKT_PKT0_PfPimiif ; -- Begin function _ZN5aiter24topk_softplus_kernel_optI6__halffLi256ELb1ELi1EEEvPKT_PKT0_PfPimiif
	.globl	_ZN5aiter24topk_softplus_kernel_optI6__halffLi256ELb1ELi1EEEvPKT_PKT0_PfPimiif
	.p2align	8
	.type	_ZN5aiter24topk_softplus_kernel_optI6__halffLi256ELb1ELi1EEEvPKT_PKT0_PfPimiif,@function
_ZN5aiter24topk_softplus_kernel_optI6__halffLi256ELb1ELi1EEEvPKT_PKT0_PfPimiif: ; @_ZN5aiter24topk_softplus_kernel_optI6__halffLi256ELb1ELi1EEEvPKT_PKT0_PfPimiif
; %bb.0:
	s_load_b128 s[4:7], s[0:1], 0x0
	s_lshl_b32 s2, s15, 8
	v_lshlrev_b32_e32 v1, 1, v0
	s_ashr_i32 s3, s2, 31
	v_lshlrev_b32_e32 v103, 2, v0
	s_lshl_b64 s[2:3], s[2:3], 1
	s_waitcnt lgkmcnt(0)
	s_add_u32 s4, s4, s2
	s_addc_u32 s5, s5, s3
	s_mov_b32 s3, 0xbfb8aa3b
	global_load_u16 v2, v1, s[4:5]
	s_cmp_lg_u64 s[6:7], 0
	s_cselect_b32 s2, -1, 0
	s_waitcnt vmcnt(0)
	v_cvt_f32_f16_e32 v3, v2
	s_delay_alu instid0(VALU_DEP_1) | instskip(NEXT) | instid1(VALU_DEP_1)
	v_mul_f32_e32 v3, 0xbfb8aa3b, v3
	v_cmp_gt_f32_e32 vcc_lo, 0xc2fc0000, v3
	v_cndmask_b32_e64 v3, 0, 0x42800000, vcc_lo
	s_delay_alu instid0(VALU_DEP_1) | instskip(SKIP_2) | instid1(VALU_DEP_2)
	v_fma_mix_f32 v2, v2, s3, v3 op_sel_hi:[1,0,0]
	v_cndmask_b32_e64 v3, 1.0, 0x1f800000, vcc_lo
	s_and_b32 vcc_lo, exec_lo, s2
	v_exp_f32_e32 v2, v2
	s_waitcnt_depctr 0xfff
	v_fma_f32 v2, v2, v3, 1.0
	s_delay_alu instid0(VALU_DEP_1) | instskip(SKIP_3) | instid1(VALU_DEP_1)
	v_rcp_f32_e32 v48, v2
	s_waitcnt_depctr 0xfff
	v_mov_b32_e32 v32, v48
	v_add_co_u32 v1, s4, s4, v1
	v_add_co_ci_u32_e64 v2, null, s5, 0, s4
	s_cbranch_vccz .LBB107_2
; %bb.1:
	global_load_b32 v3, v103, s[6:7]
	s_waitcnt vmcnt(0)
	v_add_f32_e32 v32, v48, v3
.LBB107_2:
	global_load_u16 v3, v[1:2], off offset:64
	s_waitcnt vmcnt(0)
	v_cvt_f32_f16_e32 v4, v3
	s_delay_alu instid0(VALU_DEP_1) | instskip(NEXT) | instid1(VALU_DEP_1)
	v_mul_f32_e32 v4, 0xbfb8aa3b, v4
	v_cmp_gt_f32_e32 vcc_lo, 0xc2fc0000, v4
	v_cndmask_b32_e64 v5, 0, 0x42800000, vcc_lo
	v_cndmask_b32_e64 v4, 1.0, 0x1f800000, vcc_lo
	s_and_not1_b32 vcc_lo, exec_lo, s2
	s_delay_alu instid0(VALU_DEP_2) | instskip(NEXT) | instid1(VALU_DEP_1)
	v_fma_mix_f32 v3, v3, s3, v5 op_sel_hi:[1,0,0]
	v_exp_f32_e32 v3, v3
	s_waitcnt_depctr 0xfff
	v_fma_f32 v3, v3, v4, 1.0
	s_delay_alu instid0(VALU_DEP_1)
	v_rcp_f32_e32 v17, v3
	v_cndmask_b32_e64 v3, 0, 1, s2
	s_waitcnt_depctr 0xfff
	v_mov_b32_e32 v33, v17
	s_cbranch_vccnz .LBB107_4
; %bb.3:
	global_load_b32 v4, v103, s[6:7] offset:128
	s_waitcnt vmcnt(0)
	v_add_f32_e32 v33, v17, v4
.LBB107_4:
	global_load_u16 v4, v[1:2], off offset:128
	s_mov_b32 s2, 0xbfb8aa3b
	s_waitcnt vmcnt(0)
	v_cvt_f32_f16_e32 v5, v4
	s_delay_alu instid0(VALU_DEP_1) | instskip(NEXT) | instid1(VALU_DEP_1)
	v_mul_f32_e32 v5, 0xbfb8aa3b, v5
	v_cmp_gt_f32_e32 vcc_lo, 0xc2fc0000, v5
	v_cndmask_b32_e64 v6, 0, 0x42800000, vcc_lo
	v_cndmask_b32_e64 v5, 1.0, 0x1f800000, vcc_lo
	v_cmp_ne_u32_e32 vcc_lo, 1, v3
	s_delay_alu instid0(VALU_DEP_3) | instskip(SKIP_1) | instid1(VALU_DEP_1)
	v_fma_mix_f32 v4, v4, s2, v6 op_sel_hi:[1,0,0]
	s_and_b32 vcc_lo, exec_lo, vcc_lo
	v_exp_f32_e32 v4, v4
	s_waitcnt_depctr 0xfff
	v_fma_f32 v4, v4, v5, 1.0
	s_delay_alu instid0(VALU_DEP_1)
	v_rcp_f32_e32 v18, v4
	s_waitcnt_depctr 0xfff
	v_mov_b32_e32 v34, v18
	s_cbranch_vccnz .LBB107_6
; %bb.5:
	global_load_b32 v4, v103, s[6:7] offset:256
	s_waitcnt vmcnt(0)
	v_add_f32_e32 v34, v18, v4
.LBB107_6:
	global_load_u16 v4, v[1:2], off offset:192
	s_waitcnt vmcnt(0)
	v_cvt_f32_f16_e32 v5, v4
	s_delay_alu instid0(VALU_DEP_1) | instskip(NEXT) | instid1(VALU_DEP_1)
	v_mul_f32_e32 v5, 0xbfb8aa3b, v5
	v_cmp_gt_f32_e32 vcc_lo, 0xc2fc0000, v5
	v_cndmask_b32_e64 v6, 0, 0x42800000, vcc_lo
	v_cndmask_b32_e64 v5, 1.0, 0x1f800000, vcc_lo
	v_cmp_ne_u32_e32 vcc_lo, 1, v3
	s_delay_alu instid0(VALU_DEP_3) | instskip(SKIP_1) | instid1(VALU_DEP_1)
	v_fma_mix_f32 v4, v4, s2, v6 op_sel_hi:[1,0,0]
	s_and_b32 vcc_lo, exec_lo, vcc_lo
	v_exp_f32_e32 v4, v4
	s_waitcnt_depctr 0xfff
	v_fma_f32 v4, v4, v5, 1.0
	s_delay_alu instid0(VALU_DEP_1)
	v_rcp_f32_e32 v19, v4
	s_waitcnt_depctr 0xfff
	v_mov_b32_e32 v35, v19
	s_cbranch_vccnz .LBB107_8
; %bb.7:
	global_load_b32 v4, v103, s[6:7] offset:384
	s_waitcnt vmcnt(0)
	v_add_f32_e32 v35, v19, v4
.LBB107_8:
	global_load_u16 v4, v[1:2], off offset:256
	;; [unrolled: 25-line block ×5, first 2 shown]
	s_waitcnt vmcnt(0)
	v_cvt_f32_f16_e32 v2, v1
	s_delay_alu instid0(VALU_DEP_1) | instskip(NEXT) | instid1(VALU_DEP_1)
	v_mul_f32_e32 v2, 0xbfb8aa3b, v2
	v_cmp_gt_f32_e32 vcc_lo, 0xc2fc0000, v2
	v_cndmask_b32_e64 v4, 0, 0x42800000, vcc_lo
	v_cndmask_b32_e64 v2, 1.0, 0x1f800000, vcc_lo
	v_cmp_ne_u32_e32 vcc_lo, 1, v3
	s_delay_alu instid0(VALU_DEP_3) | instskip(NEXT) | instid1(VALU_DEP_1)
	v_fma_mix_f32 v1, v1, s2, v4 op_sel_hi:[1,0,0]
	v_exp_f32_e32 v1, v1
	s_waitcnt_depctr 0xfff
	v_fma_f32 v1, v1, v2, 1.0
	s_delay_alu instid0(VALU_DEP_1)
	v_rcp_f32_e32 v23, v1
	s_cbranch_vccnz .LBB107_16
; %bb.15:
	global_load_b32 v1, v103, s[6:7] offset:896
	s_waitcnt vmcnt(0)
	v_add_f32_e32 v39, v23, v1
	s_branch .LBB107_17
.LBB107_16:
	s_waitcnt_depctr 0xfff
	v_mov_b32_e32 v39, v23
.LBB107_17:
	v_add_nc_u32_e32 v7, 0xe0, v0
	v_dual_mov_b32 v8, v32 :: v_dual_add_nc_u32 v1, 32, v0
	v_dual_mov_b32 v9, v33 :: v_dual_add_nc_u32 v2, 64, v0
	;; [unrolled: 1-line block ×6, first 2 shown]
	v_dual_mov_b32 v14, v38 :: v_dual_mov_b32 v31, v7
	s_delay_alu instid0(VALU_DEP_2)
	v_dual_mov_b32 v47, v7 :: v_dual_mov_b32 v46, v6
	v_dual_mov_b32 v78, v7 :: v_dual_mov_b32 v77, v6
	;; [unrolled: 1-line block ×9, first 2 shown]
	v_mov_b32_e32 v40, v0
	v_dual_mov_b32 v76, v5 :: v_dual_mov_b32 v75, v4
	v_dual_mov_b32 v74, v3 :: v_dual_mov_b32 v73, v2
	;; [unrolled: 1-line block ×7, first 2 shown]
	s_mov_b32 s2, exec_lo
	v_cmpx_lt_f32_e32 v32, v33
	s_xor_b32 s2, exec_lo, s2
	s_cbranch_execz .LBB107_19
; %bb.18:
	v_dual_mov_b32 v30, v6 :: v_dual_mov_b32 v31, v7
	v_dual_mov_b32 v24, v1 :: v_dual_mov_b32 v25, v0
	;; [unrolled: 1-line block ×4, first 2 shown]
	s_delay_alu instid0(VALU_DEP_4)
	v_dual_mov_b32 v47, v31 :: v_dual_mov_b32 v46, v30
	v_dual_mov_b32 v78, v31 :: v_dual_mov_b32 v77, v30
	;; [unrolled: 1-line block ×17, first 2 shown]
	v_mov_b32_e32 v17, v48
	v_mov_b32_e32 v1, v0
.LBB107_19:
	s_or_b32 exec_lo, exec_lo, s2
	v_dual_mov_b32 v62, v23 :: v_dual_mov_b32 v61, v22
	v_dual_mov_b32 v86, v23 :: v_dual_mov_b32 v85, v22
	;; [unrolled: 1-line block ×16, first 2 shown]
	v_mov_b32_e32 v32, v10
	s_mov_b32 s2, exec_lo
	v_cmpx_lt_f32_e32 v33, v10
	s_cbranch_execz .LBB107_21
; %bb.20:
	v_dual_mov_b32 v70, v31 :: v_dual_mov_b32 v69, v30
	v_dual_mov_b32 v64, v25 :: v_dual_mov_b32 v63, v24
	v_dual_mov_b32 v66, v27 :: v_dual_mov_b32 v65, v26
	v_dual_mov_b32 v64, v2 :: v_dual_mov_b32 v65, v1
	v_dual_mov_b32 v102, v23 :: v_dual_mov_b32 v101, v22
	v_dual_mov_b32 v96, v17 :: v_dual_mov_b32 v95, v16
	v_dual_mov_b32 v68, v29 :: v_dual_mov_b32 v67, v28
	v_dual_mov_b32 v98, v19 :: v_dual_mov_b32 v97, v18
	v_dual_mov_b32 v100, v21 :: v_dual_mov_b32 v99, v20
	v_dual_mov_b32 v96, v18 :: v_dual_mov_b32 v97, v17
	v_dual_mov_b32 v78, v70 :: v_dual_mov_b32 v77, v69
	v_dual_mov_b32 v74, v66 :: v_dual_mov_b32 v73, v65
	v_dual_mov_b32 v72, v64 :: v_dual_mov_b32 v71, v63
	v_mov_b32_e32 v74, v3
	v_dual_mov_b32 v87, v95 :: v_dual_mov_b32 v88, v96
	v_dual_mov_b32 v76, v68 :: v_dual_mov_b32 v75, v67
	;; [unrolled: 1-line block ×5, first 2 shown]
	v_mov_b32_e32 v90, v19
	v_dual_mov_b32 v40, v71 :: v_dual_mov_b32 v45, v76
	v_mov_b32_e32 v41, v72
	v_dual_mov_b32 v43, v74 :: v_dual_mov_b32 v46, v77
	;; [unrolled: 2-line block ×3, first 2 shown]
	v_dual_mov_b32 v42, v73 :: v_dual_mov_b32 v47, v78
	v_dual_mov_b32 v44, v4 :: v_dual_mov_b32 v81, v89
	;; [unrolled: 1-line block ×5, first 2 shown]
	v_mov_b32_e32 v84, v92
	v_mov_b32_e32 v86, v94
	v_dual_mov_b32 v24, v40 :: v_dual_mov_b32 v29, v45
	v_dual_mov_b32 v30, v46 :: v_dual_mov_b32 v25, v41
	;; [unrolled: 1-line block ×6, first 2 shown]
	v_mov_b32_e32 v61, v22
	v_mov_b32_e32 v62, v86
	v_dual_mov_b32 v28, v44 :: v_dual_mov_b32 v29, v5
	v_dual_mov_b32 v31, v7 :: v_dual_mov_b32 v32, v33
	;; [unrolled: 1-line block ×3, first 2 shown]
	v_mov_b32_e32 v57, v81
	v_mov_b32_e32 v60, v21
	;; [unrolled: 1-line block ×5, first 2 shown]
.LBB107_21:
	s_or_b32 exec_lo, exec_lo, s2
	v_mov_b32_e32 v1, v11
	s_mov_b32 s2, exec_lo
	v_cmpx_lt_f32_e32 v32, v11
	s_cbranch_execz .LBB107_23
; %bb.22:
	v_mov_b32_e32 v97, v19
	v_mov_b32_e32 v65, v3
	v_dual_mov_b32 v87, v95 :: v_dual_mov_b32 v88, v96
	v_mov_b32_e32 v78, v70
	v_dual_mov_b32 v92, v100 :: v_dual_mov_b32 v71, v63
	v_dual_mov_b32 v90, v98 :: v_dual_mov_b32 v91, v99
	;; [unrolled: 1-line block ×8, first 2 shown]
	v_mov_b32_e32 v80, v88
	s_delay_alu instid0(VALU_DEP_3)
	v_dual_mov_b32 v40, v71 :: v_dual_mov_b32 v41, v72
	v_dual_mov_b32 v83, v91 :: v_dual_mov_b32 v84, v92
	;; [unrolled: 1-line block ×20, first 2 shown]
	v_mov_b32_e32 v1, v32
	v_mov_b32_e32 v19, v18
	;; [unrolled: 1-line block ×3, first 2 shown]
.LBB107_23:
	s_or_b32 exec_lo, exec_lo, s2
	v_mov_b32_e32 v2, v12
	s_mov_b32 s2, exec_lo
	v_cmpx_lt_f32_e32 v1, v12
	s_cbranch_execz .LBB107_25
; %bb.24:
	v_mov_b32_e32 v98, v20
	v_dual_mov_b32 v66, v4 :: v_dual_mov_b32 v79, v95
	v_dual_mov_b32 v40, v63 :: v_dual_mov_b32 v41, v64
	;; [unrolled: 1-line block ×3, first 2 shown]
	s_delay_alu instid0(VALU_DEP_3)
	v_dual_mov_b32 v43, v66 :: v_dual_mov_b32 v80, v96
	v_mov_b32_e32 v81, v97
	v_dual_mov_b32 v46, v69 :: v_dual_mov_b32 v83, v99
	v_dual_mov_b32 v42, v65 :: v_dual_mov_b32 v45, v68
	;; [unrolled: 1-line block ×5, first 2 shown]
	v_mov_b32_e32 v44, v3
	v_dual_mov_b32 v55, v79 :: v_dual_mov_b32 v56, v80
	v_dual_mov_b32 v57, v81 :: v_dual_mov_b32 v24, v40
	;; [unrolled: 1-line block ×10, first 2 shown]
	v_mov_b32_e32 v73, v65
	v_dual_mov_b32 v12, v1 :: v_dual_mov_b32 v27, v43
	v_dual_mov_b32 v60, v21 :: v_dual_mov_b32 v61, v22
	;; [unrolled: 1-line block ×8, first 2 shown]
	v_mov_b32_e32 v74, v66
	v_mov_b32_e32 v72, v64
	;; [unrolled: 1-line block ×5, first 2 shown]
.LBB107_25:
	s_or_b32 exec_lo, exec_lo, s2
	v_mov_b32_e32 v1, v13
	s_mov_b32 s2, exec_lo
	v_cmpx_lt_f32_e32 v2, v13
	s_cbranch_execz .LBB107_27
; %bb.26:
	v_mov_b32_e32 v75, v5
	v_dual_mov_b32 v91, v21 :: v_dual_mov_b32 v24, v71
	v_mov_b32_e32 v30, v77
	v_mov_b32_e32 v30, v6
	;; [unrolled: 1-line block ×4, first 2 shown]
	v_dual_mov_b32 v55, v87 :: v_dual_mov_b32 v60, v92
	v_dual_mov_b32 v79, v87 :: v_dual_mov_b32 v82, v90
	;; [unrolled: 1-line block ×17, first 2 shown]
	v_mov_b32_e32 v21, v20
	v_mov_b32_e32 v5, v4
	;; [unrolled: 1-line block ×4, first 2 shown]
.LBB107_27:
	s_or_b32 exec_lo, exec_lo, s2
	v_mov_b32_e32 v2, v14
	s_mov_b32 s2, exec_lo
	v_cmpx_lt_f32_e32 v1, v14
	s_cbranch_execz .LBB107_29
; %bb.28:
	v_dual_mov_b32 v45, v6 :: v_dual_mov_b32 v46, v5
	v_dual_mov_b32 v84, v22 :: v_dual_mov_b32 v85, v21
	;; [unrolled: 1-line block ×12, first 2 shown]
	v_mov_b32_e32 v2, v1
.LBB107_29:
	s_or_b32 exec_lo, exec_lo, s2
	s_delay_alu instid0(VALU_DEP_1)
	v_cmp_lt_f32_e32 vcc_lo, v2, v15
	v_dual_mov_b32 v40, v56 :: v_dual_mov_b32 v43, v59
	v_cmp_lt_f32_e64 s2, v8, v9
	v_dual_mov_b32 v41, v57 :: v_dual_mov_b32 v42, v58
	v_dual_cndmask_b32 v23, v15, v2 :: v_dual_cndmask_b32 v14, v14, v15
	v_dual_cndmask_b32 v46, v62, v61 :: v_dual_mov_b32 v39, v55
	s_delay_alu instid0(VALU_DEP_2) | instskip(SKIP_3) | instid1(VALU_DEP_4)
	v_dual_mov_b32 v44, v60 :: v_dual_mov_b32 v15, v23
	v_cndmask_b32_e32 v45, v61, v62, vcc_lo
	v_dual_cndmask_b32 v54, v31, v30 :: v_dual_cndmask_b32 v53, v30, v31
	v_dual_mov_b32 v47, v24 :: v_dual_mov_b32 v50, v27
	v_mov_b32_e32 v22, v15
	v_dual_mov_b32 v21, v14 :: v_dual_mov_b32 v20, v13
	v_dual_mov_b32 v19, v12 :: v_dual_mov_b32 v18, v11
	;; [unrolled: 1-line block ×5, first 2 shown]
	v_mov_b32_e32 v51, v28
	s_and_saveexec_b32 s3, s2
	s_delay_alu instid0(SALU_CYCLE_1)
	s_xor_b32 s2, exec_lo, s3
	s_cbranch_execz .LBB107_31
; %bb.30:
	v_dual_mov_b32 v16, v9 :: v_dual_mov_b32 v17, v8
	v_dual_mov_b32 v18, v10 :: v_dual_mov_b32 v19, v11
	;; [unrolled: 1-line block ×4, first 2 shown]
	s_delay_alu instid0(VALU_DEP_4)
	v_dual_mov_b32 v15, v16 :: v_dual_mov_b32 v40, v55
	v_dual_mov_b32 v16, v17 :: v_dual_mov_b32 v39, v56
	;; [unrolled: 1-line block ×10, first 2 shown]
.LBB107_31:
	s_or_b32 exec_lo, exec_lo, s2
	v_dual_mov_b32 v31, v39 :: v_dual_mov_b32 v32, v40
	v_dual_mov_b32 v78, v46 :: v_dual_mov_b32 v77, v45
	;; [unrolled: 1-line block ×22, first 2 shown]
	v_mov_b32_e32 v10, v17
	s_mov_b32 s2, exec_lo
	v_dual_mov_b32 v76, v44 :: v_dual_mov_b32 v75, v43
	v_dual_mov_b32 v68, v52 :: v_dual_mov_b32 v67, v51
	v_cmpx_lt_f32_e32 v9, v17
	s_cbranch_execz .LBB107_33
; %bb.32:
	v_dual_mov_b32 v1, v47 :: v_dual_mov_b32 v2, v48
	v_dual_mov_b32 v7, v53 :: v_dual_mov_b32 v8, v54
	v_mov_b32_e32 v2, v49
	v_dual_mov_b32 v3, v49 :: v_dual_mov_b32 v4, v50
	v_dual_mov_b32 v5, v51 :: v_dual_mov_b32 v6, v52
	;; [unrolled: 1-line block ×7, first 2 shown]
	v_mov_b32_e32 v57, v40
	v_dual_mov_b32 v70, v8 :: v_dual_mov_b32 v69, v7
	v_dual_mov_b32 v64, v2 :: v_dual_mov_b32 v63, v1
	;; [unrolled: 1-line block ×6, first 2 shown]
	v_mov_b32_e32 v66, v50
	v_dual_mov_b32 v16, v17 :: v_dual_mov_b32 v75, v59
	v_dual_mov_b32 v17, v9 :: v_dual_mov_b32 v76, v60
	;; [unrolled: 1-line block ×17, first 2 shown]
.LBB107_33:
	s_or_b32 exec_lo, exec_lo, s2
	v_mov_b32_e32 v9, v18
	s_mov_b32 s2, exec_lo
	s_delay_alu instid0(VALU_DEP_2)
	v_cmpx_lt_f32_e32 v10, v18
	s_cbranch_execz .LBB107_35
; %bb.34:
	v_mov_b32_e32 v3, v50
	v_dual_mov_b32 v57, v42 :: v_dual_mov_b32 v70, v8
	v_mov_b32_e32 v66, v4
	v_dual_mov_b32 v78, v62 :: v_dual_mov_b32 v77, v61
	v_mov_b32_e32 v66, v49
	v_mov_b32_e32 v63, v1
	;; [unrolled: 1-line block ×3, first 2 shown]
	v_dual_mov_b32 v69, v7 :: v_dual_mov_b32 v68, v6
	v_dual_mov_b32 v67, v5 :: v_dual_mov_b32 v64, v2
	;; [unrolled: 1-line block ×4, first 2 shown]
	v_mov_b32_e32 v65, v3
	v_dual_mov_b32 v73, v57 :: v_dual_mov_b32 v72, v56
	v_mov_b32_e32 v74, v41
	v_dual_mov_b32 v18, v10 :: v_dual_mov_b32 v23, v63
	v_dual_mov_b32 v24, v64 :: v_dual_mov_b32 v31, v71
	s_delay_alu instid0(VALU_DEP_4)
	v_dual_mov_b32 v32, v72 :: v_dual_mov_b32 v27, v67
	v_dual_mov_b32 v28, v68 :: v_dual_mov_b32 v29, v69
	;; [unrolled: 1-line block ×10, first 2 shown]
	v_mov_b32_e32 v38, v46
	v_dual_mov_b32 v9, v10 :: v_dual_mov_b32 v42, v41
	v_mov_b32_e32 v50, v49
.LBB107_35:
	s_or_b32 exec_lo, exec_lo, s2
	v_mov_b32_e32 v4, v19
	s_mov_b32 s2, exec_lo
	v_cmpx_lt_f32_e32 v9, v19
	s_cbranch_execz .LBB107_37
; %bb.36:
	v_mov_b32_e32 v4, v51
	v_dual_mov_b32 v18, v19 :: v_dual_mov_b32 v19, v9
	v_mov_b32_e32 v58, v43
	v_dual_mov_b32 v30, v8 :: v_dual_mov_b32 v29, v7
	v_dual_mov_b32 v28, v6 :: v_dual_mov_b32 v25, v3
	v_dual_mov_b32 v23, v1 :: v_dual_mov_b32 v28, v52
	v_mov_b32_e32 v31, v55
	v_dual_mov_b32 v27, v5 :: v_dual_mov_b32 v32, v56
	v_dual_mov_b32 v35, v59 :: v_dual_mov_b32 v34, v58
	;; [unrolled: 4-line block ×3, first 2 shown]
	v_dual_mov_b32 v70, v8 :: v_dual_mov_b32 v65, v3
	v_dual_mov_b32 v26, v4 :: v_dual_mov_b32 v27, v50
	;; [unrolled: 1-line block ×11, first 2 shown]
	v_mov_b32_e32 v64, v2
	v_dual_mov_b32 v4, v9 :: v_dual_mov_b32 v51, v50
.LBB107_37:
	s_or_b32 exec_lo, exec_lo, s2
	v_mov_b32_e32 v1, v20
	s_mov_b32 s2, exec_lo
	s_delay_alu instid0(VALU_DEP_2)
	v_cmpx_lt_f32_e32 v4, v20
	s_cbranch_execz .LBB107_39
; %bb.38:
	v_dual_mov_b32 v67, v52 :: v_dual_mov_b32 v68, v51
	v_dual_mov_b32 v69, v53 :: v_dual_mov_b32 v76, v43
	;; [unrolled: 1-line block ×4, first 2 shown]
	v_mov_b32_e32 v19, v20
	v_dual_mov_b32 v20, v4 :: v_dual_mov_b32 v31, v71
	v_dual_mov_b32 v23, v63 :: v_dual_mov_b32 v24, v64
	;; [unrolled: 1-line block ×9, first 2 shown]
.LBB107_39:
	s_or_b32 exec_lo, exec_lo, s2
	s_delay_alu instid0(VALU_DEP_1)
	v_cmp_lt_f32_e32 vcc_lo, v1, v21
	v_mov_b32_e32 v4, v18
	v_mov_b32_e32 v8, v22
	s_mov_b32 s2, exec_lo
	v_dual_mov_b32 v2, v16 :: v_dual_cndmask_b32 v9, v37, v36
	v_cndmask_b32_e32 v36, v36, v37, vcc_lo
	v_cndmask_b32_e32 v10, v29, v28, vcc_lo
	v_dual_cndmask_b32 v28, v28, v29 :: v_dual_mov_b32 v3, v17
	v_cndmask_b32_e32 v7, v21, v1, vcc_lo
	v_dual_cndmask_b32 v6, v20, v21 :: v_dual_mov_b32 v5, v19
	v_mov_b32_e32 v1, v15
	v_cmpx_lt_f32_e32 v15, v16
	s_cbranch_execz .LBB107_41
; %bb.40:
	s_delay_alu instid0(VALU_DEP_2)
	v_dual_mov_b32 v39, v2 :: v_dual_mov_b32 v40, v1
	v_dual_mov_b32 v41, v3 :: v_dual_mov_b32 v42, v4
	;; [unrolled: 1-line block ×4, first 2 shown]
	v_mov_b32_e32 v11, v31
	v_mov_b32_e32 v12, v23
	v_dual_mov_b32 v1, v39 :: v_dual_mov_b32 v4, v42
	v_swap_b32 v31, v32
	v_swap_b32 v23, v24
	v_dual_mov_b32 v2, v40 :: v_dual_mov_b32 v3, v41
	v_dual_mov_b32 v5, v43 :: v_dual_mov_b32 v6, v44
	;; [unrolled: 1-line block ×3, first 2 shown]
	v_mov_b32_e32 v16, v15
.LBB107_41:
	s_or_b32 exec_lo, exec_lo, s2
	v_mov_b32_e32 v29, v10
	v_dual_mov_b32 v37, v9 :: v_dual_mov_b32 v54, v30
	v_mov_b32_e32 v46, v38
	v_dual_mov_b32 v44, v36 :: v_dual_mov_b32 v39, v31
	v_dual_mov_b32 v70, v38 :: v_dual_mov_b32 v49, v25
	s_delay_alu instid0(VALU_DEP_4)
	v_dual_mov_b32 v62, v30 :: v_dual_mov_b32 v45, v37
	v_dual_mov_b32 v43, v35 :: v_dual_mov_b32 v42, v34
	;; [unrolled: 1-line block ×12, first 2 shown]
	v_mov_b32_e32 v57, v25
	v_mov_b32_e32 v55, v23
	;; [unrolled: 1-line block ×3, first 2 shown]
	s_mov_b32 s2, exec_lo
	v_cmpx_lt_f32_e32 v16, v3
	s_cbranch_execz .LBB107_43
; %bb.42:
	v_dual_mov_b32 v62, v30 :: v_dual_mov_b32 v61, v29
	v_dual_mov_b32 v58, v26 :: v_dual_mov_b32 v57, v25
	;; [unrolled: 1-line block ×7, first 2 shown]
	s_delay_alu instid0(VALU_DEP_4)
	v_dual_mov_b32 v47, v55 :: v_dual_mov_b32 v48, v56
	v_dual_mov_b32 v68, v36 :: v_dual_mov_b32 v67, v35
	;; [unrolled: 1-line block ×16, first 2 shown]
	v_mov_b32_e32 v44, v36
	v_dual_mov_b32 v46, v38 :: v_dual_mov_b32 v11, v16
	v_mov_b32_e32 v33, v32
	v_mov_b32_e32 v25, v24
.LBB107_43:
	s_or_b32 exec_lo, exec_lo, s2
	v_mov_b32_e32 v12, v4
	s_mov_b32 s2, exec_lo
	v_cmpx_lt_f32_e32 v11, v4
	s_cbranch_execz .LBB107_45
; %bb.44:
	v_mov_b32_e32 v57, v26
	v_dual_mov_b32 v3, v4 :: v_dual_mov_b32 v4, v11
	v_mov_b32_e32 v65, v34
	v_dual_mov_b32 v47, v55 :: v_dual_mov_b32 v52, v60
	v_dual_mov_b32 v48, v56 :: v_dual_mov_b32 v39, v63
	;; [unrolled: 1-line block ×3, first 2 shown]
	v_mov_b32_e32 v54, v62
	v_dual_mov_b32 v50, v58 :: v_dual_mov_b32 v51, v59
	v_mov_b32_e32 v50, v25
	v_dual_mov_b32 v53, v61 :: v_dual_mov_b32 v52, v28
	v_dual_mov_b32 v41, v65 :: v_dual_mov_b32 v44, v68
	;; [unrolled: 1-line block ×8, first 2 shown]
	v_mov_b32_e32 v12, v11
	v_mov_b32_e32 v34, v33
	;; [unrolled: 1-line block ×3, first 2 shown]
.LBB107_45:
	s_or_b32 exec_lo, exec_lo, s2
	v_mov_b32_e32 v11, v5
	s_mov_b32 s2, exec_lo
	v_cmpx_lt_f32_e32 v12, v5
	s_cbranch_execz .LBB107_47
; %bb.46:
	v_dual_mov_b32 v68, v36 :: v_dual_mov_b32 v69, v9
	v_dual_mov_b32 v58, v27 :: v_dual_mov_b32 v59, v26
	v_dual_mov_b32 v60, v28 :: v_dual_mov_b32 v61, v10
	v_dual_mov_b32 v66, v35 :: v_dual_mov_b32 v67, v34
	v_mov_b32_e32 v70, v38
	v_dual_mov_b32 v4, v5 :: v_dual_mov_b32 v5, v12
	v_dual_mov_b32 v62, v30 :: v_dual_mov_b32 v39, v63
	;; [unrolled: 1-line block ×10, first 2 shown]
.LBB107_47:
	s_or_b32 exec_lo, exec_lo, s2
	s_delay_alu instid0(VALU_DEP_1)
	v_cmp_lt_f32_e32 vcc_lo, v11, v6
	v_dual_mov_b32 v19, v1 :: v_dual_mov_b32 v26, v8
	v_mov_b32_e32 v21, v3
	v_mov_b32_e32 v25, v7
	v_dual_cndmask_b32 v27, v44, v43 :: v_dual_mov_b32 v20, v2
	v_dual_cndmask_b32 v43, v43, v44 :: v_dual_cndmask_b32 v28, v52, v51
	v_dual_cndmask_b32 v51, v51, v52 :: v_dual_cndmask_b32 v24, v6, v11
	v_dual_cndmask_b32 v23, v5, v6 :: v_dual_mov_b32 v22, v4
	s_mov_b32 s2, exec_lo
	v_cmpx_lt_f32_e32 v1, v2
	s_cbranch_execz .LBB107_49
; %bb.48:
	v_dual_mov_b32 v8, v25 :: v_dual_mov_b32 v9, v26
	v_dual_mov_b32 v2, v20 :: v_dual_mov_b32 v3, v19
	;; [unrolled: 1-line block ×4, first 2 shown]
	v_mov_b32_e32 v10, v39
	v_dual_mov_b32 v11, v47 :: v_dual_mov_b32 v26, v9
	v_swap_b32 v39, v40
	v_swap_b32 v47, v48
	v_dual_mov_b32 v25, v8 :: v_dual_mov_b32 v24, v7
	v_dual_mov_b32 v23, v6 :: v_dual_mov_b32 v22, v5
	;; [unrolled: 1-line block ×4, first 2 shown]
.LBB107_49:
	s_or_b32 exec_lo, exec_lo, s2
	v_mov_b32_e32 v52, v28
	v_mov_b32_e32 v44, v27
	;; [unrolled: 1-line block ×4, first 2 shown]
	v_dual_mov_b32 v11, v39 :: v_dual_mov_b32 v4, v48
	v_dual_mov_b32 v12, v40 :: v_dual_mov_b32 v13, v41
	;; [unrolled: 1-line block ×7, first 2 shown]
	v_mov_b32_e32 v10, v54
	s_mov_b32 s2, exec_lo
	v_cmpx_lt_f32_e32 v2, v21
	s_cbranch_execz .LBB107_51
; %bb.50:
	v_dual_mov_b32 v3, v47 :: v_dual_mov_b32 v4, v48
	v_dual_mov_b32 v9, v53 :: v_dual_mov_b32 v10, v54
	;; [unrolled: 1-line block ×17, first 2 shown]
	v_mov_b32_e32 v49, v48
.LBB107_51:
	s_or_b32 exec_lo, exec_lo, s2
	v_mov_b32_e32 v29, v22
	s_mov_b32 s2, exec_lo
	v_cmpx_lt_f32_e32 v1, v22
; %bb.52:
	v_dual_mov_b32 v21, v22 :: v_dual_mov_b32 v22, v1
	v_dual_mov_b32 v5, v50 :: v_dual_mov_b32 v6, v49
	;; [unrolled: 1-line block ×7, first 2 shown]
	v_mov_b32_e32 v29, v1
; %bb.53:
	s_or_b32 exec_lo, exec_lo, s2
	s_delay_alu instid0(VALU_DEP_1)
	v_cmp_lt_f32_e32 vcc_lo, v29, v23
	v_dual_mov_b32 v28, v20 :: v_dual_mov_b32 v33, v25
	v_mov_b32_e32 v32, v24
	v_dual_mov_b32 v34, v26 :: v_dual_cndmask_b32 v1, v15, v14
	v_cndmask_b32_e32 v14, v14, v15, vcc_lo
	v_cndmask_b32_e32 v2, v7, v6, vcc_lo
	v_dual_cndmask_b32 v6, v6, v7 :: v_dual_cndmask_b32 v31, v23, v29
	v_dual_cndmask_b32 v30, v22, v23 :: v_dual_mov_b32 v27, v19
	v_mov_b32_e32 v29, v21
	s_mov_b32 s2, exec_lo
	v_cmpx_lt_f32_e32 v19, v20
	s_cbranch_execz .LBB107_55
; %bb.54:
	v_dual_mov_b32 v20, v28 :: v_dual_mov_b32 v21, v27
	v_dual_mov_b32 v26, v33 :: v_dual_mov_b32 v27, v34
	;; [unrolled: 1-line block ×4, first 2 shown]
	s_delay_alu instid0(VALU_DEP_3)
	v_mov_b32_e32 v34, v27
	v_mov_b32_e32 v7, v11
	v_dual_mov_b32 v15, v3 :: v_dual_mov_b32 v28, v21
	v_swap_b32 v11, v12
	v_swap_b32 v3, v4
	v_dual_mov_b32 v33, v26 :: v_dual_mov_b32 v30, v23
	v_dual_mov_b32 v32, v25 :: v_dual_mov_b32 v31, v24
	v_mov_b32_e32 v29, v22
	v_dual_mov_b32 v27, v20 :: v_dual_mov_b32 v20, v19
.LBB107_55:
	s_or_b32 exec_lo, exec_lo, s2
	v_mov_b32_e32 v7, v2
	v_mov_b32_e32 v15, v1
	;; [unrolled: 1-line block ×3, first 2 shown]
	s_mov_b32 s2, exec_lo
	v_cmpx_lt_f32_e32 v20, v29
	s_cbranch_execz .LBB107_57
; %bb.56:
	v_dual_mov_b32 v42, v10 :: v_dual_mov_b32 v41, v9
	v_dual_mov_b32 v40, v8 :: v_dual_mov_b32 v39, v7
	;; [unrolled: 1-line block ×16, first 2 shown]
	v_mov_b32_e32 v18, v9
	s_delay_alu instid0(VALU_DEP_3) | instskip(NEXT) | instid1(VALU_DEP_4)
	v_dual_mov_b32 v16, v7 :: v_dual_mov_b32 v15, v6
	v_dual_mov_b32 v17, v8 :: v_dual_mov_b32 v14, v5
	;; [unrolled: 1-line block ×3, first 2 shown]
	v_mov_b32_e32 v11, v2
	v_dual_mov_b32 v3, v35 :: v_dual_mov_b32 v4, v36
	v_dual_mov_b32 v5, v37 :: v_dual_mov_b32 v6, v38
	;; [unrolled: 1-line block ×4, first 2 shown]
	v_mov_b32_e32 v19, v20
.LBB107_57:
	s_or_b32 exec_lo, exec_lo, s2
	s_delay_alu instid0(VALU_DEP_1)
	v_cmp_lt_f32_e32 vcc_lo, v19, v30
	v_dual_mov_b32 v20, v7 :: v_dual_mov_b32 v21, v8
	v_dual_mov_b32 v22, v9 :: v_dual_mov_b32 v23, v10
	v_dual_cndmask_b32 v1, v14, v13 :: v_dual_cndmask_b32 v36, v5, v6
	v_dual_cndmask_b32 v35, v13, v14 :: v_dual_cndmask_b32 v2, v6, v5
	;; [unrolled: 1-line block ×3, first 2 shown]
	v_dual_mov_b32 v6, v15 :: v_dual_mov_b32 v13, v16
	v_dual_mov_b32 v14, v17 :: v_dual_mov_b32 v19, v18
	;; [unrolled: 1-line block ×4, first 2 shown]
	v_mov_b32_e32 v29, v34
	s_mov_b32 s2, exec_lo
	v_cmpx_lt_f32_e32 v27, v28
	s_cbranch_execz .LBB107_59
; %bb.58:
	v_dual_mov_b32 v24, v28 :: v_dual_mov_b32 v37, v27
	v_dual_mov_b32 v6, v11 :: v_dual_mov_b32 v13, v16
	;; [unrolled: 1-line block ×3, first 2 shown]
	v_swap_b32 v11, v12
	v_swap_b32 v3, v4
	v_dual_mov_b32 v28, v27 :: v_dual_mov_b32 v21, v8
	v_dual_mov_b32 v6, v15 :: v_dual_mov_b32 v23, v10
	;; [unrolled: 1-line block ×5, first 2 shown]
	v_mov_b32_e32 v24, v31
	v_mov_b32_e32 v26, v33
.LBB107_59:
	s_or_b32 exec_lo, exec_lo, s2
	s_clause 0x1
	s_load_b32 s8, s[0:1], 0x28
	s_load_b128 s[4:7], s[0:1], 0x10
	v_mov_b32_e32 v8, 0
	s_waitcnt lgkmcnt(0)
	s_cmp_lt_i32 s8, 1
	s_cbranch_scc1 .LBB107_65
; %bb.60:
	v_cmp_lt_f32_e32 vcc_lo, v28, v30
	v_dual_mov_b32 v8, 0 :: v_dual_mov_b32 v9, 0
	s_mov_b32 s9, 0x76543210
	s_mov_b32 s10, s8
	v_dual_cndmask_b32 v7, v36, v4 :: v_dual_cndmask_b32 v18, v37, v30
	v_cndmask_b32_e32 v4, v4, v36, vcc_lo
	v_cndmask_b32_e32 v10, v30, v28, vcc_lo
	v_dual_cndmask_b32 v15, v35, v12 :: v_dual_cndmask_b32 v28, v12, v35
	s_delay_alu instid0(VALU_DEP_4) | instskip(NEXT) | instid1(VALU_DEP_1)
	v_cmp_lt_f32_e64 s2, v27, v18
	v_cndmask_b32_e64 v12, v4, v3, s2
	v_cndmask_b32_e64 v16, v3, v4, s2
	;; [unrolled: 1-line block ×6, first 2 shown]
	v_dual_mov_b32 v28, v0 :: v_dual_mov_b32 v3, 0
	v_mov_b32_e32 v4, 0
.LBB107_61:                             ; =>This Inner Loop Header: Depth=1
	v_cmp_eq_u32_e32 vcc_lo, 1, v9
	v_cmp_eq_u32_e64 s2, 2, v9
	v_dual_cndmask_b32 v30, v18, v17 :: v_dual_cndmask_b32 v31, v16, v12
	v_cndmask_b32_e32 v32, v11, v27, vcc_lo
	v_cmp_eq_u32_e32 vcc_lo, 3, v9
	s_delay_alu instid0(VALU_DEP_3) | instskip(NEXT) | instid1(VALU_DEP_4)
	v_cndmask_b32_e64 v30, v30, v10, s2
	v_cndmask_b32_e64 v31, v31, v7, s2
	s_delay_alu instid0(VALU_DEP_4) | instskip(SKIP_1) | instid1(VALU_DEP_3)
	v_cndmask_b32_e64 v32, v32, v15, s2
	v_cmp_eq_u32_e64 s2, 4, v9
	v_dual_cndmask_b32 v30, v30, v5 :: v_dual_cndmask_b32 v31, v31, v2
	s_delay_alu instid0(VALU_DEP_3) | instskip(SKIP_1) | instid1(VALU_DEP_3)
	v_cndmask_b32_e32 v32, v32, v1, vcc_lo
	v_cmp_eq_u32_e32 vcc_lo, 5, v9
	v_cndmask_b32_e64 v30, v30, v24, s2
	s_delay_alu instid0(VALU_DEP_4) | instskip(NEXT) | instid1(VALU_DEP_4)
	v_cndmask_b32_e64 v31, v31, v20, s2
	v_cndmask_b32_e64 v32, v32, v6, s2
	v_cmp_eq_u32_e64 s2, 6, v9
	s_delay_alu instid0(VALU_DEP_4) | instskip(NEXT) | instid1(VALU_DEP_4)
	v_cndmask_b32_e32 v30, v30, v25, vcc_lo
	v_cndmask_b32_e32 v31, v31, v21, vcc_lo
	s_delay_alu instid0(VALU_DEP_4) | instskip(SKIP_1) | instid1(VALU_DEP_4)
	v_cndmask_b32_e32 v32, v32, v13, vcc_lo
	v_cmp_eq_u32_e32 vcc_lo, 7, v9
	v_cndmask_b32_e64 v30, v30, v26, s2
	s_delay_alu instid0(VALU_DEP_4) | instskip(NEXT) | instid1(VALU_DEP_4)
	v_cndmask_b32_e64 v31, v31, v22, s2
	v_cndmask_b32_e64 v32, v32, v14, s2
	v_cmp_gt_u32_e64 s2, 8, v9
	s_delay_alu instid0(VALU_DEP_3) | instskip(NEXT) | instid1(VALU_DEP_1)
	v_dual_cndmask_b32 v30, v30, v29 :: v_dual_cndmask_b32 v31, v31, v23
	v_cndmask_b32_e64 v30, 0xff800000, v30, s2
	;;#ASMSTART
	v_max_f32 v34, v30, v30 quad_perm:[1,0,3,2] row_mask:0xf bank_mask:0xf bound_ctrl:1
	;;#ASMEND
	;;#ASMSTART
	v_max_f32 v35, v34, v34 quad_perm:[2,3,0,1] row_mask:0xf bank_mask:0xf bound_ctrl:1
	;;#ASMEND
	;;#ASMSTART
	v_max_f32 v34, v35, v35 row_half_mirror row_mask:0xf bank_mask:0xf bound_ctrl:1
	;;#ASMEND
	;;#ASMSTART
	v_max_f32 v35, v34, v34 row_mirror row_mask:0xf bank_mask:0xf bound_ctrl:1
	;;#ASMEND
	v_permlanex16_b32 v34, v35, s9, 0xfedcba98 op_sel:[1,1]
	v_max_f32_e32 v35, v35, v35
	v_cndmask_b32_e64 v33, 0, v31, s2
	s_delay_alu instid0(VALU_DEP_3) | instskip(NEXT) | instid1(VALU_DEP_1)
	v_max_f32_e32 v34, v34, v34
	v_max_f32_e32 v34, v35, v34
	s_delay_alu instid0(VALU_DEP_1) | instskip(SKIP_1) | instid1(VALU_DEP_2)
	v_cmp_eq_f32_e64 s3, v30, v34
	v_cndmask_b32_e32 v30, v32, v19, vcc_lo
	s_ctz_i32_b32 s11, s3
	s_cmp_lg_u32 s3, 0
	s_cselect_b32 s3, s11, 0
	s_add_i32 s10, s10, -1
	v_readlane_b32 s3, v33, s3
	s_delay_alu instid0(VALU_DEP_1)
	v_cmp_eq_u32_e32 vcc_lo, s3, v31
	s_and_b32 vcc_lo, s2, vcc_lo
	s_and_b32 s2, s3, 31
	v_cndmask_b32_e32 v30, 0, v30, vcc_lo
	v_add_co_ci_u32_e32 v9, vcc_lo, 0, v9, vcc_lo
	s_cmp_eq_u32 s10, 0
	s_delay_alu instid0(VALU_DEP_2) | instskip(SKIP_2) | instid1(VALU_DEP_3)
	v_readlane_b32 s11, v30, s2
	v_cmp_eq_u32_e64 s2, 0, v28
	v_add_nc_u32_e32 v28, -1, v28
	v_add_f32_e32 v8, s11, v8
	s_delay_alu instid0(VALU_DEP_3)
	v_cndmask_b32_e64 v4, v4, s11, s2
	v_cndmask_b32_e64 v3, v3, s3, s2
	s_cbranch_scc0 .LBB107_61
; %bb.62:
	s_mov_b32 s2, exec_lo
	v_cmpx_gt_i32_e64 s8, v0
	s_cbranch_execz .LBB107_64
.LBB107_63:
	s_load_b32 s2, s[0:1], 0x30
	v_max_f32_e32 v0, v8, v8
	s_load_b64 s[0:1], s[0:1], 0x20
	s_ashr_i32 s3, s15, 31
	s_delay_alu instid0(VALU_DEP_1) | instskip(SKIP_1) | instid1(VALU_DEP_1)
	v_max_f32_e32 v0, 0x1e3ce508, v0
	s_waitcnt lgkmcnt(0)
	v_div_scale_f32 v1, null, v0, v0, s2
	v_div_scale_f32 v6, vcc_lo, s2, v0, s2
	s_mul_i32 s1, s15, s1
	s_delay_alu instid0(VALU_DEP_2)
	v_rcp_f32_e32 v2, v1
	s_mul_hi_u32 s8, s15, s0
	s_mul_i32 s3, s3, s0
	s_add_i32 s1, s8, s1
	s_mul_i32 s0, s15, s0
	s_add_i32 s1, s1, s3
	s_delay_alu instid0(SALU_CYCLE_1) | instskip(SKIP_2) | instid1(VALU_DEP_1)
	s_lshl_b64 s[0:1], s[0:1], 2
	s_waitcnt_depctr 0xfff
	v_fma_f32 v5, -v1, v2, 1.0
	v_fmac_f32_e32 v2, v5, v2
	s_delay_alu instid0(VALU_DEP_1) | instskip(NEXT) | instid1(VALU_DEP_1)
	v_mul_f32_e32 v5, v6, v2
	v_fma_f32 v7, -v1, v5, v6
	s_delay_alu instid0(VALU_DEP_1) | instskip(NEXT) | instid1(VALU_DEP_1)
	v_fmac_f32_e32 v5, v7, v2
	v_fma_f32 v1, -v1, v5, v6
	s_delay_alu instid0(VALU_DEP_1) | instskip(NEXT) | instid1(VALU_DEP_1)
	v_div_fmas_f32 v1, v1, v2, v5
	v_div_fixup_f32 v0, v1, v0, s2
	s_add_u32 s2, s4, s0
	s_addc_u32 s3, s5, s1
	s_add_u32 s0, s6, s0
	s_addc_u32 s1, s7, s1
	v_mul_f32_e32 v0, v4, v0
	s_clause 0x1
	global_store_b32 v103, v0, s[2:3]
	global_store_b32 v103, v3, s[0:1]
.LBB107_64:
	s_nop 0
	s_sendmsg sendmsg(MSG_DEALLOC_VGPRS)
	s_endpgm
.LBB107_65:
	v_dual_mov_b32 v3, 0 :: v_dual_mov_b32 v4, 0
	s_mov_b32 s2, exec_lo
	v_cmpx_gt_i32_e64 s8, v0
	s_cbranch_execnz .LBB107_63
	s_branch .LBB107_64
	.section	.rodata,"a",@progbits
	.p2align	6, 0x0
	.amdhsa_kernel _ZN5aiter24topk_softplus_kernel_optI6__halffLi256ELb1ELi1EEEvPKT_PKT0_PfPimiif
		.amdhsa_group_segment_fixed_size 0
		.amdhsa_private_segment_fixed_size 0
		.amdhsa_kernarg_size 52
		.amdhsa_user_sgpr_count 15
		.amdhsa_user_sgpr_dispatch_ptr 0
		.amdhsa_user_sgpr_queue_ptr 0
		.amdhsa_user_sgpr_kernarg_segment_ptr 1
		.amdhsa_user_sgpr_dispatch_id 0
		.amdhsa_user_sgpr_private_segment_size 0
		.amdhsa_wavefront_size32 1
		.amdhsa_uses_dynamic_stack 0
		.amdhsa_enable_private_segment 0
		.amdhsa_system_sgpr_workgroup_id_x 1
		.amdhsa_system_sgpr_workgroup_id_y 0
		.amdhsa_system_sgpr_workgroup_id_z 0
		.amdhsa_system_sgpr_workgroup_info 0
		.amdhsa_system_vgpr_workitem_id 0
		.amdhsa_next_free_vgpr 104
		.amdhsa_next_free_sgpr 16
		.amdhsa_reserve_vcc 1
		.amdhsa_float_round_mode_32 0
		.amdhsa_float_round_mode_16_64 0
		.amdhsa_float_denorm_mode_32 3
		.amdhsa_float_denorm_mode_16_64 3
		.amdhsa_dx10_clamp 1
		.amdhsa_ieee_mode 1
		.amdhsa_fp16_overflow 0
		.amdhsa_workgroup_processor_mode 1
		.amdhsa_memory_ordered 1
		.amdhsa_forward_progress 0
		.amdhsa_shared_vgpr_count 0
		.amdhsa_exception_fp_ieee_invalid_op 0
		.amdhsa_exception_fp_denorm_src 0
		.amdhsa_exception_fp_ieee_div_zero 0
		.amdhsa_exception_fp_ieee_overflow 0
		.amdhsa_exception_fp_ieee_underflow 0
		.amdhsa_exception_fp_ieee_inexact 0
		.amdhsa_exception_int_div_zero 0
	.end_amdhsa_kernel
	.section	.text._ZN5aiter24topk_softplus_kernel_optI6__halffLi256ELb1ELi1EEEvPKT_PKT0_PfPimiif,"axG",@progbits,_ZN5aiter24topk_softplus_kernel_optI6__halffLi256ELb1ELi1EEEvPKT_PKT0_PfPimiif,comdat
.Lfunc_end107:
	.size	_ZN5aiter24topk_softplus_kernel_optI6__halffLi256ELb1ELi1EEEvPKT_PKT0_PfPimiif, .Lfunc_end107-_ZN5aiter24topk_softplus_kernel_optI6__halffLi256ELb1ELi1EEEvPKT_PKT0_PfPimiif
                                        ; -- End function
	.section	.AMDGPU.csdata,"",@progbits
; Kernel info:
; codeLenInByte = 6928
; NumSgprs: 18
; NumVgprs: 104
; ScratchSize: 0
; MemoryBound: 0
; FloatMode: 240
; IeeeMode: 1
; LDSByteSize: 0 bytes/workgroup (compile time only)
; SGPRBlocks: 2
; VGPRBlocks: 12
; NumSGPRsForWavesPerEU: 18
; NumVGPRsForWavesPerEU: 104
; Occupancy: 12
; WaveLimiterHint : 0
; COMPUTE_PGM_RSRC2:SCRATCH_EN: 0
; COMPUTE_PGM_RSRC2:USER_SGPR: 15
; COMPUTE_PGM_RSRC2:TRAP_HANDLER: 0
; COMPUTE_PGM_RSRC2:TGID_X_EN: 1
; COMPUTE_PGM_RSRC2:TGID_Y_EN: 0
; COMPUTE_PGM_RSRC2:TGID_Z_EN: 0
; COMPUTE_PGM_RSRC2:TIDIG_COMP_CNT: 0
	.section	.text._ZN5aiter24topk_softplus_kernel_optI6__halffLi256ELb0ELi1EEEvPKT_PKT0_PfPimiif,"axG",@progbits,_ZN5aiter24topk_softplus_kernel_optI6__halffLi256ELb0ELi1EEEvPKT_PKT0_PfPimiif,comdat
	.protected	_ZN5aiter24topk_softplus_kernel_optI6__halffLi256ELb0ELi1EEEvPKT_PKT0_PfPimiif ; -- Begin function _ZN5aiter24topk_softplus_kernel_optI6__halffLi256ELb0ELi1EEEvPKT_PKT0_PfPimiif
	.globl	_ZN5aiter24topk_softplus_kernel_optI6__halffLi256ELb0ELi1EEEvPKT_PKT0_PfPimiif
	.p2align	8
	.type	_ZN5aiter24topk_softplus_kernel_optI6__halffLi256ELb0ELi1EEEvPKT_PKT0_PfPimiif,@function
_ZN5aiter24topk_softplus_kernel_optI6__halffLi256ELb0ELi1EEEvPKT_PKT0_PfPimiif: ; @_ZN5aiter24topk_softplus_kernel_optI6__halffLi256ELb0ELi1EEEvPKT_PKT0_PfPimiif
; %bb.0:
	s_load_b128 s[4:7], s[0:1], 0x0
	s_lshl_b32 s2, s15, 8
	v_lshlrev_b32_e32 v1, 1, v0
	s_ashr_i32 s3, s2, 31
	v_lshlrev_b32_e32 v103, 2, v0
	s_lshl_b64 s[2:3], s[2:3], 1
	s_waitcnt lgkmcnt(0)
	s_add_u32 s4, s4, s2
	s_addc_u32 s5, s5, s3
	s_mov_b32 s3, 0xbfb8aa3b
	global_load_u16 v2, v1, s[4:5]
	s_cmp_lg_u64 s[6:7], 0
	s_cselect_b32 s2, -1, 0
	s_waitcnt vmcnt(0)
	v_cvt_f32_f16_e32 v3, v2
	s_delay_alu instid0(VALU_DEP_1) | instskip(NEXT) | instid1(VALU_DEP_1)
	v_mul_f32_e32 v3, 0xbfb8aa3b, v3
	v_cmp_gt_f32_e32 vcc_lo, 0xc2fc0000, v3
	v_cndmask_b32_e64 v3, 0, 0x42800000, vcc_lo
	s_delay_alu instid0(VALU_DEP_1) | instskip(SKIP_2) | instid1(VALU_DEP_2)
	v_fma_mix_f32 v2, v2, s3, v3 op_sel_hi:[1,0,0]
	v_cndmask_b32_e64 v3, 1.0, 0x1f800000, vcc_lo
	s_and_b32 vcc_lo, exec_lo, s2
	v_exp_f32_e32 v2, v2
	s_waitcnt_depctr 0xfff
	v_fma_f32 v2, v2, v3, 1.0
	s_delay_alu instid0(VALU_DEP_1) | instskip(SKIP_3) | instid1(VALU_DEP_1)
	v_rcp_f32_e32 v48, v2
	s_waitcnt_depctr 0xfff
	v_mov_b32_e32 v32, v48
	v_add_co_u32 v1, s4, s4, v1
	v_add_co_ci_u32_e64 v2, null, s5, 0, s4
	s_cbranch_vccz .LBB108_2
; %bb.1:
	global_load_b32 v3, v103, s[6:7]
	s_waitcnt vmcnt(0)
	v_add_f32_e32 v32, v48, v3
.LBB108_2:
	global_load_u16 v3, v[1:2], off offset:64
	s_waitcnt vmcnt(0)
	v_cvt_f32_f16_e32 v4, v3
	s_delay_alu instid0(VALU_DEP_1) | instskip(NEXT) | instid1(VALU_DEP_1)
	v_mul_f32_e32 v4, 0xbfb8aa3b, v4
	v_cmp_gt_f32_e32 vcc_lo, 0xc2fc0000, v4
	v_cndmask_b32_e64 v5, 0, 0x42800000, vcc_lo
	v_cndmask_b32_e64 v4, 1.0, 0x1f800000, vcc_lo
	s_and_not1_b32 vcc_lo, exec_lo, s2
	s_delay_alu instid0(VALU_DEP_2) | instskip(NEXT) | instid1(VALU_DEP_1)
	v_fma_mix_f32 v3, v3, s3, v5 op_sel_hi:[1,0,0]
	v_exp_f32_e32 v3, v3
	s_waitcnt_depctr 0xfff
	v_fma_f32 v3, v3, v4, 1.0
	s_delay_alu instid0(VALU_DEP_1)
	v_rcp_f32_e32 v17, v3
	v_cndmask_b32_e64 v3, 0, 1, s2
	s_waitcnt_depctr 0xfff
	v_mov_b32_e32 v33, v17
	s_cbranch_vccnz .LBB108_4
; %bb.3:
	global_load_b32 v4, v103, s[6:7] offset:128
	s_waitcnt vmcnt(0)
	v_add_f32_e32 v33, v17, v4
.LBB108_4:
	global_load_u16 v4, v[1:2], off offset:128
	s_mov_b32 s2, 0xbfb8aa3b
	s_waitcnt vmcnt(0)
	v_cvt_f32_f16_e32 v5, v4
	s_delay_alu instid0(VALU_DEP_1) | instskip(NEXT) | instid1(VALU_DEP_1)
	v_mul_f32_e32 v5, 0xbfb8aa3b, v5
	v_cmp_gt_f32_e32 vcc_lo, 0xc2fc0000, v5
	v_cndmask_b32_e64 v6, 0, 0x42800000, vcc_lo
	v_cndmask_b32_e64 v5, 1.0, 0x1f800000, vcc_lo
	v_cmp_ne_u32_e32 vcc_lo, 1, v3
	s_delay_alu instid0(VALU_DEP_3) | instskip(SKIP_1) | instid1(VALU_DEP_1)
	v_fma_mix_f32 v4, v4, s2, v6 op_sel_hi:[1,0,0]
	s_and_b32 vcc_lo, exec_lo, vcc_lo
	v_exp_f32_e32 v4, v4
	s_waitcnt_depctr 0xfff
	v_fma_f32 v4, v4, v5, 1.0
	s_delay_alu instid0(VALU_DEP_1)
	v_rcp_f32_e32 v18, v4
	s_waitcnt_depctr 0xfff
	v_mov_b32_e32 v34, v18
	s_cbranch_vccnz .LBB108_6
; %bb.5:
	global_load_b32 v4, v103, s[6:7] offset:256
	s_waitcnt vmcnt(0)
	v_add_f32_e32 v34, v18, v4
.LBB108_6:
	global_load_u16 v4, v[1:2], off offset:192
	s_waitcnt vmcnt(0)
	v_cvt_f32_f16_e32 v5, v4
	s_delay_alu instid0(VALU_DEP_1) | instskip(NEXT) | instid1(VALU_DEP_1)
	v_mul_f32_e32 v5, 0xbfb8aa3b, v5
	v_cmp_gt_f32_e32 vcc_lo, 0xc2fc0000, v5
	v_cndmask_b32_e64 v6, 0, 0x42800000, vcc_lo
	v_cndmask_b32_e64 v5, 1.0, 0x1f800000, vcc_lo
	v_cmp_ne_u32_e32 vcc_lo, 1, v3
	s_delay_alu instid0(VALU_DEP_3) | instskip(SKIP_1) | instid1(VALU_DEP_1)
	v_fma_mix_f32 v4, v4, s2, v6 op_sel_hi:[1,0,0]
	s_and_b32 vcc_lo, exec_lo, vcc_lo
	v_exp_f32_e32 v4, v4
	s_waitcnt_depctr 0xfff
	v_fma_f32 v4, v4, v5, 1.0
	s_delay_alu instid0(VALU_DEP_1)
	v_rcp_f32_e32 v19, v4
	s_waitcnt_depctr 0xfff
	v_mov_b32_e32 v35, v19
	s_cbranch_vccnz .LBB108_8
; %bb.7:
	global_load_b32 v4, v103, s[6:7] offset:384
	s_waitcnt vmcnt(0)
	v_add_f32_e32 v35, v19, v4
.LBB108_8:
	global_load_u16 v4, v[1:2], off offset:256
	;; [unrolled: 25-line block ×5, first 2 shown]
	s_waitcnt vmcnt(0)
	v_cvt_f32_f16_e32 v2, v1
	s_delay_alu instid0(VALU_DEP_1) | instskip(NEXT) | instid1(VALU_DEP_1)
	v_mul_f32_e32 v2, 0xbfb8aa3b, v2
	v_cmp_gt_f32_e32 vcc_lo, 0xc2fc0000, v2
	v_cndmask_b32_e64 v4, 0, 0x42800000, vcc_lo
	v_cndmask_b32_e64 v2, 1.0, 0x1f800000, vcc_lo
	v_cmp_ne_u32_e32 vcc_lo, 1, v3
	s_delay_alu instid0(VALU_DEP_3) | instskip(NEXT) | instid1(VALU_DEP_1)
	v_fma_mix_f32 v1, v1, s2, v4 op_sel_hi:[1,0,0]
	v_exp_f32_e32 v1, v1
	s_waitcnt_depctr 0xfff
	v_fma_f32 v1, v1, v2, 1.0
	s_delay_alu instid0(VALU_DEP_1)
	v_rcp_f32_e32 v23, v1
	s_cbranch_vccnz .LBB108_16
; %bb.15:
	global_load_b32 v1, v103, s[6:7] offset:896
	s_waitcnt vmcnt(0)
	v_add_f32_e32 v39, v23, v1
	s_branch .LBB108_17
.LBB108_16:
	s_waitcnt_depctr 0xfff
	v_mov_b32_e32 v39, v23
.LBB108_17:
	v_add_nc_u32_e32 v7, 0xe0, v0
	v_dual_mov_b32 v8, v32 :: v_dual_add_nc_u32 v1, 32, v0
	v_dual_mov_b32 v9, v33 :: v_dual_add_nc_u32 v2, 64, v0
	;; [unrolled: 1-line block ×6, first 2 shown]
	v_dual_mov_b32 v14, v38 :: v_dual_mov_b32 v31, v7
	s_delay_alu instid0(VALU_DEP_2)
	v_dual_mov_b32 v47, v7 :: v_dual_mov_b32 v46, v6
	v_dual_mov_b32 v78, v7 :: v_dual_mov_b32 v77, v6
	;; [unrolled: 1-line block ×9, first 2 shown]
	v_mov_b32_e32 v40, v0
	v_dual_mov_b32 v76, v5 :: v_dual_mov_b32 v75, v4
	v_dual_mov_b32 v74, v3 :: v_dual_mov_b32 v73, v2
	;; [unrolled: 1-line block ×7, first 2 shown]
	s_mov_b32 s2, exec_lo
	v_cmpx_lt_f32_e32 v32, v33
	s_xor_b32 s2, exec_lo, s2
	s_cbranch_execz .LBB108_19
; %bb.18:
	v_dual_mov_b32 v30, v6 :: v_dual_mov_b32 v31, v7
	v_dual_mov_b32 v24, v1 :: v_dual_mov_b32 v25, v0
	;; [unrolled: 1-line block ×4, first 2 shown]
	s_delay_alu instid0(VALU_DEP_4)
	v_dual_mov_b32 v47, v31 :: v_dual_mov_b32 v46, v30
	v_dual_mov_b32 v78, v31 :: v_dual_mov_b32 v77, v30
	;; [unrolled: 1-line block ×17, first 2 shown]
	v_mov_b32_e32 v17, v48
	v_mov_b32_e32 v1, v0
.LBB108_19:
	s_or_b32 exec_lo, exec_lo, s2
	v_dual_mov_b32 v62, v23 :: v_dual_mov_b32 v61, v22
	v_dual_mov_b32 v86, v23 :: v_dual_mov_b32 v85, v22
	;; [unrolled: 1-line block ×16, first 2 shown]
	v_mov_b32_e32 v32, v10
	s_mov_b32 s2, exec_lo
	v_cmpx_lt_f32_e32 v33, v10
	s_cbranch_execz .LBB108_21
; %bb.20:
	v_dual_mov_b32 v70, v31 :: v_dual_mov_b32 v69, v30
	v_dual_mov_b32 v64, v25 :: v_dual_mov_b32 v63, v24
	v_dual_mov_b32 v66, v27 :: v_dual_mov_b32 v65, v26
	v_dual_mov_b32 v64, v2 :: v_dual_mov_b32 v65, v1
	v_dual_mov_b32 v102, v23 :: v_dual_mov_b32 v101, v22
	v_dual_mov_b32 v96, v17 :: v_dual_mov_b32 v95, v16
	v_dual_mov_b32 v68, v29 :: v_dual_mov_b32 v67, v28
	v_dual_mov_b32 v98, v19 :: v_dual_mov_b32 v97, v18
	v_dual_mov_b32 v100, v21 :: v_dual_mov_b32 v99, v20
	v_dual_mov_b32 v96, v18 :: v_dual_mov_b32 v97, v17
	v_dual_mov_b32 v78, v70 :: v_dual_mov_b32 v77, v69
	v_dual_mov_b32 v74, v66 :: v_dual_mov_b32 v73, v65
	v_dual_mov_b32 v72, v64 :: v_dual_mov_b32 v71, v63
	v_mov_b32_e32 v74, v3
	v_dual_mov_b32 v87, v95 :: v_dual_mov_b32 v88, v96
	v_dual_mov_b32 v76, v68 :: v_dual_mov_b32 v75, v67
	;; [unrolled: 1-line block ×5, first 2 shown]
	v_mov_b32_e32 v90, v19
	v_dual_mov_b32 v40, v71 :: v_dual_mov_b32 v45, v76
	v_mov_b32_e32 v41, v72
	v_dual_mov_b32 v43, v74 :: v_dual_mov_b32 v46, v77
	;; [unrolled: 2-line block ×3, first 2 shown]
	v_dual_mov_b32 v42, v73 :: v_dual_mov_b32 v47, v78
	v_dual_mov_b32 v44, v4 :: v_dual_mov_b32 v81, v89
	v_dual_mov_b32 v10, v33 :: v_dual_mov_b32 v83, v91
	v_dual_mov_b32 v80, v88 :: v_dual_mov_b32 v85, v93
	v_dual_mov_b32 v82, v90 :: v_dual_mov_b32 v83, v20
	v_mov_b32_e32 v84, v92
	v_mov_b32_e32 v86, v94
	v_dual_mov_b32 v24, v40 :: v_dual_mov_b32 v29, v45
	v_dual_mov_b32 v30, v46 :: v_dual_mov_b32 v25, v41
	;; [unrolled: 1-line block ×6, first 2 shown]
	v_mov_b32_e32 v61, v22
	v_mov_b32_e32 v62, v86
	v_dual_mov_b32 v28, v44 :: v_dual_mov_b32 v29, v5
	v_dual_mov_b32 v31, v7 :: v_dual_mov_b32 v32, v33
	;; [unrolled: 1-line block ×3, first 2 shown]
	v_mov_b32_e32 v57, v81
	v_mov_b32_e32 v60, v21
	v_mov_b32_e32 v62, v23
	v_mov_b32_e32 v18, v17
	v_mov_b32_e32 v2, v1
.LBB108_21:
	s_or_b32 exec_lo, exec_lo, s2
	v_mov_b32_e32 v1, v11
	s_mov_b32 s2, exec_lo
	v_cmpx_lt_f32_e32 v32, v11
	s_cbranch_execz .LBB108_23
; %bb.22:
	v_mov_b32_e32 v97, v19
	v_mov_b32_e32 v65, v3
	v_dual_mov_b32 v87, v95 :: v_dual_mov_b32 v88, v96
	v_mov_b32_e32 v78, v70
	v_dual_mov_b32 v92, v100 :: v_dual_mov_b32 v71, v63
	v_dual_mov_b32 v90, v98 :: v_dual_mov_b32 v91, v99
	;; [unrolled: 1-line block ×8, first 2 shown]
	v_mov_b32_e32 v80, v88
	s_delay_alu instid0(VALU_DEP_3)
	v_dual_mov_b32 v40, v71 :: v_dual_mov_b32 v41, v72
	v_dual_mov_b32 v83, v91 :: v_dual_mov_b32 v84, v92
	;; [unrolled: 1-line block ×20, first 2 shown]
	v_mov_b32_e32 v1, v32
	v_mov_b32_e32 v19, v18
	;; [unrolled: 1-line block ×3, first 2 shown]
.LBB108_23:
	s_or_b32 exec_lo, exec_lo, s2
	v_mov_b32_e32 v2, v12
	s_mov_b32 s2, exec_lo
	v_cmpx_lt_f32_e32 v1, v12
	s_cbranch_execz .LBB108_25
; %bb.24:
	v_mov_b32_e32 v98, v20
	v_dual_mov_b32 v66, v4 :: v_dual_mov_b32 v79, v95
	v_dual_mov_b32 v40, v63 :: v_dual_mov_b32 v41, v64
	;; [unrolled: 1-line block ×3, first 2 shown]
	s_delay_alu instid0(VALU_DEP_3)
	v_dual_mov_b32 v43, v66 :: v_dual_mov_b32 v80, v96
	v_mov_b32_e32 v81, v97
	v_dual_mov_b32 v46, v69 :: v_dual_mov_b32 v83, v99
	v_dual_mov_b32 v42, v65 :: v_dual_mov_b32 v45, v68
	;; [unrolled: 1-line block ×5, first 2 shown]
	v_mov_b32_e32 v44, v3
	v_dual_mov_b32 v55, v79 :: v_dual_mov_b32 v56, v80
	v_dual_mov_b32 v57, v81 :: v_dual_mov_b32 v24, v40
	v_dual_mov_b32 v25, v41 :: v_dual_mov_b32 v30, v46
	v_dual_mov_b32 v59, v83 :: v_dual_mov_b32 v26, v42
	v_dual_mov_b32 v29, v45 :: v_dual_mov_b32 v28, v44
	v_dual_mov_b32 v31, v47 :: v_dual_mov_b32 v58, v82
	v_dual_mov_b32 v61, v85 :: v_dual_mov_b32 v60, v84
	v_dual_mov_b32 v29, v5 :: v_dual_mov_b32 v62, v86
	v_dual_mov_b32 v31, v7 :: v_dual_mov_b32 v30, v6
	v_dual_mov_b32 v87, v95 :: v_dual_mov_b32 v78, v70
	v_mov_b32_e32 v73, v65
	v_dual_mov_b32 v12, v1 :: v_dual_mov_b32 v27, v43
	v_dual_mov_b32 v60, v21 :: v_dual_mov_b32 v61, v22
	v_dual_mov_b32 v62, v23 :: v_dual_mov_b32 v89, v97
	v_dual_mov_b32 v88, v96 :: v_dual_mov_b32 v91, v99
	v_dual_mov_b32 v90, v98 :: v_dual_mov_b32 v93, v101
	v_dual_mov_b32 v92, v100 :: v_dual_mov_b32 v77, v69
	v_dual_mov_b32 v94, v102 :: v_dual_mov_b32 v75, v67
	v_dual_mov_b32 v76, v68 :: v_dual_mov_b32 v71, v63
	v_mov_b32_e32 v74, v66
	v_mov_b32_e32 v72, v64
	;; [unrolled: 1-line block ×5, first 2 shown]
.LBB108_25:
	s_or_b32 exec_lo, exec_lo, s2
	v_mov_b32_e32 v1, v13
	s_mov_b32 s2, exec_lo
	v_cmpx_lt_f32_e32 v2, v13
	s_cbranch_execz .LBB108_27
; %bb.26:
	v_mov_b32_e32 v75, v5
	v_dual_mov_b32 v91, v21 :: v_dual_mov_b32 v24, v71
	v_mov_b32_e32 v30, v77
	v_mov_b32_e32 v30, v6
	v_mov_b32_e32 v31, v78
	v_mov_b32_e32 v29, v76
	v_dual_mov_b32 v55, v87 :: v_dual_mov_b32 v60, v92
	v_dual_mov_b32 v79, v87 :: v_dual_mov_b32 v82, v90
	;; [unrolled: 1-line block ×17, first 2 shown]
	v_mov_b32_e32 v21, v20
	v_mov_b32_e32 v5, v4
	;; [unrolled: 1-line block ×4, first 2 shown]
.LBB108_27:
	s_or_b32 exec_lo, exec_lo, s2
	v_mov_b32_e32 v2, v14
	s_mov_b32 s2, exec_lo
	v_cmpx_lt_f32_e32 v1, v14
	s_cbranch_execz .LBB108_29
; %bb.28:
	v_dual_mov_b32 v45, v6 :: v_dual_mov_b32 v46, v5
	v_dual_mov_b32 v84, v22 :: v_dual_mov_b32 v85, v21
	;; [unrolled: 1-line block ×12, first 2 shown]
	v_mov_b32_e32 v2, v1
.LBB108_29:
	s_or_b32 exec_lo, exec_lo, s2
	s_delay_alu instid0(VALU_DEP_1)
	v_cmp_lt_f32_e32 vcc_lo, v2, v15
	v_dual_mov_b32 v40, v56 :: v_dual_mov_b32 v43, v59
	v_cmp_lt_f32_e64 s2, v8, v9
	v_dual_mov_b32 v41, v57 :: v_dual_mov_b32 v42, v58
	v_dual_cndmask_b32 v23, v15, v2 :: v_dual_cndmask_b32 v14, v14, v15
	v_dual_cndmask_b32 v46, v62, v61 :: v_dual_mov_b32 v39, v55
	s_delay_alu instid0(VALU_DEP_2) | instskip(SKIP_3) | instid1(VALU_DEP_4)
	v_dual_mov_b32 v44, v60 :: v_dual_mov_b32 v15, v23
	v_cndmask_b32_e32 v45, v61, v62, vcc_lo
	v_dual_cndmask_b32 v54, v31, v30 :: v_dual_cndmask_b32 v53, v30, v31
	v_dual_mov_b32 v47, v24 :: v_dual_mov_b32 v50, v27
	v_mov_b32_e32 v22, v15
	v_dual_mov_b32 v21, v14 :: v_dual_mov_b32 v20, v13
	v_dual_mov_b32 v19, v12 :: v_dual_mov_b32 v18, v11
	;; [unrolled: 1-line block ×5, first 2 shown]
	v_mov_b32_e32 v51, v28
	s_and_saveexec_b32 s3, s2
	s_delay_alu instid0(SALU_CYCLE_1)
	s_xor_b32 s2, exec_lo, s3
	s_cbranch_execz .LBB108_31
; %bb.30:
	v_dual_mov_b32 v16, v9 :: v_dual_mov_b32 v17, v8
	v_dual_mov_b32 v18, v10 :: v_dual_mov_b32 v19, v11
	;; [unrolled: 1-line block ×4, first 2 shown]
	s_delay_alu instid0(VALU_DEP_4)
	v_dual_mov_b32 v15, v16 :: v_dual_mov_b32 v40, v55
	v_dual_mov_b32 v16, v17 :: v_dual_mov_b32 v39, v56
	;; [unrolled: 1-line block ×10, first 2 shown]
.LBB108_31:
	s_or_b32 exec_lo, exec_lo, s2
	v_dual_mov_b32 v31, v39 :: v_dual_mov_b32 v32, v40
	v_dual_mov_b32 v78, v46 :: v_dual_mov_b32 v77, v45
	v_dual_mov_b32 v62, v46 :: v_dual_mov_b32 v61, v45
	v_dual_mov_b32 v23, v47 :: v_dual_mov_b32 v24, v48
	v_dual_mov_b32 v70, v54 :: v_dual_mov_b32 v69, v53
	v_dual_mov_b32 v1, v47 :: v_dual_mov_b32 v2, v48
	v_dual_mov_b32 v33, v41 :: v_dual_mov_b32 v34, v42
	v_dual_mov_b32 v35, v43 :: v_dual_mov_b32 v36, v44
	v_dual_mov_b32 v37, v45 :: v_dual_mov_b32 v38, v46
	v_dual_mov_b32 v74, v42 :: v_dual_mov_b32 v73, v41
	v_dual_mov_b32 v72, v40 :: v_dual_mov_b32 v71, v39
	v_dual_mov_b32 v60, v44 :: v_dual_mov_b32 v59, v43
	v_dual_mov_b32 v58, v42 :: v_dual_mov_b32 v57, v41
	v_dual_mov_b32 v56, v40 :: v_dual_mov_b32 v55, v39
	v_dual_mov_b32 v25, v49 :: v_dual_mov_b32 v26, v50
	v_dual_mov_b32 v27, v51 :: v_dual_mov_b32 v28, v52
	v_dual_mov_b32 v29, v53 :: v_dual_mov_b32 v30, v54
	v_dual_mov_b32 v66, v50 :: v_dual_mov_b32 v65, v49
	v_dual_mov_b32 v64, v48 :: v_dual_mov_b32 v63, v47
	v_dual_mov_b32 v3, v49 :: v_dual_mov_b32 v4, v50
	v_dual_mov_b32 v5, v51 :: v_dual_mov_b32 v6, v52
	v_dual_mov_b32 v7, v53 :: v_dual_mov_b32 v8, v54
	v_mov_b32_e32 v10, v17
	s_mov_b32 s2, exec_lo
	v_dual_mov_b32 v76, v44 :: v_dual_mov_b32 v75, v43
	v_dual_mov_b32 v68, v52 :: v_dual_mov_b32 v67, v51
	v_cmpx_lt_f32_e32 v9, v17
	s_cbranch_execz .LBB108_33
; %bb.32:
	v_dual_mov_b32 v1, v47 :: v_dual_mov_b32 v2, v48
	v_dual_mov_b32 v7, v53 :: v_dual_mov_b32 v8, v54
	v_mov_b32_e32 v2, v49
	v_dual_mov_b32 v3, v49 :: v_dual_mov_b32 v4, v50
	v_dual_mov_b32 v5, v51 :: v_dual_mov_b32 v6, v52
	;; [unrolled: 1-line block ×7, first 2 shown]
	v_mov_b32_e32 v57, v40
	v_dual_mov_b32 v70, v8 :: v_dual_mov_b32 v69, v7
	v_dual_mov_b32 v64, v2 :: v_dual_mov_b32 v63, v1
	;; [unrolled: 1-line block ×6, first 2 shown]
	v_mov_b32_e32 v66, v50
	v_dual_mov_b32 v16, v17 :: v_dual_mov_b32 v75, v59
	v_dual_mov_b32 v17, v9 :: v_dual_mov_b32 v76, v60
	;; [unrolled: 1-line block ×17, first 2 shown]
.LBB108_33:
	s_or_b32 exec_lo, exec_lo, s2
	v_mov_b32_e32 v9, v18
	s_mov_b32 s2, exec_lo
	s_delay_alu instid0(VALU_DEP_2)
	v_cmpx_lt_f32_e32 v10, v18
	s_cbranch_execz .LBB108_35
; %bb.34:
	v_mov_b32_e32 v3, v50
	v_dual_mov_b32 v57, v42 :: v_dual_mov_b32 v70, v8
	v_mov_b32_e32 v66, v4
	v_dual_mov_b32 v78, v62 :: v_dual_mov_b32 v77, v61
	v_mov_b32_e32 v66, v49
	v_mov_b32_e32 v63, v1
	;; [unrolled: 1-line block ×3, first 2 shown]
	v_dual_mov_b32 v69, v7 :: v_dual_mov_b32 v68, v6
	v_dual_mov_b32 v67, v5 :: v_dual_mov_b32 v64, v2
	;; [unrolled: 1-line block ×4, first 2 shown]
	v_mov_b32_e32 v65, v3
	v_dual_mov_b32 v73, v57 :: v_dual_mov_b32 v72, v56
	v_mov_b32_e32 v74, v41
	v_dual_mov_b32 v18, v10 :: v_dual_mov_b32 v23, v63
	v_dual_mov_b32 v24, v64 :: v_dual_mov_b32 v31, v71
	s_delay_alu instid0(VALU_DEP_4)
	v_dual_mov_b32 v32, v72 :: v_dual_mov_b32 v27, v67
	v_dual_mov_b32 v28, v68 :: v_dual_mov_b32 v29, v69
	;; [unrolled: 1-line block ×10, first 2 shown]
	v_mov_b32_e32 v38, v46
	v_dual_mov_b32 v9, v10 :: v_dual_mov_b32 v42, v41
	v_mov_b32_e32 v50, v49
.LBB108_35:
	s_or_b32 exec_lo, exec_lo, s2
	v_mov_b32_e32 v4, v19
	s_mov_b32 s2, exec_lo
	v_cmpx_lt_f32_e32 v9, v19
	s_cbranch_execz .LBB108_37
; %bb.36:
	v_mov_b32_e32 v4, v51
	v_dual_mov_b32 v18, v19 :: v_dual_mov_b32 v19, v9
	v_mov_b32_e32 v58, v43
	v_dual_mov_b32 v30, v8 :: v_dual_mov_b32 v29, v7
	v_dual_mov_b32 v28, v6 :: v_dual_mov_b32 v25, v3
	v_dual_mov_b32 v23, v1 :: v_dual_mov_b32 v28, v52
	v_mov_b32_e32 v31, v55
	v_dual_mov_b32 v27, v5 :: v_dual_mov_b32 v32, v56
	v_dual_mov_b32 v35, v59 :: v_dual_mov_b32 v34, v58
	;; [unrolled: 4-line block ×3, first 2 shown]
	v_dual_mov_b32 v70, v8 :: v_dual_mov_b32 v65, v3
	v_dual_mov_b32 v26, v4 :: v_dual_mov_b32 v27, v50
	;; [unrolled: 1-line block ×11, first 2 shown]
	v_mov_b32_e32 v64, v2
	v_dual_mov_b32 v4, v9 :: v_dual_mov_b32 v51, v50
.LBB108_37:
	s_or_b32 exec_lo, exec_lo, s2
	v_mov_b32_e32 v1, v20
	s_mov_b32 s2, exec_lo
	s_delay_alu instid0(VALU_DEP_2)
	v_cmpx_lt_f32_e32 v4, v20
	s_cbranch_execz .LBB108_39
; %bb.38:
	v_dual_mov_b32 v67, v52 :: v_dual_mov_b32 v68, v51
	v_dual_mov_b32 v69, v53 :: v_dual_mov_b32 v76, v43
	;; [unrolled: 1-line block ×4, first 2 shown]
	v_mov_b32_e32 v19, v20
	v_dual_mov_b32 v20, v4 :: v_dual_mov_b32 v31, v71
	v_dual_mov_b32 v23, v63 :: v_dual_mov_b32 v24, v64
	;; [unrolled: 1-line block ×9, first 2 shown]
.LBB108_39:
	s_or_b32 exec_lo, exec_lo, s2
	s_delay_alu instid0(VALU_DEP_1)
	v_cmp_lt_f32_e32 vcc_lo, v1, v21
	v_mov_b32_e32 v4, v18
	v_mov_b32_e32 v8, v22
	s_mov_b32 s2, exec_lo
	v_dual_mov_b32 v2, v16 :: v_dual_cndmask_b32 v9, v37, v36
	v_cndmask_b32_e32 v36, v36, v37, vcc_lo
	v_cndmask_b32_e32 v10, v29, v28, vcc_lo
	v_dual_cndmask_b32 v28, v28, v29 :: v_dual_mov_b32 v3, v17
	v_cndmask_b32_e32 v7, v21, v1, vcc_lo
	v_dual_cndmask_b32 v6, v20, v21 :: v_dual_mov_b32 v5, v19
	v_mov_b32_e32 v1, v15
	v_cmpx_lt_f32_e32 v15, v16
	s_cbranch_execz .LBB108_41
; %bb.40:
	s_delay_alu instid0(VALU_DEP_2)
	v_dual_mov_b32 v39, v2 :: v_dual_mov_b32 v40, v1
	v_dual_mov_b32 v41, v3 :: v_dual_mov_b32 v42, v4
	;; [unrolled: 1-line block ×4, first 2 shown]
	v_mov_b32_e32 v11, v31
	v_mov_b32_e32 v12, v23
	v_dual_mov_b32 v1, v39 :: v_dual_mov_b32 v4, v42
	v_swap_b32 v31, v32
	v_swap_b32 v23, v24
	v_dual_mov_b32 v2, v40 :: v_dual_mov_b32 v3, v41
	v_dual_mov_b32 v5, v43 :: v_dual_mov_b32 v6, v44
	;; [unrolled: 1-line block ×3, first 2 shown]
	v_mov_b32_e32 v16, v15
.LBB108_41:
	s_or_b32 exec_lo, exec_lo, s2
	v_mov_b32_e32 v29, v10
	v_dual_mov_b32 v37, v9 :: v_dual_mov_b32 v54, v30
	v_mov_b32_e32 v46, v38
	v_dual_mov_b32 v44, v36 :: v_dual_mov_b32 v39, v31
	v_dual_mov_b32 v70, v38 :: v_dual_mov_b32 v49, v25
	s_delay_alu instid0(VALU_DEP_4)
	v_dual_mov_b32 v62, v30 :: v_dual_mov_b32 v45, v37
	v_dual_mov_b32 v43, v35 :: v_dual_mov_b32 v42, v34
	;; [unrolled: 1-line block ×12, first 2 shown]
	v_mov_b32_e32 v57, v25
	v_mov_b32_e32 v55, v23
	;; [unrolled: 1-line block ×3, first 2 shown]
	s_mov_b32 s2, exec_lo
	v_cmpx_lt_f32_e32 v16, v3
	s_cbranch_execz .LBB108_43
; %bb.42:
	v_dual_mov_b32 v62, v30 :: v_dual_mov_b32 v61, v29
	v_dual_mov_b32 v58, v26 :: v_dual_mov_b32 v57, v25
	;; [unrolled: 1-line block ×7, first 2 shown]
	s_delay_alu instid0(VALU_DEP_4)
	v_dual_mov_b32 v47, v55 :: v_dual_mov_b32 v48, v56
	v_dual_mov_b32 v68, v36 :: v_dual_mov_b32 v67, v35
	;; [unrolled: 1-line block ×16, first 2 shown]
	v_mov_b32_e32 v44, v36
	v_dual_mov_b32 v46, v38 :: v_dual_mov_b32 v11, v16
	v_mov_b32_e32 v33, v32
	v_mov_b32_e32 v25, v24
.LBB108_43:
	s_or_b32 exec_lo, exec_lo, s2
	v_mov_b32_e32 v12, v4
	s_mov_b32 s2, exec_lo
	v_cmpx_lt_f32_e32 v11, v4
	s_cbranch_execz .LBB108_45
; %bb.44:
	v_mov_b32_e32 v57, v26
	v_dual_mov_b32 v3, v4 :: v_dual_mov_b32 v4, v11
	v_mov_b32_e32 v65, v34
	v_dual_mov_b32 v47, v55 :: v_dual_mov_b32 v52, v60
	v_dual_mov_b32 v48, v56 :: v_dual_mov_b32 v39, v63
	;; [unrolled: 1-line block ×3, first 2 shown]
	v_mov_b32_e32 v54, v62
	v_dual_mov_b32 v50, v58 :: v_dual_mov_b32 v51, v59
	v_mov_b32_e32 v50, v25
	v_dual_mov_b32 v53, v61 :: v_dual_mov_b32 v52, v28
	v_dual_mov_b32 v41, v65 :: v_dual_mov_b32 v44, v68
	;; [unrolled: 1-line block ×8, first 2 shown]
	v_mov_b32_e32 v12, v11
	v_mov_b32_e32 v34, v33
	;; [unrolled: 1-line block ×3, first 2 shown]
.LBB108_45:
	s_or_b32 exec_lo, exec_lo, s2
	v_mov_b32_e32 v11, v5
	s_mov_b32 s2, exec_lo
	v_cmpx_lt_f32_e32 v12, v5
	s_cbranch_execz .LBB108_47
; %bb.46:
	v_dual_mov_b32 v68, v36 :: v_dual_mov_b32 v69, v9
	v_dual_mov_b32 v58, v27 :: v_dual_mov_b32 v59, v26
	;; [unrolled: 1-line block ×4, first 2 shown]
	v_mov_b32_e32 v70, v38
	v_dual_mov_b32 v4, v5 :: v_dual_mov_b32 v5, v12
	v_dual_mov_b32 v62, v30 :: v_dual_mov_b32 v39, v63
	;; [unrolled: 1-line block ×10, first 2 shown]
.LBB108_47:
	s_or_b32 exec_lo, exec_lo, s2
	s_delay_alu instid0(VALU_DEP_1)
	v_cmp_lt_f32_e32 vcc_lo, v11, v6
	v_dual_mov_b32 v19, v1 :: v_dual_mov_b32 v26, v8
	v_mov_b32_e32 v21, v3
	v_mov_b32_e32 v25, v7
	v_dual_cndmask_b32 v27, v44, v43 :: v_dual_mov_b32 v20, v2
	v_dual_cndmask_b32 v43, v43, v44 :: v_dual_cndmask_b32 v28, v52, v51
	v_dual_cndmask_b32 v51, v51, v52 :: v_dual_cndmask_b32 v24, v6, v11
	v_dual_cndmask_b32 v23, v5, v6 :: v_dual_mov_b32 v22, v4
	s_mov_b32 s2, exec_lo
	v_cmpx_lt_f32_e32 v1, v2
	s_cbranch_execz .LBB108_49
; %bb.48:
	v_dual_mov_b32 v8, v25 :: v_dual_mov_b32 v9, v26
	v_dual_mov_b32 v2, v20 :: v_dual_mov_b32 v3, v19
	;; [unrolled: 1-line block ×4, first 2 shown]
	v_mov_b32_e32 v10, v39
	v_dual_mov_b32 v11, v47 :: v_dual_mov_b32 v26, v9
	v_swap_b32 v39, v40
	v_swap_b32 v47, v48
	v_dual_mov_b32 v25, v8 :: v_dual_mov_b32 v24, v7
	v_dual_mov_b32 v23, v6 :: v_dual_mov_b32 v22, v5
	;; [unrolled: 1-line block ×4, first 2 shown]
.LBB108_49:
	s_or_b32 exec_lo, exec_lo, s2
	v_mov_b32_e32 v52, v28
	v_mov_b32_e32 v44, v27
	;; [unrolled: 1-line block ×4, first 2 shown]
	v_dual_mov_b32 v11, v39 :: v_dual_mov_b32 v4, v48
	v_dual_mov_b32 v12, v40 :: v_dual_mov_b32 v13, v41
	v_dual_mov_b32 v14, v42 :: v_dual_mov_b32 v15, v43
	v_dual_mov_b32 v16, v44 :: v_dual_mov_b32 v17, v45
	v_dual_mov_b32 v18, v46 :: v_dual_mov_b32 v7, v51
	v_dual_mov_b32 v6, v50 :: v_dual_mov_b32 v9, v53
	v_dual_mov_b32 v8, v52 :: v_dual_mov_b32 v1, v21
	v_mov_b32_e32 v10, v54
	s_mov_b32 s2, exec_lo
	v_cmpx_lt_f32_e32 v2, v21
	s_cbranch_execz .LBB108_51
; %bb.50:
	v_dual_mov_b32 v3, v47 :: v_dual_mov_b32 v4, v48
	v_dual_mov_b32 v9, v53 :: v_dual_mov_b32 v10, v54
	;; [unrolled: 1-line block ×17, first 2 shown]
	v_mov_b32_e32 v49, v48
.LBB108_51:
	s_or_b32 exec_lo, exec_lo, s2
	v_mov_b32_e32 v29, v22
	s_mov_b32 s2, exec_lo
	v_cmpx_lt_f32_e32 v1, v22
; %bb.52:
	v_dual_mov_b32 v21, v22 :: v_dual_mov_b32 v22, v1
	v_dual_mov_b32 v5, v50 :: v_dual_mov_b32 v6, v49
	;; [unrolled: 1-line block ×7, first 2 shown]
	v_mov_b32_e32 v29, v1
; %bb.53:
	s_or_b32 exec_lo, exec_lo, s2
	s_delay_alu instid0(VALU_DEP_1)
	v_cmp_lt_f32_e32 vcc_lo, v29, v23
	v_dual_mov_b32 v28, v20 :: v_dual_mov_b32 v33, v25
	v_mov_b32_e32 v32, v24
	v_dual_mov_b32 v34, v26 :: v_dual_cndmask_b32 v1, v15, v14
	v_cndmask_b32_e32 v14, v14, v15, vcc_lo
	v_cndmask_b32_e32 v2, v7, v6, vcc_lo
	v_dual_cndmask_b32 v6, v6, v7 :: v_dual_cndmask_b32 v31, v23, v29
	v_dual_cndmask_b32 v30, v22, v23 :: v_dual_mov_b32 v27, v19
	v_mov_b32_e32 v29, v21
	s_mov_b32 s2, exec_lo
	v_cmpx_lt_f32_e32 v19, v20
	s_cbranch_execz .LBB108_55
; %bb.54:
	v_dual_mov_b32 v20, v28 :: v_dual_mov_b32 v21, v27
	v_dual_mov_b32 v26, v33 :: v_dual_mov_b32 v27, v34
	;; [unrolled: 1-line block ×4, first 2 shown]
	s_delay_alu instid0(VALU_DEP_3)
	v_mov_b32_e32 v34, v27
	v_mov_b32_e32 v7, v11
	v_dual_mov_b32 v15, v3 :: v_dual_mov_b32 v28, v21
	v_swap_b32 v11, v12
	v_swap_b32 v3, v4
	v_dual_mov_b32 v33, v26 :: v_dual_mov_b32 v30, v23
	v_dual_mov_b32 v32, v25 :: v_dual_mov_b32 v31, v24
	v_mov_b32_e32 v29, v22
	v_dual_mov_b32 v27, v20 :: v_dual_mov_b32 v20, v19
.LBB108_55:
	s_or_b32 exec_lo, exec_lo, s2
	v_mov_b32_e32 v7, v2
	v_mov_b32_e32 v15, v1
	;; [unrolled: 1-line block ×3, first 2 shown]
	s_mov_b32 s2, exec_lo
	v_cmpx_lt_f32_e32 v20, v29
	s_cbranch_execz .LBB108_57
; %bb.56:
	v_dual_mov_b32 v42, v10 :: v_dual_mov_b32 v41, v9
	v_dual_mov_b32 v40, v8 :: v_dual_mov_b32 v39, v7
	;; [unrolled: 1-line block ×16, first 2 shown]
	v_mov_b32_e32 v18, v9
	s_delay_alu instid0(VALU_DEP_3) | instskip(NEXT) | instid1(VALU_DEP_4)
	v_dual_mov_b32 v16, v7 :: v_dual_mov_b32 v15, v6
	v_dual_mov_b32 v17, v8 :: v_dual_mov_b32 v14, v5
	;; [unrolled: 1-line block ×3, first 2 shown]
	v_mov_b32_e32 v11, v2
	v_dual_mov_b32 v3, v35 :: v_dual_mov_b32 v4, v36
	v_dual_mov_b32 v5, v37 :: v_dual_mov_b32 v6, v38
	;; [unrolled: 1-line block ×4, first 2 shown]
	v_mov_b32_e32 v19, v20
.LBB108_57:
	s_or_b32 exec_lo, exec_lo, s2
	s_delay_alu instid0(VALU_DEP_1)
	v_cmp_lt_f32_e32 vcc_lo, v19, v30
	v_dual_mov_b32 v20, v7 :: v_dual_mov_b32 v21, v8
	v_dual_mov_b32 v22, v9 :: v_dual_mov_b32 v23, v10
	v_dual_cndmask_b32 v1, v14, v13 :: v_dual_cndmask_b32 v36, v5, v6
	v_dual_cndmask_b32 v35, v13, v14 :: v_dual_cndmask_b32 v2, v6, v5
	;; [unrolled: 1-line block ×3, first 2 shown]
	v_dual_mov_b32 v6, v15 :: v_dual_mov_b32 v13, v16
	v_dual_mov_b32 v14, v17 :: v_dual_mov_b32 v19, v18
	;; [unrolled: 1-line block ×4, first 2 shown]
	v_mov_b32_e32 v29, v34
	s_mov_b32 s2, exec_lo
	v_cmpx_lt_f32_e32 v27, v28
	s_cbranch_execz .LBB108_59
; %bb.58:
	v_dual_mov_b32 v24, v28 :: v_dual_mov_b32 v37, v27
	v_dual_mov_b32 v6, v11 :: v_dual_mov_b32 v13, v16
	;; [unrolled: 1-line block ×3, first 2 shown]
	v_swap_b32 v11, v12
	v_swap_b32 v3, v4
	v_dual_mov_b32 v28, v27 :: v_dual_mov_b32 v21, v8
	v_dual_mov_b32 v6, v15 :: v_dual_mov_b32 v23, v10
	v_dual_mov_b32 v14, v17 :: v_dual_mov_b32 v27, v24
	v_dual_mov_b32 v20, v7 :: v_dual_mov_b32 v25, v32
	v_dual_mov_b32 v22, v9 :: v_dual_mov_b32 v29, v34
	v_mov_b32_e32 v24, v31
	v_mov_b32_e32 v26, v33
.LBB108_59:
	s_or_b32 exec_lo, exec_lo, s2
	s_clause 0x1
	s_load_b32 s8, s[0:1], 0x28
	s_load_b128 s[4:7], s[0:1], 0x10
	s_waitcnt lgkmcnt(0)
	s_cmp_lt_i32 s8, 1
	s_cbranch_scc1 .LBB108_65
; %bb.60:
	v_cmp_lt_f32_e32 vcc_lo, v28, v30
	v_mov_b32_e32 v9, 0
	s_mov_b32 s9, 0x76543210
	s_mov_b32 s10, s8
	v_mov_b32_e32 v8, 0
	v_dual_cndmask_b32 v10, v35, v12 :: v_dual_cndmask_b32 v17, v37, v30
	v_cndmask_b32_e32 v7, v36, v4, vcc_lo
	v_cndmask_b32_e32 v15, v4, v36, vcc_lo
	v_cndmask_b32_e32 v4, v30, v28, vcc_lo
	v_cndmask_b32_e32 v28, v12, v35, vcc_lo
	v_cmp_lt_f32_e64 s2, v27, v17
	s_delay_alu instid0(VALU_DEP_1)
	v_cndmask_b32_e64 v12, v15, v3, s2
	v_cndmask_b32_e64 v15, v3, v15, s2
	v_mov_b32_e32 v3, 0
	v_cndmask_b32_e64 v16, v17, v27, s2
	v_cndmask_b32_e64 v17, v27, v17, s2
	;; [unrolled: 1-line block ×4, first 2 shown]
	v_mov_b32_e32 v27, v0
.LBB108_61:                             ; =>This Inner Loop Header: Depth=1
	v_cmp_eq_u32_e32 vcc_lo, 1, v9
	v_cmp_eq_u32_e64 s2, 2, v9
	v_cmp_gt_u32_e64 s3, 8, v9
	v_dual_cndmask_b32 v28, v17, v16 :: v_dual_cndmask_b32 v31, v11, v18
	v_cndmask_b32_e32 v30, v15, v12, vcc_lo
	v_cmp_eq_u32_e32 vcc_lo, 3, v9
	s_delay_alu instid0(VALU_DEP_3) | instskip(NEXT) | instid1(VALU_DEP_4)
	v_cndmask_b32_e64 v28, v28, v4, s2
	v_cndmask_b32_e64 v31, v31, v10, s2
	s_delay_alu instid0(VALU_DEP_4) | instskip(SKIP_1) | instid1(VALU_DEP_4)
	v_cndmask_b32_e64 v30, v30, v7, s2
	v_cmp_eq_u32_e64 s2, 4, v9
	v_cndmask_b32_e32 v28, v28, v5, vcc_lo
	s_delay_alu instid0(VALU_DEP_3) | instskip(SKIP_1) | instid1(VALU_DEP_3)
	v_dual_cndmask_b32 v31, v31, v1 :: v_dual_cndmask_b32 v30, v30, v2
	v_cmp_eq_u32_e32 vcc_lo, 5, v9
	v_cndmask_b32_e64 v28, v28, v24, s2
	s_delay_alu instid0(VALU_DEP_3) | instskip(NEXT) | instid1(VALU_DEP_4)
	v_cndmask_b32_e64 v31, v31, v6, s2
	v_cndmask_b32_e64 v30, v30, v20, s2
	v_cmp_eq_u32_e64 s2, 6, v9
	s_delay_alu instid0(VALU_DEP_4) | instskip(NEXT) | instid1(VALU_DEP_4)
	v_cndmask_b32_e32 v28, v28, v25, vcc_lo
	v_cndmask_b32_e32 v31, v31, v13, vcc_lo
	s_delay_alu instid0(VALU_DEP_4) | instskip(SKIP_1) | instid1(VALU_DEP_4)
	v_cndmask_b32_e32 v30, v30, v21, vcc_lo
	v_cmp_eq_u32_e32 vcc_lo, 7, v9
	v_cndmask_b32_e64 v28, v28, v26, s2
	s_delay_alu instid0(VALU_DEP_3) | instskip(NEXT) | instid1(VALU_DEP_2)
	v_cndmask_b32_e64 v30, v30, v22, s2
	v_cndmask_b32_e32 v28, v28, v29, vcc_lo
	s_delay_alu instid0(VALU_DEP_2) | instskip(NEXT) | instid1(VALU_DEP_2)
	v_cndmask_b32_e32 v30, v30, v23, vcc_lo
	v_cndmask_b32_e64 v28, 0xff800000, v28, s3
	;;#ASMSTART
	v_max_f32 v32, v28, v28 quad_perm:[1,0,3,2] row_mask:0xf bank_mask:0xf bound_ctrl:1
	;;#ASMEND
	;;#ASMSTART
	v_max_f32 v33, v32, v32 quad_perm:[2,3,0,1] row_mask:0xf bank_mask:0xf bound_ctrl:1
	;;#ASMEND
	;;#ASMSTART
	v_max_f32 v32, v33, v33 row_half_mirror row_mask:0xf bank_mask:0xf bound_ctrl:1
	;;#ASMEND
	;;#ASMSTART
	v_max_f32 v33, v32, v32 row_mirror row_mask:0xf bank_mask:0xf bound_ctrl:1
	;;#ASMEND
	v_permlanex16_b32 v32, v33, s9, 0xfedcba98 op_sel:[1,1]
	s_delay_alu instid0(VALU_DEP_1) | instskip(SKIP_1) | instid1(VALU_DEP_2)
	v_dual_max_f32 v33, v33, v33 :: v_dual_max_f32 v32, v32, v32
	v_cndmask_b32_e64 v31, v31, v14, s2
	v_max_f32_e32 v32, v33, v32
	s_delay_alu instid0(VALU_DEP_1) | instskip(SKIP_1) | instid1(VALU_DEP_2)
	v_cmp_eq_f32_e64 s2, v28, v32
	v_cndmask_b32_e64 v28, 0, v30, s3
	s_ctz_i32_b32 s11, s2
	s_cmp_lg_u32 s2, 0
	s_cselect_b32 s2, s11, 0
	s_add_i32 s10, s10, -1
	v_readlane_b32 s11, v28, s2
	v_cndmask_b32_e32 v28, v31, v19, vcc_lo
	s_delay_alu instid0(VALU_DEP_2)
	v_cmp_eq_u32_e32 vcc_lo, s11, v30
	s_and_b32 s2, s11, 31
	s_and_b32 vcc_lo, s3, vcc_lo
	s_cmp_eq_u32 s10, 0
	v_cndmask_b32_e32 v28, 0, v28, vcc_lo
	v_add_co_ci_u32_e32 v9, vcc_lo, 0, v9, vcc_lo
	s_delay_alu instid0(VALU_DEP_2) | instskip(SKIP_2) | instid1(VALU_DEP_2)
	v_readlane_b32 s3, v28, s2
	v_cmp_eq_u32_e64 s2, 0, v27
	v_add_nc_u32_e32 v27, -1, v27
	v_cndmask_b32_e64 v8, v8, s3, s2
	v_cndmask_b32_e64 v3, v3, s11, s2
	s_cbranch_scc0 .LBB108_61
; %bb.62:
	s_mov_b32 s2, exec_lo
	v_cmpx_gt_i32_e64 s8, v0
	s_cbranch_execz .LBB108_64
.LBB108_63:
	s_clause 0x1
	s_load_b64 s[2:3], s[0:1], 0x20
	s_load_b32 s8, s[0:1], 0x30
	s_ashr_i32 s0, s15, 31
	s_waitcnt lgkmcnt(0)
	s_mul_i32 s1, s15, s3
	s_mul_hi_u32 s3, s15, s2
	s_mul_i32 s0, s0, s2
	s_add_i32 s1, s3, s1
	v_mul_f32_e32 v0, s8, v8
	s_add_i32 s1, s1, s0
	s_mul_i32 s0, s15, s2
	s_delay_alu instid0(SALU_CYCLE_1) | instskip(NEXT) | instid1(SALU_CYCLE_1)
	s_lshl_b64 s[0:1], s[0:1], 2
	s_add_u32 s2, s4, s0
	s_addc_u32 s3, s5, s1
	s_add_u32 s0, s6, s0
	s_addc_u32 s1, s7, s1
	s_clause 0x1
	global_store_b32 v103, v0, s[2:3]
	global_store_b32 v103, v3, s[0:1]
.LBB108_64:
	s_nop 0
	s_sendmsg sendmsg(MSG_DEALLOC_VGPRS)
	s_endpgm
.LBB108_65:
	v_dual_mov_b32 v3, 0 :: v_dual_mov_b32 v8, 0
	s_mov_b32 s2, exec_lo
	v_cmpx_gt_i32_e64 s8, v0
	s_cbranch_execnz .LBB108_63
	s_branch .LBB108_64
	.section	.rodata,"a",@progbits
	.p2align	6, 0x0
	.amdhsa_kernel _ZN5aiter24topk_softplus_kernel_optI6__halffLi256ELb0ELi1EEEvPKT_PKT0_PfPimiif
		.amdhsa_group_segment_fixed_size 0
		.amdhsa_private_segment_fixed_size 0
		.amdhsa_kernarg_size 52
		.amdhsa_user_sgpr_count 15
		.amdhsa_user_sgpr_dispatch_ptr 0
		.amdhsa_user_sgpr_queue_ptr 0
		.amdhsa_user_sgpr_kernarg_segment_ptr 1
		.amdhsa_user_sgpr_dispatch_id 0
		.amdhsa_user_sgpr_private_segment_size 0
		.amdhsa_wavefront_size32 1
		.amdhsa_uses_dynamic_stack 0
		.amdhsa_enable_private_segment 0
		.amdhsa_system_sgpr_workgroup_id_x 1
		.amdhsa_system_sgpr_workgroup_id_y 0
		.amdhsa_system_sgpr_workgroup_id_z 0
		.amdhsa_system_sgpr_workgroup_info 0
		.amdhsa_system_vgpr_workitem_id 0
		.amdhsa_next_free_vgpr 104
		.amdhsa_next_free_sgpr 16
		.amdhsa_reserve_vcc 1
		.amdhsa_float_round_mode_32 0
		.amdhsa_float_round_mode_16_64 0
		.amdhsa_float_denorm_mode_32 3
		.amdhsa_float_denorm_mode_16_64 3
		.amdhsa_dx10_clamp 1
		.amdhsa_ieee_mode 1
		.amdhsa_fp16_overflow 0
		.amdhsa_workgroup_processor_mode 1
		.amdhsa_memory_ordered 1
		.amdhsa_forward_progress 0
		.amdhsa_shared_vgpr_count 0
		.amdhsa_exception_fp_ieee_invalid_op 0
		.amdhsa_exception_fp_denorm_src 0
		.amdhsa_exception_fp_ieee_div_zero 0
		.amdhsa_exception_fp_ieee_overflow 0
		.amdhsa_exception_fp_ieee_underflow 0
		.amdhsa_exception_fp_ieee_inexact 0
		.amdhsa_exception_int_div_zero 0
	.end_amdhsa_kernel
	.section	.text._ZN5aiter24topk_softplus_kernel_optI6__halffLi256ELb0ELi1EEEvPKT_PKT0_PfPimiif,"axG",@progbits,_ZN5aiter24topk_softplus_kernel_optI6__halffLi256ELb0ELi1EEEvPKT_PKT0_PfPimiif,comdat
.Lfunc_end108:
	.size	_ZN5aiter24topk_softplus_kernel_optI6__halffLi256ELb0ELi1EEEvPKT_PKT0_PfPimiif, .Lfunc_end108-_ZN5aiter24topk_softplus_kernel_optI6__halffLi256ELb0ELi1EEEvPKT_PKT0_PfPimiif
                                        ; -- End function
	.section	.AMDGPU.csdata,"",@progbits
; Kernel info:
; codeLenInByte = 6808
; NumSgprs: 18
; NumVgprs: 104
; ScratchSize: 0
; MemoryBound: 0
; FloatMode: 240
; IeeeMode: 1
; LDSByteSize: 0 bytes/workgroup (compile time only)
; SGPRBlocks: 2
; VGPRBlocks: 12
; NumSGPRsForWavesPerEU: 18
; NumVGPRsForWavesPerEU: 104
; Occupancy: 12
; WaveLimiterHint : 0
; COMPUTE_PGM_RSRC2:SCRATCH_EN: 0
; COMPUTE_PGM_RSRC2:USER_SGPR: 15
; COMPUTE_PGM_RSRC2:TRAP_HANDLER: 0
; COMPUTE_PGM_RSRC2:TGID_X_EN: 1
; COMPUTE_PGM_RSRC2:TGID_Y_EN: 0
; COMPUTE_PGM_RSRC2:TGID_Z_EN: 0
; COMPUTE_PGM_RSRC2:TIDIG_COMP_CNT: 0
	.section	.text._ZN5aiter24topk_softplus_kernel_optI6__halffLi384ELb1ELi1EEEvPKT_PKT0_PfPimiif,"axG",@progbits,_ZN5aiter24topk_softplus_kernel_optI6__halffLi384ELb1ELi1EEEvPKT_PKT0_PfPimiif,comdat
	.protected	_ZN5aiter24topk_softplus_kernel_optI6__halffLi384ELb1ELi1EEEvPKT_PKT0_PfPimiif ; -- Begin function _ZN5aiter24topk_softplus_kernel_optI6__halffLi384ELb1ELi1EEEvPKT_PKT0_PfPimiif
	.globl	_ZN5aiter24topk_softplus_kernel_optI6__halffLi384ELb1ELi1EEEvPKT_PKT0_PfPimiif
	.p2align	8
	.type	_ZN5aiter24topk_softplus_kernel_optI6__halffLi384ELb1ELi1EEEvPKT_PKT0_PfPimiif,@function
_ZN5aiter24topk_softplus_kernel_optI6__halffLi384ELb1ELi1EEEvPKT_PKT0_PfPimiif: ; @_ZN5aiter24topk_softplus_kernel_optI6__halffLi384ELb1ELi1EEEvPKT_PKT0_PfPimiif
; %bb.0:
	s_load_b128 s[4:7], s[0:1], 0x0
	s_mul_i32 s2, s15, 0x180
	v_lshlrev_b32_e32 v1, 1, v0
	s_ashr_i32 s3, s2, 31
	v_lshlrev_b32_e32 v183, 2, v0
	s_lshl_b64 s[2:3], s[2:3], 1
	s_waitcnt lgkmcnt(0)
	s_add_u32 s4, s4, s2
	s_addc_u32 s5, s5, s3
	s_mov_b32 s3, 0xbfb8aa3b
	global_load_u16 v2, v1, s[4:5]
	s_cmp_lg_u64 s[6:7], 0
	s_cselect_b32 s2, -1, 0
	s_waitcnt vmcnt(0)
	v_cvt_f32_f16_e32 v3, v2
	s_delay_alu instid0(VALU_DEP_1) | instskip(NEXT) | instid1(VALU_DEP_1)
	v_mul_f32_e32 v3, 0xbfb8aa3b, v3
	v_cmp_gt_f32_e32 vcc_lo, 0xc2fc0000, v3
	v_cndmask_b32_e64 v3, 0, 0x42800000, vcc_lo
	s_delay_alu instid0(VALU_DEP_1) | instskip(SKIP_2) | instid1(VALU_DEP_2)
	v_fma_mix_f32 v2, v2, s3, v3 op_sel_hi:[1,0,0]
	v_cndmask_b32_e64 v3, 1.0, 0x1f800000, vcc_lo
	s_and_b32 vcc_lo, exec_lo, s2
	v_exp_f32_e32 v2, v2
	s_waitcnt_depctr 0xfff
	v_fma_f32 v2, v2, v3, 1.0
	s_delay_alu instid0(VALU_DEP_1) | instskip(SKIP_3) | instid1(VALU_DEP_1)
	v_rcp_f32_e32 v37, v2
	s_waitcnt_depctr 0xfff
	v_mov_b32_e32 v48, v37
	v_add_co_u32 v1, s4, s4, v1
	v_add_co_ci_u32_e64 v2, null, s5, 0, s4
	s_cbranch_vccz .LBB109_2
; %bb.1:
	global_load_b32 v3, v183, s[6:7]
	s_waitcnt vmcnt(0)
	v_add_f32_e32 v48, v37, v3
.LBB109_2:
	global_load_u16 v3, v[1:2], off offset:64
	s_waitcnt vmcnt(0)
	v_cvt_f32_f16_e32 v4, v3
	s_delay_alu instid0(VALU_DEP_1) | instskip(NEXT) | instid1(VALU_DEP_1)
	v_mul_f32_e32 v4, 0xbfb8aa3b, v4
	v_cmp_gt_f32_e32 vcc_lo, 0xc2fc0000, v4
	v_cndmask_b32_e64 v5, 0, 0x42800000, vcc_lo
	v_cndmask_b32_e64 v4, 1.0, 0x1f800000, vcc_lo
	s_and_not1_b32 vcc_lo, exec_lo, s2
	s_delay_alu instid0(VALU_DEP_2) | instskip(NEXT) | instid1(VALU_DEP_1)
	v_fma_mix_f32 v3, v3, s3, v5 op_sel_hi:[1,0,0]
	v_exp_f32_e32 v3, v3
	s_waitcnt_depctr 0xfff
	v_fma_f32 v3, v3, v4, 1.0
	s_delay_alu instid0(VALU_DEP_1)
	v_rcp_f32_e32 v14, v3
	v_cndmask_b32_e64 v3, 0, 1, s2
	s_waitcnt_depctr 0xfff
	v_mov_b32_e32 v49, v14
	s_cbranch_vccnz .LBB109_4
; %bb.3:
	global_load_b32 v4, v183, s[6:7] offset:128
	s_waitcnt vmcnt(0)
	v_add_f32_e32 v49, v14, v4
.LBB109_4:
	global_load_u16 v4, v[1:2], off offset:128
	s_mov_b32 s2, 0xbfb8aa3b
	s_waitcnt vmcnt(0)
	v_cvt_f32_f16_e32 v5, v4
	s_delay_alu instid0(VALU_DEP_1) | instskip(NEXT) | instid1(VALU_DEP_1)
	v_mul_f32_e32 v5, 0xbfb8aa3b, v5
	v_cmp_gt_f32_e32 vcc_lo, 0xc2fc0000, v5
	v_cndmask_b32_e64 v6, 0, 0x42800000, vcc_lo
	v_cndmask_b32_e64 v5, 1.0, 0x1f800000, vcc_lo
	v_cmp_ne_u32_e32 vcc_lo, 1, v3
	s_delay_alu instid0(VALU_DEP_3) | instskip(SKIP_1) | instid1(VALU_DEP_1)
	v_fma_mix_f32 v4, v4, s2, v6 op_sel_hi:[1,0,0]
	s_and_b32 vcc_lo, exec_lo, vcc_lo
	v_exp_f32_e32 v4, v4
	s_waitcnt_depctr 0xfff
	v_fma_f32 v4, v4, v5, 1.0
	s_delay_alu instid0(VALU_DEP_1)
	v_rcp_f32_e32 v15, v4
	s_waitcnt_depctr 0xfff
	v_mov_b32_e32 v50, v15
	s_cbranch_vccnz .LBB109_6
; %bb.5:
	global_load_b32 v4, v183, s[6:7] offset:256
	s_waitcnt vmcnt(0)
	v_add_f32_e32 v50, v15, v4
.LBB109_6:
	global_load_u16 v4, v[1:2], off offset:192
	s_waitcnt vmcnt(0)
	v_cvt_f32_f16_e32 v5, v4
	s_delay_alu instid0(VALU_DEP_1) | instskip(NEXT) | instid1(VALU_DEP_1)
	v_mul_f32_e32 v5, 0xbfb8aa3b, v5
	v_cmp_gt_f32_e32 vcc_lo, 0xc2fc0000, v5
	v_cndmask_b32_e64 v6, 0, 0x42800000, vcc_lo
	v_cndmask_b32_e64 v5, 1.0, 0x1f800000, vcc_lo
	v_cmp_ne_u32_e32 vcc_lo, 1, v3
	s_delay_alu instid0(VALU_DEP_3) | instskip(SKIP_1) | instid1(VALU_DEP_1)
	v_fma_mix_f32 v4, v4, s2, v6 op_sel_hi:[1,0,0]
	s_and_b32 vcc_lo, exec_lo, vcc_lo
	v_exp_f32_e32 v4, v4
	s_waitcnt_depctr 0xfff
	v_fma_f32 v4, v4, v5, 1.0
	s_delay_alu instid0(VALU_DEP_1)
	v_rcp_f32_e32 v16, v4
	s_waitcnt_depctr 0xfff
	v_mov_b32_e32 v51, v16
	s_cbranch_vccnz .LBB109_8
; %bb.7:
	global_load_b32 v4, v183, s[6:7] offset:384
	s_waitcnt vmcnt(0)
	v_add_f32_e32 v51, v16, v4
.LBB109_8:
	global_load_u16 v4, v[1:2], off offset:256
	;; [unrolled: 25-line block ×9, first 2 shown]
	s_waitcnt vmcnt(0)
	v_cvt_f32_f16_e32 v2, v1
	s_delay_alu instid0(VALU_DEP_1) | instskip(NEXT) | instid1(VALU_DEP_1)
	v_mul_f32_e32 v2, 0xbfb8aa3b, v2
	v_cmp_gt_f32_e32 vcc_lo, 0xc2fc0000, v2
	v_cndmask_b32_e64 v4, 0, 0x42800000, vcc_lo
	v_cndmask_b32_e64 v2, 1.0, 0x1f800000, vcc_lo
	v_cmp_ne_u32_e32 vcc_lo, 1, v3
	s_delay_alu instid0(VALU_DEP_3) | instskip(NEXT) | instid1(VALU_DEP_1)
	v_fma_mix_f32 v1, v1, s2, v4 op_sel_hi:[1,0,0]
	v_exp_f32_e32 v1, v1
	s_waitcnt_depctr 0xfff
	v_fma_f32 v1, v1, v2, 1.0
	s_delay_alu instid0(VALU_DEP_1)
	v_rcp_f32_e32 v24, v1
	s_cbranch_vccnz .LBB109_24
; %bb.23:
	global_load_b32 v1, v183, s[6:7] offset:1408
	s_waitcnt vmcnt(0)
	v_add_f32_e32 v59, v24, v1
	s_branch .LBB109_25
.LBB109_24:
	s_waitcnt_depctr 0xfff
	v_mov_b32_e32 v59, v24
.LBB109_25:
	v_dual_mov_b32 v1, v48 :: v_dual_add_nc_u32 v26, 32, v0
	v_dual_mov_b32 v2, v49 :: v_dual_add_nc_u32 v27, 64, v0
	;; [unrolled: 1-line block ×11, first 2 shown]
	v_dual_mov_b32 v12, v59 :: v_dual_mov_b32 v13, v37
	v_mov_b32_e32 v25, v0
	s_mov_b32 s2, exec_lo
	v_cmpx_lt_f32_e32 v48, v49
	s_xor_b32 s2, exec_lo, s2
; %bb.26:
	v_dual_mov_b32 v1, v49 :: v_dual_mov_b32 v2, v48
	v_dual_mov_b32 v3, v50 :: v_dual_mov_b32 v4, v51
	;; [unrolled: 1-line block ×6, first 2 shown]
	v_mov_b32_e32 v49, v48
	v_dual_mov_b32 v13, v14 :: v_dual_mov_b32 v14, v37
	v_dual_mov_b32 v25, v26 :: v_dual_mov_b32 v26, v0
; %bb.27:
	s_or_b32 exec_lo, exec_lo, s2
	v_dual_mov_b32 v122, v24 :: v_dual_mov_b32 v119, v21
	v_dual_mov_b32 v86, v24 :: v_dual_mov_b32 v85, v23
	v_dual_mov_b32 v146, v24 :: v_dual_mov_b32 v143, v21
	v_dual_mov_b32 v112, v14 :: v_dual_mov_b32 v61, v24
	v_dual_mov_b32 v134, v24 :: v_dual_mov_b32 v131, v21
	v_dual_mov_b32 v74, v36 :: v_dual_mov_b32 v71, v33
	v_dual_mov_b32 v98, v36 :: v_dual_mov_b32 v95, v33
	v_dual_mov_b32 v48, v36 :: v_dual_mov_b32 v45, v33
	v_dual_mov_b32 v110, v36 :: v_dual_mov_b32 v107, v33
	v_dual_mov_b32 v158, v36 :: v_dual_mov_b32 v155, v33
	v_dual_mov_b32 v170, v36 :: v_dual_mov_b32 v167, v33
	v_dual_mov_b32 v62, v3 :: v_dual_mov_b32 v83, v21
	v_dual_mov_b32 v84, v22 :: v_dual_mov_b32 v81, v19
	v_dual_mov_b32 v82, v20 :: v_dual_mov_b32 v79, v17
	v_dual_mov_b32 v80, v18 :: v_dual_mov_b32 v77, v15
	v_dual_mov_b32 v78, v16 :: v_dual_mov_b32 v75, v13
	v_dual_mov_b32 v76, v14 :: v_dual_mov_b32 v145, v23
	v_dual_mov_b32 v144, v22 :: v_dual_mov_b32 v141, v19
	v_dual_mov_b32 v142, v20 :: v_dual_mov_b32 v139, v17
	v_dual_mov_b32 v140, v18 :: v_dual_mov_b32 v137, v15
	v_dual_mov_b32 v138, v16 :: v_dual_mov_b32 v135, v13
	v_dual_mov_b32 v136, v14 :: v_dual_mov_b32 v121, v23
	v_dual_mov_b32 v120, v22 :: v_dual_mov_b32 v117, v19
	v_dual_mov_b32 v118, v20 :: v_dual_mov_b32 v115, v17
	v_dual_mov_b32 v116, v18 :: v_dual_mov_b32 v113, v15
	v_dual_mov_b32 v114, v16 :: v_dual_mov_b32 v111, v13
	v_dual_mov_b32 v60, v23 :: v_dual_mov_b32 v59, v22
	v_dual_mov_b32 v58, v21 :: v_dual_mov_b32 v57, v20
	v_dual_mov_b32 v56, v19 :: v_dual_mov_b32 v55, v18
	v_dual_mov_b32 v54, v17 :: v_dual_mov_b32 v53, v16
	v_dual_mov_b32 v52, v15 :: v_dual_mov_b32 v51, v14
	v_dual_mov_b32 v50, v13 :: v_dual_mov_b32 v133, v23
	v_dual_mov_b32 v132, v22 :: v_dual_mov_b32 v129, v19
	v_dual_mov_b32 v130, v20 :: v_dual_mov_b32 v127, v17
	v_dual_mov_b32 v128, v18 :: v_dual_mov_b32 v125, v15
	v_dual_mov_b32 v126, v16 :: v_dual_mov_b32 v123, v13
	v_dual_mov_b32 v124, v14 :: v_dual_mov_b32 v73, v35
	s_clause 0x8
	scratch_store_b128 off, v[13:16], off
	scratch_store_b128 off, v[17:20], off offset:16
	scratch_store_b128 off, v[21:24], off offset:32
	;; [unrolled: 1-line block ×8, first 2 shown]
	v_dual_mov_b32 v72, v34 :: v_dual_mov_b32 v69, v31
	v_dual_mov_b32 v70, v32 :: v_dual_mov_b32 v67, v29
	;; [unrolled: 1-line block ×29, first 2 shown]
	v_mov_b32_e32 v160, v26
	s_clause 0x2
	scratch_store_b128 off, v[25:28], off offset:144
	scratch_store_b128 off, v[29:32], off offset:160
	;; [unrolled: 1-line block ×3, first 2 shown]
	s_mov_b32 s2, exec_lo
	v_dual_mov_b32 v182, v36 :: v_dual_mov_b32 v179, v33
	v_dual_mov_b32 v181, v35 :: v_dual_mov_b32 v180, v34
	;; [unrolled: 1-line block ×6, first 2 shown]
	v_cmpx_lt_f32_e32 v49, v3
	s_cbranch_execz .LBB109_29
; %bb.28:
	v_dual_mov_b32 v182, v36 :: v_dual_mov_b32 v179, v33
	v_dual_mov_b32 v174, v28 :: v_dual_mov_b32 v171, v25
	;; [unrolled: 1-line block ×3, first 2 shown]
	v_mov_b32_e32 v172, v26
	v_dual_mov_b32 v62, v49 :: v_dual_mov_b32 v181, v35
	v_dual_mov_b32 v180, v34 :: v_dual_mov_b32 v177, v31
	;; [unrolled: 1-line block ×11, first 2 shown]
	v_mov_b32_e32 v125, v14
	v_dual_mov_b32 v162, v174 :: v_dual_mov_b32 v163, v175
	v_dual_mov_b32 v164, v176 :: v_dual_mov_b32 v165, v177
	;; [unrolled: 1-line block ×5, first 2 shown]
	v_mov_b32_e32 v162, v28
	v_dual_mov_b32 v170, v182 :: v_dual_mov_b32 v37, v159
	s_clause 0x2
	scratch_store_b128 off, v[123:126], off offset:96
	scratch_store_b128 off, v[127:130], off offset:112
	;; [unrolled: 1-line block ×3, first 2 shown]
	v_dual_mov_b32 v42, v164 :: v_dual_mov_b32 v47, v169
	v_dual_mov_b32 v126, v16 :: v_dual_mov_b32 v45, v167
	;; [unrolled: 1-line block ×5, first 2 shown]
	v_mov_b32_e32 v38, v160
	v_mov_b32_e32 v40, v162
	s_clause 0x2
	scratch_store_b128 off, v[37:40], off offset:144
	scratch_store_b128 off, v[41:44], off offset:160
	;; [unrolled: 1-line block ×3, first 2 shown]
	v_dual_mov_b32 v2, v3 :: v_dual_mov_b32 v3, v49
	v_mov_b32_e32 v147, v159
	v_mov_b32_e32 v127, v17
	;; [unrolled: 1-line block ×3, first 2 shown]
	v_dual_mov_b32 v151, v163 :: v_dual_mov_b32 v148, v160
	v_dual_mov_b32 v153, v165 :: v_dual_mov_b32 v152, v164
	;; [unrolled: 1-line block ×3, first 2 shown]
	v_mov_b32_e32 v158, v170
	v_dual_mov_b32 v150, v162 :: v_dual_mov_b32 v155, v167
	v_mov_b32_e32 v156, v168
	v_mov_b32_e32 v152, v30
	;; [unrolled: 1-line block ×3, first 2 shown]
	v_dual_mov_b32 v27, v26 :: v_dual_mov_b32 v42, v128
	v_mov_b32_e32 v37, v123
	v_dual_mov_b32 v43, v129 :: v_dual_mov_b32 v44, v130
	v_mov_b32_e32 v39, v125
	v_dual_mov_b32 v45, v131 :: v_dual_mov_b32 v46, v132
	v_dual_mov_b32 v47, v133 :: v_dual_mov_b32 v48, v134
	v_mov_b32_e32 v38, v124
	v_mov_b32_e32 v40, v126
	s_clause 0x2
	scratch_store_b128 off, v[37:40], off offset:48
	scratch_store_b128 off, v[41:44], off offset:64
	;; [unrolled: 1-line block ×3, first 2 shown]
	v_mov_b32_e32 v37, v123
	v_mov_b32_e32 v39, v125
	v_dual_mov_b32 v41, v127 :: v_dual_mov_b32 v38, v124
	v_mov_b32_e32 v99, v147
	v_mov_b32_e32 v105, v153
	v_dual_mov_b32 v105, v31 :: v_dual_mov_b32 v106, v154
	v_dual_mov_b32 v40, v126 :: v_dual_mov_b32 v101, v149
	v_dual_mov_b32 v128, v18 :: v_dual_mov_b32 v103, v151
	v_mov_b32_e32 v110, v158
	v_mov_b32_e32 v50, v123
	v_dual_mov_b32 v100, v148 :: v_dual_mov_b32 v107, v155
	v_dual_mov_b32 v102, v150 :: v_dual_mov_b32 v109, v157
	;; [unrolled: 1-line block ×7, first 2 shown]
	v_mov_b32_e32 v58, v131
	v_mov_b32_e32 v56, v19
	s_clause 0x2
	scratch_store_b128 off, v[37:40], off
	scratch_store_b128 off, v[41:44], off offset:16
	scratch_store_b128 off, v[45:48], off offset:32
	v_dual_mov_b32 v60, v133 :: v_dual_mov_b32 v55, v128
	v_mov_b32_e32 v37, v99
	v_mov_b32_e32 v41, v103
	;; [unrolled: 1-line block ×3, first 2 shown]
	v_dual_mov_b32 v43, v105 :: v_dual_mov_b32 v48, v110
	v_dual_mov_b32 v38, v100 :: v_dual_mov_b32 v45, v107
	v_mov_b32_e32 v44, v106
	v_dual_mov_b32 v122, v61 :: v_dual_mov_b32 v113, v52
	v_dual_mov_b32 v40, v102 :: v_dual_mov_b32 v47, v109
	;; [unrolled: 1-line block ×7, first 2 shown]
	v_mov_b32_e32 v114, v53
	v_mov_b32_e32 v116, v55
	;; [unrolled: 1-line block ×4, first 2 shown]
	v_dual_mov_b32 v98, v48 :: v_dual_mov_b32 v95, v45
	v_mov_b32_e32 v95, v33
	v_mov_b32_e32 v93, v43
	;; [unrolled: 1-line block ×4, first 2 shown]
	v_dual_mov_b32 v87, v37 :: v_dual_mov_b32 v146, v122
	v_dual_mov_b32 v137, v113 :: v_dual_mov_b32 v96, v46
	;; [unrolled: 1-line block ×3, first 2 shown]
	v_mov_b32_e32 v135, v111
	v_dual_mov_b32 v97, v47 :: v_dual_mov_b32 v94, v44
	v_dual_mov_b32 v92, v42 :: v_dual_mov_b32 v143, v119
	;; [unrolled: 1-line block ×4, first 2 shown]
	v_mov_b32_e32 v138, v114
	v_dual_mov_b32 v142, v118 :: v_dual_mov_b32 v143, v21
	v_dual_mov_b32 v140, v116 :: v_dual_mov_b32 v63, v87
	;; [unrolled: 1-line block ×8, first 2 shown]
	v_mov_b32_e32 v86, v146
	v_dual_mov_b32 v64, v88 :: v_dual_mov_b32 v69, v93
	v_dual_mov_b32 v66, v90 :: v_dual_mov_b32 v71, v95
	v_dual_mov_b32 v70, v94 :: v_dual_mov_b32 v73, v35
	v_dual_mov_b32 v72, v34 :: v_dual_mov_b32 v79, v139
	v_dual_mov_b32 v74, v36 :: v_dual_mov_b32 v81, v141
	v_dual_mov_b32 v76, v136 :: v_dual_mov_b32 v83, v143
	v_dual_mov_b32 v80, v140 :: v_dual_mov_b32 v85, v23
	v_mov_b32_e32 v82, v142
	v_mov_b32_e32 v84, v22
	;; [unrolled: 1-line block ×3, first 2 shown]
.LBB109_29:
	s_or_b32 exec_lo, exec_lo, s2
	v_mov_b32_e32 v13, v4
	s_mov_b32 s2, exec_lo
	v_cmpx_lt_f32_e32 v62, v4
	s_cbranch_execz .LBB109_31
; %bb.30:
	s_clause 0x2
	scratch_load_b128 v[37:40], off, off offset:96
	scratch_load_b128 v[41:44], off, off offset:112
	;; [unrolled: 1-line block ×3, first 2 shown]
	v_dual_mov_b32 v173, v28 :: v_dual_mov_b32 v28, v27
	v_mov_b32_e32 v3, v4
	s_waitcnt vmcnt(0)
	v_dual_mov_b32 v13, v62 :: v_dual_mov_b32 v134, v48
	v_dual_mov_b32 v133, v47 :: v_dual_mov_b32 v124, v38
	;; [unrolled: 1-line block ×3, first 2 shown]
	v_mov_b32_e32 v125, v16
	v_dual_mov_b32 v159, v171 :: v_dual_mov_b32 v160, v172
	s_delay_alu instid0(VALU_DEP_3) | instskip(NEXT) | instid1(VALU_DEP_3)
	v_dual_mov_b32 v162, v174 :: v_dual_mov_b32 v37, v123
	v_dual_mov_b32 v38, v124 :: v_dual_mov_b32 v39, v125
	v_dual_mov_b32 v127, v41 :: v_dual_mov_b32 v126, v40
	v_dual_mov_b32 v131, v45 :: v_dual_mov_b32 v130, v44
	v_dual_mov_b32 v129, v43 :: v_dual_mov_b32 v128, v42
	v_mov_b32_e32 v126, v15
	s_clause 0x2
	scratch_store_b128 off, v[37:40], off offset:96
	scratch_store_b128 off, v[41:44], off offset:112
	;; [unrolled: 1-line block ×3, first 2 shown]
	v_dual_mov_b32 v161, v173 :: v_dual_mov_b32 v164, v176
	v_dual_mov_b32 v167, v179 :: v_dual_mov_b32 v170, v182
	;; [unrolled: 1-line block ×5, first 2 shown]
	s_delay_alu instid0(VALU_DEP_2) | instskip(SKIP_2) | instid1(VALU_DEP_4)
	v_dual_mov_b32 v42, v164 :: v_dual_mov_b32 v43, v165
	v_dual_mov_b32 v48, v170 :: v_dual_mov_b32 v37, v159
	;; [unrolled: 1-line block ×6, first 2 shown]
	s_clause 0x2
	scratch_store_b128 off, v[37:40], off offset:144
	scratch_store_b128 off, v[41:44], off offset:160
	;; [unrolled: 1-line block ×3, first 2 shown]
	v_dual_mov_b32 v42, v128 :: v_dual_mov_b32 v43, v129
	v_dual_mov_b32 v48, v134 :: v_dual_mov_b32 v37, v123
	;; [unrolled: 1-line block ×6, first 2 shown]
	s_clause 0x2
	scratch_store_b128 off, v[37:40], off offset:48
	scratch_store_b128 off, v[41:44], off offset:64
	;; [unrolled: 1-line block ×3, first 2 shown]
	v_dual_mov_b32 v147, v159 :: v_dual_mov_b32 v148, v160
	v_dual_mov_b32 v151, v163 :: v_dual_mov_b32 v152, v164
	;; [unrolled: 1-line block ×10, first 2 shown]
	s_delay_alu instid0(VALU_DEP_4)
	v_dual_mov_b32 v106, v154 :: v_dual_mov_b32 v107, v155
	v_mov_b32_e32 v110, v158
	v_dual_mov_b32 v100, v148 :: v_dual_mov_b32 v101, v149
	v_dual_mov_b32 v104, v152 :: v_dual_mov_b32 v105, v153
	;; [unrolled: 1-line block ×5, first 2 shown]
	v_mov_b32_e32 v61, v134
	s_clause 0x2
	scratch_store_b128 off, v[37:40], off
	scratch_store_b128 off, v[41:44], off offset:16
	scratch_store_b128 off, v[45:48], off offset:32
	v_dual_mov_b32 v54, v127 :: v_dual_mov_b32 v55, v128
	v_dual_mov_b32 v56, v129 :: v_dual_mov_b32 v57, v130
	;; [unrolled: 1-line block ×8, first 2 shown]
	v_mov_b32_e32 v48, v110
	v_mov_b32_e32 v44, v32
	v_dual_mov_b32 v42, v104 :: v_dual_mov_b32 v43, v105
	v_dual_mov_b32 v46, v108 :: v_dual_mov_b32 v47, v109
	;; [unrolled: 1-line block ×9, first 2 shown]
	v_mov_b32_e32 v114, v53
	v_mov_b32_e32 v112, v51
	v_dual_mov_b32 v98, v48 :: v_dual_mov_b32 v91, v41
	v_dual_mov_b32 v94, v44 :: v_dual_mov_b32 v87, v37
	;; [unrolled: 1-line block ×3, first 2 shown]
	v_mov_b32_e32 v89, v39
	v_mov_b32_e32 v95, v45
	v_dual_mov_b32 v93, v43 :: v_dual_mov_b32 v146, v122
	v_dual_mov_b32 v143, v119 :: v_dual_mov_b32 v140, v116
	;; [unrolled: 1-line block ×15, first 2 shown]
	v_mov_b32_e32 v86, v146
	v_dual_mov_b32 v64, v88 :: v_dual_mov_b32 v65, v89
	v_dual_mov_b32 v66, v90 :: v_dual_mov_b32 v67, v91
	;; [unrolled: 1-line block ×8, first 2 shown]
	v_mov_b32_e32 v84, v22
	v_mov_b32_e32 v86, v24
.LBB109_31:
	s_or_b32 exec_lo, exec_lo, s2
	v_mov_b32_e32 v14, v5
	s_mov_b32 s2, exec_lo
	v_cmpx_lt_f32_e32 v13, v5
	s_cbranch_execz .LBB109_33
; %bb.32:
	s_clause 0x2
	scratch_load_b128 v[37:40], off, off offset:96
	scratch_load_b128 v[41:44], off, off offset:112
	;; [unrolled: 1-line block ×3, first 2 shown]
	v_mov_b32_e32 v174, v29
	v_mov_b32_e32 v14, v13
	;; [unrolled: 1-line block ×3, first 2 shown]
	v_dual_mov_b32 v17, v16 :: v_dual_mov_b32 v4, v5
	v_mov_b32_e32 v29, v28
	s_waitcnt vmcnt(0)
	v_dual_mov_b32 v73, v48 :: v_dual_mov_b32 v64, v39
	v_dual_mov_b32 v70, v45 :: v_dual_mov_b32 v69, v44
	;; [unrolled: 1-line block ×18, first 2 shown]
	v_mov_b32_e32 v127, v16
	v_dual_mov_b32 v147, v159 :: v_dual_mov_b32 v148, v160
	v_dual_mov_b32 v149, v161 :: v_dual_mov_b32 v152, v164
	;; [unrolled: 1-line block ×19, first 2 shown]
	v_mov_b32_e32 v61, v134
	s_clause 0x2
	scratch_store_b128 off, v[37:40], off
	scratch_store_b128 off, v[41:44], off offset:16
	scratch_store_b128 off, v[45:48], off offset:32
	v_dual_mov_b32 v53, v126 :: v_dual_mov_b32 v54, v127
	v_dual_mov_b32 v101, v149 :: v_dual_mov_b32 v102, v150
	;; [unrolled: 1-line block ×10, first 2 shown]
	v_mov_b32_e32 v46, v108
	v_dual_mov_b32 v122, v61 :: v_dual_mov_b32 v121, v60
	v_dual_mov_b32 v43, v105 :: v_dual_mov_b32 v44, v106
	;; [unrolled: 1-line block ×8, first 2 shown]
	v_mov_b32_e32 v112, v51
	v_mov_b32_e32 v118, v20
	v_dual_mov_b32 v98, v48 :: v_dual_mov_b32 v93, v43
	v_dual_mov_b32 v92, v42 :: v_dual_mov_b32 v87, v37
	v_mov_b32_e32 v97, v47
	v_dual_mov_b32 v95, v45 :: v_dual_mov_b32 v146, v122
	v_dual_mov_b32 v143, v119 :: v_dual_mov_b32 v138, v114
	;; [unrolled: 1-line block ×7, first 2 shown]
	v_mov_b32_e32 v89, v39
	s_clause 0x5
	scratch_store_b128 off, v[62:65], off offset:48
	scratch_store_b128 off, v[66:69], off offset:64
	;; [unrolled: 1-line block ×6, first 2 shown]
	v_dual_mov_b32 v142, v118 :: v_dual_mov_b32 v139, v115
	v_dual_mov_b32 v140, v116 :: v_dual_mov_b32 v137, v113
	;; [unrolled: 1-line block ×17, first 2 shown]
	v_mov_b32_e32 v84, v22
	v_mov_b32_e32 v86, v24
.LBB109_33:
	s_or_b32 exec_lo, exec_lo, s2
	v_mov_b32_e32 v13, v6
	s_mov_b32 s2, exec_lo
	v_cmpx_lt_f32_e32 v14, v6
	s_cbranch_execz .LBB109_35
; %bb.34:
	s_clause 0x2
	scratch_load_b128 v[37:40], off, off offset:144
	scratch_load_b128 v[41:44], off, off offset:160
	;; [unrolled: 1-line block ×3, first 2 shown]
	v_mov_b32_e32 v5, v6
	s_waitcnt vmcnt(0)
	v_dual_mov_b32 v13, v14 :: v_dual_mov_b32 v170, v48
	v_dual_mov_b32 v169, v47 :: v_dual_mov_b32 v162, v40
	;; [unrolled: 1-line block ×6, first 2 shown]
	s_clause 0x2
	scratch_load_b128 v[37:40], off, off offset:48
	scratch_load_b128 v[41:44], off, off offset:64
	scratch_load_b128 v[45:48], off, off offset:80
	v_dual_mov_b32 v163, v30 :: v_dual_mov_b32 v30, v29
	s_waitcnt vmcnt(0)
	v_dual_mov_b32 v73, v48 :: v_dual_mov_b32 v72, v47
	v_dual_mov_b32 v65, v40 :: v_dual_mov_b32 v62, v37
	v_mov_b32_e32 v63, v38
	v_dual_mov_b32 v67, v42 :: v_dual_mov_b32 v64, v39
	v_dual_mov_b32 v71, v46 :: v_dual_mov_b32 v70, v45
	;; [unrolled: 1-line block ×4, first 2 shown]
	v_mov_b32_e32 v148, v160
	v_dual_mov_b32 v134, v73 :: v_dual_mov_b32 v133, v72
	v_dual_mov_b32 v124, v63 :: v_dual_mov_b32 v123, v62
	;; [unrolled: 1-line block ×11, first 2 shown]
	v_mov_b32_e32 v128, v17
	v_mov_b32_e32 v152, v29
	v_dual_mov_b32 v50, v123 :: v_dual_mov_b32 v51, v124
	v_mov_b32_e32 v99, v147
	s_delay_alu instid0(VALU_DEP_3)
	v_dual_mov_b32 v53, v126 :: v_dual_mov_b32 v104, v152
	v_dual_mov_b32 v105, v153 :: v_dual_mov_b32 v100, v148
	;; [unrolled: 1-line block ×7, first 2 shown]
	v_mov_b32_e32 v57, v130
	v_dual_mov_b32 v102, v150 :: v_dual_mov_b32 v103, v151
	v_dual_mov_b32 v108, v156 :: v_dual_mov_b32 v109, v157
	;; [unrolled: 1-line block ×3, first 2 shown]
	v_mov_b32_e32 v58, v131
	v_mov_b32_e32 v56, v19
	v_dual_mov_b32 v37, v99 :: v_dual_mov_b32 v38, v100
	v_mov_b32_e32 v39, v101
	v_dual_mov_b32 v43, v105 :: v_dual_mov_b32 v48, v110
	s_delay_alu instid0(VALU_DEP_4)
	v_dual_mov_b32 v122, v61 :: v_dual_mov_b32 v117, v56
	v_dual_mov_b32 v42, v104 :: v_dual_mov_b32 v45, v107
	;; [unrolled: 1-line block ×9, first 2 shown]
	v_mov_b32_e32 v118, v20
	v_mov_b32_e32 v44, v32
	;; [unrolled: 1-line block ×3, first 2 shown]
	v_dual_mov_b32 v98, v48 :: v_dual_mov_b32 v95, v45
	v_dual_mov_b32 v146, v122 :: v_dual_mov_b32 v145, v121
	s_delay_alu instid0(VALU_DEP_4)
	v_dual_mov_b32 v94, v44 :: v_dual_mov_b32 v87, v37
	v_dual_mov_b32 v97, v47 :: v_dual_mov_b32 v144, v120
	;; [unrolled: 1-line block ×5, first 2 shown]
	v_mov_b32_e32 v93, v43
	v_dual_mov_b32 v91, v41 :: v_dual_mov_b32 v90, v40
	v_dual_mov_b32 v141, v117 :: v_dual_mov_b32 v88, v38
	;; [unrolled: 1-line block ×6, first 2 shown]
	s_clause 0x2
	scratch_store_b128 off, v[62:65], off
	scratch_store_b128 off, v[66:69], off offset:16
	scratch_store_b128 off, v[70:73], off offset:32
	v_dual_mov_b32 v63, v87 :: v_dual_mov_b32 v74, v98
	v_dual_mov_b32 v75, v135 :: v_dual_mov_b32 v72, v96
	;; [unrolled: 1-line block ×14, first 2 shown]
	v_mov_b32_e32 v84, v22
	v_mov_b32_e32 v86, v24
	;; [unrolled: 1-line block ×3, first 2 shown]
.LBB109_35:
	s_or_b32 exec_lo, exec_lo, s2
	v_mov_b32_e32 v14, v7
	s_mov_b32 s2, exec_lo
	v_cmpx_lt_f32_e32 v13, v7
	s_cbranch_execz .LBB109_37
; %bb.36:
	s_clause 0x2
	scratch_load_b128 v[37:40], off, off
	scratch_load_b128 v[41:44], off, off offset:16
	scratch_load_b128 v[45:48], off, off offset:32
	v_mov_b32_e32 v164, v31
	v_dual_mov_b32 v14, v13 :: v_dual_mov_b32 v31, v30
	s_waitcnt vmcnt(0)
	v_dual_mov_b32 v134, v48 :: v_dual_mov_b32 v133, v47
	v_dual_mov_b32 v130, v44 :: v_dual_mov_b32 v127, v41
	;; [unrolled: 1-line block ×5, first 2 shown]
	v_mov_b32_e32 v125, v39
	v_dual_mov_b32 v99, v159 :: v_dual_mov_b32 v100, v160
	v_dual_mov_b32 v128, v19 :: v_dual_mov_b32 v101, v161
	v_mov_b32_e32 v110, v170
	v_dual_mov_b32 v50, v123 :: v_dual_mov_b32 v53, v126
	v_dual_mov_b32 v106, v166 :: v_dual_mov_b32 v107, v167
	;; [unrolled: 1-line block ×19, first 2 shown]
	v_mov_b32_e32 v47, v109
	v_dual_mov_b32 v114, v53 :: v_dual_mov_b32 v111, v50
	v_mov_b32_e32 v118, v20
	v_dual_mov_b32 v120, v59 :: v_dual_mov_b32 v117, v56
	v_dual_mov_b32 v116, v55 :: v_dual_mov_b32 v113, v52
	v_mov_b32_e32 v44, v32
	v_mov_b32_e32 v112, v51
	v_dual_mov_b32 v98, v48 :: v_dual_mov_b32 v95, v45
	v_dual_mov_b32 v146, v122 :: v_dual_mov_b32 v145, v121
	;; [unrolled: 1-line block ×8, first 2 shown]
	v_mov_b32_e32 v89, v39
	v_dual_mov_b32 v93, v43 :: v_dual_mov_b32 v88, v38
	v_dual_mov_b32 v141, v117 :: v_dual_mov_b32 v140, v116
	v_mov_b32_e32 v95, v33
	v_dual_mov_b32 v139, v115 :: v_dual_mov_b32 v138, v114
	v_dual_mov_b32 v143, v21 :: v_dual_mov_b32 v136, v112
	;; [unrolled: 1-line block ×24, first 2 shown]
	v_mov_b32_e32 v158, v170
.LBB109_37:
	s_or_b32 exec_lo, exec_lo, s2
	v_mov_b32_e32 v13, v8
	s_mov_b32 s2, exec_lo
	v_cmpx_lt_f32_e32 v14, v8
	s_cbranch_execz .LBB109_39
; %bb.38:
	v_mov_b32_e32 v129, v20
	v_mov_b32_e32 v153, v32
	v_dual_mov_b32 v111, v123 :: v_dual_mov_b32 v114, v126
	v_dual_mov_b32 v37, v147 :: v_dual_mov_b32 v38, v148
	;; [unrolled: 1-line block ×10, first 2 shown]
	v_mov_b32_e32 v120, v132
	v_dual_mov_b32 v116, v128 :: v_dual_mov_b32 v121, v133
	v_mov_b32_e32 v44, v31
	v_dual_mov_b32 v119, v131 :: v_dual_mov_b32 v98, v48
	v_dual_mov_b32 v118, v19 :: v_dual_mov_b32 v95, v45
	;; [unrolled: 1-line block ×13, first 2 shown]
	v_mov_b32_e32 v95, v33
	v_dual_mov_b32 v7, v8 :: v_dual_mov_b32 v8, v14
	v_mov_b32_e32 v143, v21
	v_dual_mov_b32 v63, v87 :: v_dual_mov_b32 v68, v92
	v_dual_mov_b32 v64, v88 :: v_dual_mov_b32 v75, v135
	v_dual_mov_b32 v80, v140 :: v_dual_mov_b32 v67, v91
	v_dual_mov_b32 v72, v96 :: v_dual_mov_b32 v69, v93
	v_dual_mov_b32 v74, v98 :: v_dual_mov_b32 v73, v97
	v_dual_mov_b32 v78, v138 :: v_dual_mov_b32 v79, v139
	v_dual_mov_b32 v84, v144 :: v_dual_mov_b32 v81, v141
	v_dual_mov_b32 v86, v146 :: v_dual_mov_b32 v85, v145
	v_mov_b32_e32 v74, v36
	v_dual_mov_b32 v50, v123 :: v_dual_mov_b32 v51, v124
	v_dual_mov_b32 v99, v147 :: v_dual_mov_b32 v100, v148
	v_dual_mov_b32 v65, v89 :: v_dual_mov_b32 v70, v94
	v_dual_mov_b32 v66, v90 :: v_dual_mov_b32 v71, v95
	v_dual_mov_b32 v76, v136 :: v_dual_mov_b32 v77, v137
	v_dual_mov_b32 v82, v142 :: v_dual_mov_b32 v83, v143
	v_dual_mov_b32 v72, v34 :: v_dual_mov_b32 v73, v35
	;; [unrolled: 9-line block ×3, first 2 shown]
	v_dual_mov_b32 v105, v153 :: v_dual_mov_b32 v106, v154
	v_dual_mov_b32 v107, v155 :: v_dual_mov_b32 v108, v156
	;; [unrolled: 1-line block ×4, first 2 shown]
	v_mov_b32_e32 v32, v31
.LBB109_39:
	s_or_b32 exec_lo, exec_lo, s2
	v_mov_b32_e32 v14, v9
	s_mov_b32 s2, exec_lo
	v_cmpx_lt_f32_e32 v13, v9
	s_cbranch_execz .LBB109_41
; %bb.40:
	v_mov_b32_e32 v57, v21
	v_mov_b32_e32 v106, v33
	v_dual_mov_b32 v146, v61 :: v_dual_mov_b32 v145, v60
	v_dual_mov_b32 v87, v99 :: v_dual_mov_b32 v90, v102
	v_mov_b32_e32 v88, v100
	v_dual_mov_b32 v136, v51 :: v_dual_mov_b32 v135, v50
	v_dual_mov_b32 v91, v103 :: v_dual_mov_b32 v94, v106
	;; [unrolled: 1-line block ×7, first 2 shown]
	v_mov_b32_e32 v139, v54
	v_dual_mov_b32 v89, v101 :: v_dual_mov_b32 v92, v104
	v_dual_mov_b32 v138, v53 :: v_dual_mov_b32 v137, v52
	;; [unrolled: 1-line block ×3, first 2 shown]
	v_mov_b32_e32 v143, v20
	s_delay_alu instid0(VALU_DEP_4)
	v_dual_mov_b32 v63, v87 :: v_dual_mov_b32 v68, v92
	v_dual_mov_b32 v66, v90 :: v_dual_mov_b32 v75, v135
	v_dual_mov_b32 v80, v140 :: v_dual_mov_b32 v67, v91
	v_dual_mov_b32 v72, v96 :: v_dual_mov_b32 v69, v93
	v_dual_mov_b32 v74, v98 :: v_dual_mov_b32 v73, v97
	v_dual_mov_b32 v78, v138 :: v_dual_mov_b32 v79, v139
	v_dual_mov_b32 v84, v144 :: v_dual_mov_b32 v81, v141
	v_dual_mov_b32 v86, v146 :: v_dual_mov_b32 v85, v145
	v_mov_b32_e32 v74, v36
	v_dual_mov_b32 v122, v61 :: v_dual_mov_b32 v121, v60
	v_dual_mov_b32 v37, v99 :: v_dual_mov_b32 v38, v100
	;; [unrolled: 1-line block ×20, first 2 shown]
	v_mov_b32_e32 v33, v32
.LBB109_41:
	s_or_b32 exec_lo, exec_lo, s2
	v_mov_b32_e32 v15, v10
	s_mov_b32 s2, exec_lo
	v_cmpx_lt_f32_e32 v14, v10
	s_cbranch_execz .LBB109_43
; %bb.42:
	v_mov_b32_e32 v45, v34
	v_dual_mov_b32 v9, v10 :: v_dual_mov_b32 v74, v48
	v_mov_b32_e32 v72, v46
	v_mov_b32_e32 v72, v33
	s_delay_alu instid0(VALU_DEP_4) | instskip(SKIP_4) | instid1(VALU_DEP_4)
	v_mov_b32_e32 v71, v45
	v_dual_mov_b32 v119, v22 :: v_dual_mov_b32 v70, v44
	v_dual_mov_b32 v75, v111 :: v_dual_mov_b32 v78, v114
	;; [unrolled: 1-line block ×27, first 2 shown]
	v_mov_b32_e32 v34, v33
.LBB109_43:
	s_or_b32 exec_lo, exec_lo, s2
	v_mov_b32_e32 v13, v11
	s_mov_b32 s2, exec_lo
	v_cmpx_lt_f32_e32 v15, v11
	s_cbranch_execz .LBB109_45
; %bb.44:
	v_dual_mov_b32 v144, v23 :: v_dual_mov_b32 v145, v22
	v_dual_mov_b32 v96, v35 :: v_dual_mov_b32 v97, v34
	v_mov_b32_e32 v146, v24
	v_mov_b32_e32 v10, v11
	v_dual_mov_b32 v11, v15 :: v_dual_mov_b32 v98, v36
	v_dual_mov_b32 v75, v135 :: v_dual_mov_b32 v84, v144
	;; [unrolled: 1-line block ×3, first 2 shown]
	v_mov_b32_e32 v79, v139
	v_dual_mov_b32 v77, v137 :: v_dual_mov_b32 v78, v138
	v_dual_mov_b32 v81, v141 :: v_dual_mov_b32 v80, v140
	;; [unrolled: 1-line block ×10, first 2 shown]
.LBB109_45:
	s_or_b32 exec_lo, exec_lo, s2
	s_delay_alu instid0(VALU_DEP_1)
	v_cmp_lt_f32_e32 vcc_lo, v13, v12
	v_cmp_lt_f32_e64 s2, v1, v2
	v_dual_mov_b32 v40, v76 :: v_dual_mov_b32 v41, v77
	v_dual_mov_b32 v43, v79 :: v_dual_mov_b32 v44, v80
	v_dual_cndmask_b32 v23, v12, v13 :: v_dual_mov_b32 v42, v78
	v_dual_cndmask_b32 v11, v11, v12 :: v_dual_cndmask_b32 v62, v74, v73
	s_delay_alu instid0(VALU_DEP_2) | instskip(SKIP_3) | instid1(VALU_DEP_4)
	v_dual_cndmask_b32 v49, v85, v86 :: v_dual_mov_b32 v12, v23
	v_dual_cndmask_b32 v61, v73, v74 :: v_dual_cndmask_b32 v50, v86, v85
	v_mov_b32_e32 v39, v75
	v_dual_mov_b32 v45, v81 :: v_dual_mov_b32 v48, v84
	v_dual_mov_b32 v38, v12 :: v_dual_mov_b32 v37, v11
	;; [unrolled: 1-line block ×13, first 2 shown]
	s_and_saveexec_b32 s3, s2
	s_delay_alu instid0(SALU_CYCLE_1)
	s_xor_b32 s2, exec_lo, s3
	s_cbranch_execz .LBB109_47
; %bb.46:
	v_dual_mov_b32 v12, v2 :: v_dual_mov_b32 v13, v1
	v_dual_mov_b32 v14, v3 :: v_dual_mov_b32 v15, v4
	;; [unrolled: 1-line block ×6, first 2 shown]
	s_delay_alu instid0(VALU_DEP_2) | instskip(NEXT) | instid1(VALU_DEP_2)
	v_dual_mov_b32 v38, v23 :: v_dual_mov_b32 v35, v20
	v_dual_mov_b32 v36, v21 :: v_dual_mov_b32 v37, v22
	;; [unrolled: 1-line block ×15, first 2 shown]
	v_mov_b32_e32 v58, v70
	v_mov_b32_e32 v60, v72
.LBB109_47:
	s_or_b32 exec_lo, exec_lo, s2
	v_dual_mov_b32 v1, v29 :: v_dual_mov_b32 v122, v50
	v_dual_mov_b32 v15, v39 :: v_dual_mov_b32 v16, v40
	;; [unrolled: 1-line block ×30, first 2 shown]
	v_mov_b32_e32 v135, v39
	s_clause 0x2
	scratch_store_b128 off, v[39:42], off offset:48
	scratch_store_b128 off, v[43:46], off offset:64
	;; [unrolled: 1-line block ×3, first 2 shown]
	v_dual_mov_b32 v3, v51 :: v_dual_mov_b32 v6, v54
	v_dual_mov_b32 v13, v61 :: v_dual_mov_b32 v74, v62
	;; [unrolled: 1-line block ×34, first 2 shown]
	v_mov_b32_e32 v159, v51
	s_mov_b32 s2, exec_lo
	v_dual_mov_b32 v73, v61 :: v_dual_mov_b32 v72, v60
	v_mov_b32_e32 v4, v52
	s_clause 0x2
	scratch_store_b128 off, v[51:54], off
	scratch_store_b128 off, v[55:58], off offset:16
	scratch_store_b128 off, v[59:62], off offset:32
	v_dual_mov_b32 v182, v50 :: v_dual_mov_b32 v181, v49
	v_dual_mov_b32 v180, v48 :: v_dual_mov_b32 v179, v47
	;; [unrolled: 1-line block ×6, first 2 shown]
	v_cmpx_lt_f32_e32 v2, v29
	s_cbranch_execz .LBB109_49
; %bb.48:
	v_dual_mov_b32 v170, v62 :: v_dual_mov_b32 v169, v61
	v_dual_mov_b32 v162, v54 :: v_dual_mov_b32 v161, v53
	;; [unrolled: 1-line block ×7, first 2 shown]
	s_clause 0x2
	scratch_store_b128 off, v[159:162], off
	scratch_store_b128 off, v[163:166], off offset:16
	scratch_store_b128 off, v[167:170], off offset:32
	v_dual_mov_b32 v182, v50 :: v_dual_mov_b32 v181, v49
	v_dual_mov_b32 v172, v40 :: v_dual_mov_b32 v171, v39
	;; [unrolled: 1-line block ×8, first 2 shown]
	s_delay_alu instid0(VALU_DEP_3)
	v_dual_mov_b32 v140, v176 :: v_dual_mov_b32 v141, v177
	v_dual_mov_b32 v138, v174 :: v_dual_mov_b32 v139, v175
	;; [unrolled: 1-line block ×3, first 2 shown]
	v_mov_b32_e32 v146, v182
	v_dual_mov_b32 v136, v172 :: v_dual_mov_b32 v137, v173
	v_mov_b32_e32 v138, v42
	v_dual_mov_b32 v142, v178 :: v_dual_mov_b32 v143, v179
	v_mov_b32_e32 v53, v52
	v_mov_b32_e32 v139, v43
	v_mov_b32_e32 v41, v40
	v_dual_mov_b32 v147, v159 :: v_dual_mov_b32 v148, v160
	v_mov_b32_e32 v151, v163
	v_dual_mov_b32 v149, v161 :: v_dual_mov_b32 v150, v162
	v_dual_mov_b32 v153, v165 :: v_dual_mov_b32 v152, v164
	;; [unrolled: 1-line block ×16, first 2 shown]
	v_mov_b32_e32 v122, v146
	v_dual_mov_b32 v114, v138 :: v_dual_mov_b32 v117, v141
	v_dual_mov_b32 v116, v140 :: v_dual_mov_b32 v119, v143
	v_dual_mov_b32 v118, v142 :: v_dual_mov_b32 v121, v145
	v_dual_mov_b32 v112, v136 :: v_dual_mov_b32 v115, v139
	v_dual_mov_b32 v120, v144 :: v_dual_mov_b32 v87, v123
	v_dual_mov_b32 v116, v44 :: v_dual_mov_b32 v91, v127
	v_dual_mov_b32 v88, v124 :: v_dual_mov_b32 v93, v129
	v_dual_mov_b32 v89, v125 :: v_dual_mov_b32 v96, v132
	v_dual_mov_b32 v75, v111 :: v_dual_mov_b32 v90, v126
	v_dual_mov_b32 v95, v131 :: v_dual_mov_b32 v92, v128
	v_dual_mov_b32 v97, v133 :: v_dual_mov_b32 v94, v130
	v_dual_mov_b32 v93, v57 :: v_dual_mov_b32 v98, v134
	v_dual_mov_b32 v77, v113 :: v_dual_mov_b32 v86, v122
	v_dual_mov_b32 v78, v114 :: v_dual_mov_b32 v83, v119
	v_mov_b32_e32 v82, v118
	v_dual_mov_b32 v76, v112 :: v_dual_mov_b32 v81, v117
	v_dual_mov_b32 v80, v116 :: v_dual_mov_b32 v85, v121
	;; [unrolled: 1-line block ×6, first 2 shown]
	v_mov_b32_e32 v81, v45
	v_dual_mov_b32 v65, v89 :: v_dual_mov_b32 v72, v96
	v_mov_b32_e32 v29, v2
	s_delay_alu instid0(VALU_DEP_3)
	v_dual_mov_b32 v110, v86 :: v_dual_mov_b32 v105, v81
	v_dual_mov_b32 v70, v94 :: v_dual_mov_b32 v73, v97
	v_dual_mov_b32 v106, v82 :: v_dual_mov_b32 v103, v79
	v_dual_mov_b32 v102, v78 :: v_dual_mov_b32 v99, v75
	v_dual_mov_b32 v64, v88 :: v_dual_mov_b32 v67, v91
	v_dual_mov_b32 v66, v90 :: v_dual_mov_b32 v69, v93
	v_dual_mov_b32 v68, v92 :: v_dual_mov_b32 v71, v95
	v_dual_mov_b32 v74, v98 :: v_dual_mov_b32 v109, v85
	v_dual_mov_b32 v70, v58 :: v_dual_mov_b32 v107, v83
	v_dual_mov_b32 v1, v2 :: v_dual_mov_b32 v108, v84
	v_dual_mov_b32 v104, v80 :: v_dual_mov_b32 v101, v77
	v_mov_b32_e32 v106, v46
	s_clause 0x2
	scratch_store_b128 off, v[3:6], off offset:48
	scratch_store_b128 off, v[7:10], off offset:64
	;; [unrolled: 1-line block ×3, first 2 shown]
	v_dual_mov_b32 v100, v76 :: v_dual_mov_b32 v3, v63
	v_dual_mov_b32 v12, v72 :: v_dual_mov_b32 v5, v65
	;; [unrolled: 1-line block ×16, first 2 shown]
	v_mov_b32_e32 v26, v50
.LBB109_49:
	s_or_b32 exec_lo, exec_lo, s2
	v_mov_b32_e32 v2, v30
	s_mov_b32 s2, exec_lo
	v_cmpx_lt_f32_e32 v1, v30
	s_cbranch_execz .LBB109_51
; %bb.50:
	s_clause 0x2
	scratch_load_b128 v[2:5], off, off
	scratch_load_b128 v[6:9], off, off offset:16
	scratch_load_b128 v[10:13], off, off offset:32
	v_dual_mov_b32 v29, v30 :: v_dual_mov_b32 v30, v1
	v_dual_mov_b32 v161, v54 :: v_dual_mov_b32 v54, v53
	s_waitcnt vmcnt(0)
	v_dual_mov_b32 v170, v13 :: v_dual_mov_b32 v169, v12
	v_mov_b32_e32 v160, v3
	v_dual_mov_b32 v162, v5 :: v_dual_mov_b32 v159, v2
	v_dual_mov_b32 v173, v42 :: v_dual_mov_b32 v168, v11
	;; [unrolled: 1-line block ×3, first 2 shown]
	s_delay_alu instid0(VALU_DEP_3)
	v_dual_mov_b32 v165, v8 :: v_dual_mov_b32 v2, v159
	v_dual_mov_b32 v3, v160 :: v_dual_mov_b32 v4, v161
	;; [unrolled: 1-line block ×3, first 2 shown]
	s_clause 0x2
	scratch_store_b128 off, v[2:5], off
	scratch_store_b128 off, v[6:9], off offset:16
	scratch_store_b128 off, v[10:13], off offset:32
	v_dual_mov_b32 v162, v53 :: v_dual_mov_b32 v135, v171
	v_dual_mov_b32 v140, v176 :: v_dual_mov_b32 v141, v177
	;; [unrolled: 1-line block ×14, first 2 shown]
	v_mov_b32_e32 v137, v173
	v_dual_mov_b32 v123, v147 :: v_dual_mov_b32 v126, v150
	v_dual_mov_b32 v124, v148 :: v_dual_mov_b32 v111, v135
	s_delay_alu instid0(VALU_DEP_4)
	v_dual_mov_b32 v112, v136 :: v_dual_mov_b32 v125, v149
	v_dual_mov_b32 v128, v152 :: v_dual_mov_b32 v115, v139
	;; [unrolled: 1-line block ×7, first 2 shown]
	v_mov_b32_e32 v128, v56
	v_dual_mov_b32 v116, v44 :: v_dual_mov_b32 v87, v123
	v_dual_mov_b32 v113, v137 :: v_dual_mov_b32 v114, v138
	;; [unrolled: 1-line block ×21, first 2 shown]
	v_mov_b32_e32 v81, v45
	v_dual_mov_b32 v63, v87 :: v_dual_mov_b32 v66, v90
	v_mov_b32_e32 v64, v88
	v_dual_mov_b32 v110, v86 :: v_dual_mov_b32 v109, v85
	v_dual_mov_b32 v65, v89 :: v_dual_mov_b32 v68, v92
	;; [unrolled: 1-line block ×9, first 2 shown]
	v_mov_b32_e32 v102, v78
	v_dual_mov_b32 v42, v41 :: v_dual_mov_b32 v103, v79
	v_mov_b32_e32 v100, v76
	v_mov_b32_e32 v106, v46
	s_clause 0x2
	scratch_store_b128 off, v[2:5], off offset:48
	scratch_store_b128 off, v[6:9], off offset:64
	;; [unrolled: 1-line block ×3, first 2 shown]
	v_dual_mov_b32 v2, v1 :: v_dual_mov_b32 v107, v83
	v_mov_b32_e32 v3, v63
	v_mov_b32_e32 v5, v65
	v_dual_mov_b32 v7, v67 :: v_dual_mov_b32 v14, v74
	v_dual_mov_b32 v15, v99 :: v_dual_mov_b32 v6, v66
	;; [unrolled: 1-line block ×14, first 2 shown]
	v_mov_b32_e32 v24, v48
	v_mov_b32_e32 v26, v50
.LBB109_51:
	s_or_b32 exec_lo, exec_lo, s2
	v_mov_b32_e32 v1, v31
	s_mov_b32 s2, exec_lo
	v_cmpx_lt_f32_e32 v2, v31
	s_cbranch_execz .LBB109_53
; %bb.52:
	s_clause 0x2
	scratch_load_b128 v[3:6], off, off
	scratch_load_b128 v[7:10], off, off offset:16
	scratch_load_b128 v[11:14], off, off offset:32
	v_dual_mov_b32 v30, v31 :: v_dual_mov_b32 v31, v2
	v_mov_b32_e32 v1, v2
	s_waitcnt vmcnt(0)
	v_dual_mov_b32 v170, v14 :: v_dual_mov_b32 v169, v13
	v_dual_mov_b32 v161, v5 :: v_dual_mov_b32 v160, v4
	;; [unrolled: 1-line block ×5, first 2 shown]
	v_mov_b32_e32 v174, v43
	v_mov_b32_e32 v159, v3
	;; [unrolled: 1-line block ×3, first 2 shown]
	v_dual_mov_b32 v135, v171 :: v_dual_mov_b32 v136, v172
	v_mov_b32_e32 v137, v173
	s_delay_alu instid0(VALU_DEP_4) | instskip(NEXT) | instid1(VALU_DEP_4)
	v_dual_mov_b32 v147, v159 :: v_dual_mov_b32 v148, v160
	v_dual_mov_b32 v149, v161 :: v_dual_mov_b32 v150, v162
	;; [unrolled: 1-line block ×10, first 2 shown]
	v_mov_b32_e32 v139, v42
	v_mov_b32_e32 v151, v54
	v_dual_mov_b32 v146, v182 :: v_dual_mov_b32 v123, v147
	v_dual_mov_b32 v111, v135 :: v_dual_mov_b32 v112, v136
	;; [unrolled: 1-line block ×3, first 2 shown]
	s_delay_alu instid0(VALU_DEP_4)
	v_dual_mov_b32 v124, v148 :: v_dual_mov_b32 v127, v151
	v_dual_mov_b32 v128, v152 :: v_dual_mov_b32 v131, v155
	;; [unrolled: 1-line block ×9, first 2 shown]
	v_mov_b32_e32 v120, v144
	v_dual_mov_b32 v116, v44 :: v_dual_mov_b32 v87, v123
	v_mov_b32_e32 v114, v138
	v_dual_mov_b32 v98, v134 :: v_dual_mov_b32 v75, v111
	v_dual_mov_b32 v88, v124 :: v_dual_mov_b32 v89, v125
	;; [unrolled: 1-line block ×3, first 2 shown]
	v_mov_b32_e32 v86, v122
	v_dual_mov_b32 v90, v126 :: v_dual_mov_b32 v91, v127
	v_dual_mov_b32 v92, v128 :: v_dual_mov_b32 v93, v129
	;; [unrolled: 1-line block ×8, first 2 shown]
	v_mov_b32_e32 v79, v115
	v_mov_b32_e32 v81, v45
	v_dual_mov_b32 v63, v87 :: v_dual_mov_b32 v66, v90
	v_dual_mov_b32 v64, v88 :: v_dual_mov_b32 v73, v97
	;; [unrolled: 1-line block ×9, first 2 shown]
	v_mov_b32_e32 v108, v84
	v_dual_mov_b32 v106, v46 :: v_dual_mov_b32 v3, v63
	v_dual_mov_b32 v105, v81 :: v_dual_mov_b32 v104, v80
	;; [unrolled: 1-line block ×19, first 2 shown]
	v_mov_b32_e32 v26, v50
	v_mov_b32_e32 v43, v42
	;; [unrolled: 1-line block ×3, first 2 shown]
	s_clause 0x2
	scratch_store_b128 off, v[171:174], off offset:48
	scratch_store_b128 off, v[175:178], off offset:64
	;; [unrolled: 1-line block ×3, first 2 shown]
.LBB109_53:
	s_or_b32 exec_lo, exec_lo, s2
	v_mov_b32_e32 v2, v32
	s_mov_b32 s2, exec_lo
	v_cmpx_lt_f32_e32 v1, v32
	s_cbranch_execz .LBB109_55
; %bb.54:
	s_clause 0x2
	scratch_load_b128 v[2:5], off, off offset:48
	scratch_load_b128 v[6:9], off, off offset:64
	;; [unrolled: 1-line block ×3, first 2 shown]
	v_dual_mov_b32 v163, v56 :: v_dual_mov_b32 v56, v55
	s_waitcnt vmcnt(0)
	v_dual_mov_b32 v31, v32 :: v_dual_mov_b32 v146, v13
	v_dual_mov_b32 v138, v5 :: v_dual_mov_b32 v137, v4
	;; [unrolled: 1-line block ×6, first 2 shown]
	v_mov_b32_e32 v139, v44
	v_dual_mov_b32 v123, v159 :: v_dual_mov_b32 v124, v160
	v_dual_mov_b32 v125, v161 :: v_dual_mov_b32 v128, v164
	;; [unrolled: 1-line block ×12, first 2 shown]
	v_mov_b32_e32 v120, v144
	v_mov_b32_e32 v116, v43
	v_dual_mov_b32 v87, v123 :: v_dual_mov_b32 v88, v124
	v_dual_mov_b32 v89, v125 :: v_dual_mov_b32 v98, v134
	;; [unrolled: 1-line block ×12, first 2 shown]
	v_mov_b32_e32 v79, v115
	v_mov_b32_e32 v81, v45
	v_dual_mov_b32 v63, v87 :: v_dual_mov_b32 v66, v90
	v_dual_mov_b32 v64, v88 :: v_dual_mov_b32 v73, v97
	;; [unrolled: 1-line block ×8, first 2 shown]
	v_mov_b32_e32 v70, v58
	v_dual_mov_b32 v106, v46 :: v_dual_mov_b32 v65, v89
	v_dual_mov_b32 v68, v92 :: v_dual_mov_b32 v105, v81
	;; [unrolled: 1-line block ×4, first 2 shown]
	v_mov_b32_e32 v100, v76
	v_dual_mov_b32 v32, v1 :: v_dual_mov_b32 v3, v63
	v_dual_mov_b32 v14, v74 :: v_dual_mov_b32 v15, v99
	v_mov_b32_e32 v26, v110
	v_dual_mov_b32 v10, v70 :: v_dual_mov_b32 v11, v71
	v_dual_mov_b32 v12, v72 :: v_dual_mov_b32 v13, v73
	v_dual_mov_b32 v22, v106 :: v_dual_mov_b32 v23, v107
	v_dual_mov_b32 v24, v108 :: v_dual_mov_b32 v25, v109
	v_dual_mov_b32 v26, v50 :: v_dual_mov_b32 v147, v159
	v_dual_mov_b32 v4, v64 :: v_dual_mov_b32 v5, v65
	v_dual_mov_b32 v6, v66 :: v_dual_mov_b32 v7, v67
	v_dual_mov_b32 v8, v68 :: v_dual_mov_b32 v9, v69
	v_dual_mov_b32 v16, v100 :: v_dual_mov_b32 v17, v101
	v_dual_mov_b32 v18, v102 :: v_dual_mov_b32 v19, v103
	v_dual_mov_b32 v20, v104 :: v_dual_mov_b32 v21, v105
	v_dual_mov_b32 v11, v59 :: v_dual_mov_b32 v12, v60
	v_dual_mov_b32 v13, v61 :: v_dual_mov_b32 v14, v62
	v_dual_mov_b32 v23, v47 :: v_dual_mov_b32 v24, v48
	v_dual_mov_b32 v25, v49 :: v_dual_mov_b32 v148, v160
	v_dual_mov_b32 v149, v161 :: v_dual_mov_b32 v150, v162
	v_dual_mov_b32 v151, v163 :: v_dual_mov_b32 v152, v164
	v_dual_mov_b32 v153, v165 :: v_dual_mov_b32 v154, v166
	v_dual_mov_b32 v155, v167 :: v_dual_mov_b32 v156, v168
	v_dual_mov_b32 v157, v169 :: v_dual_mov_b32 v158, v170
	v_mov_b32_e32 v2, v1
	v_mov_b32_e32 v44, v43
.LBB109_55:
	s_or_b32 exec_lo, exec_lo, s2
	v_mov_b32_e32 v1, v33
	s_mov_b32 s2, exec_lo
	v_cmpx_lt_f32_e32 v2, v33
	s_cbranch_execz .LBB109_57
; %bb.56:
	v_mov_b32_e32 v140, v45
	v_dual_mov_b32 v152, v57 :: v_dual_mov_b32 v75, v135
	v_dual_mov_b32 v87, v147 :: v_dual_mov_b32 v90, v150
	v_dual_mov_b32 v91, v151 :: v_dual_mov_b32 v86, v146
	s_delay_alu instid0(VALU_DEP_3)
	v_dual_mov_b32 v92, v152 :: v_dual_mov_b32 v93, v153
	v_dual_mov_b32 v76, v136 :: v_dual_mov_b32 v79, v139
	v_dual_mov_b32 v88, v148 :: v_dual_mov_b32 v89, v149
	v_dual_mov_b32 v94, v154 :: v_dual_mov_b32 v95, v155
	v_dual_mov_b32 v96, v156 :: v_dual_mov_b32 v97, v157
	v_dual_mov_b32 v98, v158 :: v_dual_mov_b32 v77, v137
	v_mov_b32_e32 v93, v56
	v_dual_mov_b32 v84, v144 :: v_dual_mov_b32 v63, v87
	v_dual_mov_b32 v78, v138 :: v_dual_mov_b32 v81, v141
	;; [unrolled: 1-line block ×5, first 2 shown]
	s_delay_alu instid0(VALU_DEP_3) | instskip(SKIP_1) | instid1(VALU_DEP_4)
	v_dual_mov_b32 v110, v86 :: v_dual_mov_b32 v109, v85
	v_dual_mov_b32 v100, v76 :: v_dual_mov_b32 v99, v75
	;; [unrolled: 1-line block ×11, first 2 shown]
	v_mov_b32_e32 v106, v46
	v_dual_mov_b32 v70, v58 :: v_dual_mov_b32 v15, v99
	v_dual_mov_b32 v3, v63 :: v_dual_mov_b32 v24, v108
	v_dual_mov_b32 v24, v48 :: v_dual_mov_b32 v111, v135
	s_delay_alu instid0(VALU_DEP_3)
	v_dual_mov_b32 v10, v70 :: v_dual_mov_b32 v11, v71
	v_dual_mov_b32 v12, v72 :: v_dual_mov_b32 v13, v73
	;; [unrolled: 1-line block ×26, first 2 shown]
	v_mov_b32_e32 v1, v2
	v_dual_mov_b32 v134, v158 :: v_dual_mov_b32 v45, v44
	v_mov_b32_e32 v57, v56
.LBB109_57:
	s_or_b32 exec_lo, exec_lo, s2
	v_mov_b32_e32 v2, v34
	s_mov_b32 s2, exec_lo
	v_cmpx_lt_f32_e32 v1, v34
	s_cbranch_execz .LBB109_59
; %bb.58:
	v_mov_b32_e32 v129, v58
	v_dual_mov_b32 v63, v123 :: v_dual_mov_b32 v70, v130
	v_dual_mov_b32 v70, v57 :: v_dual_mov_b32 v71, v131
	;; [unrolled: 1-line block ×22, first 2 shown]
	v_mov_b32_e32 v34, v1
	v_dual_mov_b32 v5, v65 :: v_dual_mov_b32 v6, v66
	v_dual_mov_b32 v7, v67 :: v_dual_mov_b32 v8, v68
	;; [unrolled: 1-line block ×20, first 2 shown]
	v_mov_b32_e32 v2, v1
	v_mov_b32_e32 v46, v45
	;; [unrolled: 1-line block ×3, first 2 shown]
.LBB109_59:
	s_or_b32 exec_lo, exec_lo, s2
	v_mov_b32_e32 v1, v35
	s_mov_b32 s2, exec_lo
	v_cmpx_lt_f32_e32 v2, v35
	s_cbranch_execz .LBB109_61
; %bb.60:
	v_mov_b32_e32 v94, v59
	v_dual_mov_b32 v34, v35 :: v_dual_mov_b32 v35, v2
	v_mov_b32_e32 v82, v47
	v_dual_mov_b32 v3, v87 :: v_dual_mov_b32 v4, v88
	v_dual_mov_b32 v12, v96 :: v_dual_mov_b32 v9, v93
	;; [unrolled: 1-line block ×13, first 2 shown]
	v_mov_b32_e32 v7, v91
	v_mov_b32_e32 v11, v58
	v_dual_mov_b32 v14, v62 :: v_dual_mov_b32 v17, v77
	v_dual_mov_b32 v16, v76 :: v_dual_mov_b32 v19, v79
	;; [unrolled: 1-line block ×14, first 2 shown]
	v_mov_b32_e32 v47, v46
	v_mov_b32_e32 v59, v58
	;; [unrolled: 1-line block ×3, first 2 shown]
.LBB109_61:
	s_or_b32 exec_lo, exec_lo, s2
	v_mov_b32_e32 v39, v36
	s_mov_b32 s2, exec_lo
	v_cmpx_lt_f32_e32 v1, v36
	s_cbranch_execz .LBB109_63
; %bb.62:
	v_dual_mov_b32 v71, v60 :: v_dual_mov_b32 v72, v59
	v_dual_mov_b32 v73, v61 :: v_dual_mov_b32 v108, v47
	v_dual_mov_b32 v107, v48 :: v_dual_mov_b32 v110, v50
	v_dual_mov_b32 v109, v49 :: v_dual_mov_b32 v74, v62
	v_dual_mov_b32 v15, v99 :: v_dual_mov_b32 v16, v100
	v_dual_mov_b32 v3, v63 :: v_dual_mov_b32 v4, v64
	v_dual_mov_b32 v35, v36 :: v_dual_mov_b32 v36, v1
	v_dual_mov_b32 v17, v101 :: v_dual_mov_b32 v18, v102
	v_dual_mov_b32 v19, v103 :: v_dual_mov_b32 v20, v104
	v_dual_mov_b32 v21, v105 :: v_dual_mov_b32 v22, v106
	v_dual_mov_b32 v23, v107 :: v_dual_mov_b32 v24, v108
	v_dual_mov_b32 v25, v109 :: v_dual_mov_b32 v26, v110
	v_dual_mov_b32 v5, v65 :: v_dual_mov_b32 v6, v66
	v_dual_mov_b32 v7, v67 :: v_dual_mov_b32 v8, v68
	v_dual_mov_b32 v9, v69 :: v_dual_mov_b32 v10, v70
	v_dual_mov_b32 v11, v71 :: v_dual_mov_b32 v12, v72
	v_dual_mov_b32 v13, v73 :: v_dual_mov_b32 v14, v74
	v_mov_b32_e32 v39, v1
.LBB109_63:
	s_or_b32 exec_lo, exec_lo, s2
	s_delay_alu instid0(VALU_DEP_1)
	v_cmp_lt_f32_e32 vcc_lo, v39, v37
	v_dual_mov_b32 v40, v28 :: v_dual_mov_b32 v43, v31
	v_dual_mov_b32 v42, v30 :: v_dual_mov_b32 v45, v33
	v_dual_cndmask_b32 v1, v25, v24 :: v_dual_cndmask_b32 v24, v24, v25
	v_cndmask_b32_e32 v2, v13, v12, vcc_lo
	v_dual_cndmask_b32 v12, v12, v13 :: v_dual_cndmask_b32 v49, v37, v39
	v_dual_cndmask_b32 v48, v36, v37 :: v_dual_mov_b32 v41, v29
	v_dual_mov_b32 v39, v27 :: v_dual_mov_b32 v44, v32
	v_dual_mov_b32 v47, v35 :: v_dual_mov_b32 v46, v34
	v_mov_b32_e32 v50, v38
	s_mov_b32 s2, exec_lo
	v_cmpx_lt_f32_e32 v27, v28
	s_cbranch_execz .LBB109_65
; %bb.64:
	v_dual_mov_b32 v28, v40 :: v_dual_mov_b32 v29, v39
	v_dual_mov_b32 v38, v49 :: v_dual_mov_b32 v39, v50
	;; [unrolled: 1-line block ×6, first 2 shown]
	v_mov_b32_e32 v50, v39
	v_mov_b32_e32 v13, v15
	v_dual_mov_b32 v25, v3 :: v_dual_mov_b32 v44, v33
	v_swap_b32 v15, v16
	v_swap_b32 v3, v4
	v_dual_mov_b32 v49, v38 :: v_dual_mov_b32 v46, v35
	v_dual_mov_b32 v48, v37 :: v_dual_mov_b32 v47, v36
	;; [unrolled: 1-line block ×4, first 2 shown]
	v_mov_b32_e32 v41, v30
	v_dual_mov_b32 v39, v28 :: v_dual_mov_b32 v28, v27
.LBB109_65:
	s_or_b32 exec_lo, exec_lo, s2
	v_mov_b32_e32 v13, v2
	v_dual_mov_b32 v25, v1 :: v_dual_mov_b32 v62, v14
	v_dual_mov_b32 v74, v26 :: v_dual_mov_b32 v63, v15
	v_mov_b32_e32 v86, v26
	v_dual_mov_b32 v72, v24 :: v_dual_mov_b32 v75, v15
	v_dual_mov_b32 v110, v26 :: v_dual_mov_b32 v53, v5
	;; [unrolled: 1-line block ×61, first 2 shown]
	v_mov_b32_e32 v149, v5
	v_mov_b32_e32 v147, v3
	;; [unrolled: 1-line block ×3, first 2 shown]
	s_mov_b32 s2, exec_lo
	v_dual_mov_b32 v85, v25 :: v_dual_mov_b32 v84, v24
	v_dual_mov_b32 v83, v23 :: v_dual_mov_b32 v82, v22
	s_clause 0x2
	scratch_store_b128 off, v[3:6], off
	scratch_store_b128 off, v[7:10], off offset:16
	scratch_store_b128 off, v[11:14], off offset:32
	v_cmpx_lt_f32_e32 v28, v41
	s_cbranch_execz .LBB109_67
; %bb.66:
	v_dual_mov_b32 v158, v14 :: v_dual_mov_b32 v157, v13
	v_dual_mov_b32 v150, v6 :: v_dual_mov_b32 v149, v5
	;; [unrolled: 1-line block ×7, first 2 shown]
	s_clause 0x2
	scratch_store_b128 off, v[147:150], off
	scratch_store_b128 off, v[151:154], off offset:16
	scratch_store_b128 off, v[155:158], off offset:32
	v_dual_mov_b32 v182, v26 :: v_dual_mov_b32 v181, v25
	v_dual_mov_b32 v172, v16 :: v_dual_mov_b32 v171, v15
	;; [unrolled: 1-line block ×8, first 2 shown]
	s_delay_alu instid0(VALU_DEP_4) | instskip(SKIP_1) | instid1(VALU_DEP_4)
	v_dual_mov_b32 v160, v172 :: v_dual_mov_b32 v161, v173
	v_dual_mov_b32 v162, v174 :: v_dual_mov_b32 v163, v175
	v_dual_mov_b32 v164, v176 :: v_dual_mov_b32 v165, v177
	v_dual_mov_b32 v168, v180 :: v_dual_mov_b32 v169, v181
	v_mov_b32_e32 v170, v182
	v_dual_mov_b32 v166, v178 :: v_dual_mov_b32 v167, v179
	v_mov_b32_e32 v162, v18
	v_dual_mov_b32 v40, v41 :: v_dual_mov_b32 v41, v28
	v_mov_b32_e32 v5, v4
	v_mov_b32_e32 v17, v16
	;; [unrolled: 1-line block ×3, first 2 shown]
	v_dual_mov_b32 v137, v149 :: v_dual_mov_b32 v144, v156
	v_dual_mov_b32 v123, v159 :: v_dual_mov_b32 v136, v148
	;; [unrolled: 1-line block ×12, first 2 shown]
	v_mov_b32_e32 v133, v169
	v_dual_mov_b32 v111, v135 :: v_dual_mov_b32 v112, v136
	v_dual_mov_b32 v99, v123 :: v_dual_mov_b32 v100, v124
	;; [unrolled: 1-line block ×12, first 2 shown]
	v_mov_b32_e32 v104, v20
	v_dual_mov_b32 v116, v8 :: v_dual_mov_b32 v75, v99
	v_mov_b32_e32 v87, v111
	v_dual_mov_b32 v93, v117 :: v_dual_mov_b32 v78, v102
	s_delay_alu instid0(VALU_DEP_3)
	v_dual_mov_b32 v81, v105 :: v_dual_mov_b32 v92, v116
	v_dual_mov_b32 v90, v114 :: v_dual_mov_b32 v91, v115
	;; [unrolled: 1-line block ×11, first 2 shown]
	v_mov_b32_e32 v51, v87
	v_dual_mov_b32 v63, v75 :: v_dual_mov_b32 v66, v78
	v_dual_mov_b32 v55, v91 :: v_dual_mov_b32 v58, v94
	;; [unrolled: 1-line block ×14, first 2 shown]
	v_mov_b32_e32 v72, v24
	v_dual_mov_b32 v62, v14 :: v_dual_mov_b32 v71, v23
	v_dual_mov_b32 v70, v22 :: v_dual_mov_b32 v73, v1
	v_mov_b32_e32 v74, v26
.LBB109_67:
	s_or_b32 exec_lo, exec_lo, s2
	v_mov_b32_e32 v3, v42
	v_cmp_lt_f32_e32 vcc_lo, v13, v42
	s_mov_b32 s2, exec_lo
	s_clause 0x2
	scratch_load_b128 v[27:30], off, off
	scratch_load_b128 v[31:34], off, off offset:16
	scratch_load_b128 v[35:38], off, off offset:32
	s_and_b32 s3, s2, vcc_lo
	s_delay_alu instid0(SALU_CYCLE_1)
	s_mov_b32 exec_lo, s3
	s_cbranch_execz .LBB109_69
; %bb.68:
	v_mov_b32_e32 v173, v18
	s_waitcnt vmcnt(2)
	v_mov_b32_e32 v29, v6
	v_dual_mov_b32 v159, v171 :: v_dual_mov_b32 v160, v172
	s_waitcnt vmcnt(0)
	v_dual_mov_b32 v158, v38 :: v_dual_mov_b32 v157, v37
	v_dual_mov_b32 v156, v36 :: v_dual_mov_b32 v147, v27
	v_dual_mov_b32 v162, v174 :: v_dual_mov_b32 v149, v29
	v_dual_mov_b32 v148, v28 :: v_dual_mov_b32 v153, v33
	v_dual_mov_b32 v152, v32 :: v_dual_mov_b32 v151, v31
	v_dual_mov_b32 v150, v30 :: v_dual_mov_b32 v163, v175
	v_mov_b32_e32 v168, v180
	v_dual_mov_b32 v164, v176 :: v_dual_mov_b32 v165, v177
	v_dual_mov_b32 v170, v182 :: v_dual_mov_b32 v155, v35
	v_dual_mov_b32 v154, v34 :: v_dual_mov_b32 v161, v173
	v_dual_mov_b32 v166, v178 :: v_dual_mov_b32 v167, v179
	v_mov_b32_e32 v150, v5
	v_mov_b32_e32 v169, v181
	v_dual_mov_b32 v162, v17 :: v_dual_mov_b32 v135, v147
	v_dual_mov_b32 v136, v148 :: v_dual_mov_b32 v123, v159
	;; [unrolled: 1-line block ×13, first 2 shown]
	v_mov_b32_e32 v139, v7
	v_dual_mov_b32 v99, v123 :: v_dual_mov_b32 v100, v124
	v_dual_mov_b32 v111, v135 :: v_dual_mov_b32 v114, v138
	;; [unrolled: 1-line block ×4, first 2 shown]
	v_mov_b32_e32 v120, v144
	v_dual_mov_b32 v104, v128 :: v_dual_mov_b32 v105, v129
	v_dual_mov_b32 v110, v134 :: v_dual_mov_b32 v115, v139
	;; [unrolled: 1-line block ×21, first 2 shown]
	v_mov_b32_e32 v93, v9
	v_dual_mov_b32 v63, v75 :: v_dual_mov_b32 v64, v76
	v_dual_mov_b32 v51, v87 :: v_dual_mov_b32 v54, v90
	v_dual_mov_b32 v52, v88 :: v_dual_mov_b32 v55, v91
	s_delay_alu instid0(VALU_DEP_4)
	v_dual_mov_b32 v58, v94 :: v_dual_mov_b32 v57, v93
	v_dual_mov_b32 v60, v96 :: v_dual_mov_b32 v59, v95
	;; [unrolled: 1-line block ×9, first 2 shown]
	v_mov_b32_e32 v42, v13
	v_dual_mov_b32 v53, v89 :: v_dual_mov_b32 v56, v92
	v_dual_mov_b32 v68, v80 :: v_dual_mov_b32 v59, v11
	v_mov_b32_e32 v62, v14
	v_dual_mov_b32 v61, v2 :: v_dual_mov_b32 v72, v24
	v_dual_mov_b32 v70, v22 :: v_dual_mov_b32 v71, v23
	;; [unrolled: 1-line block ×3, first 2 shown]
	v_mov_b32_e32 v3, v13
	v_mov_b32_e32 v18, v17
	;; [unrolled: 1-line block ×3, first 2 shown]
.LBB109_69:
	s_or_b32 exec_lo, exec_lo, s2
	v_mov_b32_e32 v4, v43
	s_mov_b32 s2, exec_lo
	v_cmpx_lt_f32_e32 v3, v43
	s_cbranch_execz .LBB109_71
; %bb.70:
	v_mov_b32_e32 v174, v19
	s_waitcnt vmcnt(2)
	v_mov_b32_e32 v30, v7
	v_mov_b32_e32 v123, v171
	s_waitcnt vmcnt(0)
	v_dual_mov_b32 v125, v173 :: v_dual_mov_b32 v146, v38
	s_delay_alu instid0(VALU_DEP_3)
	v_dual_mov_b32 v143, v35 :: v_dual_mov_b32 v138, v30
	v_mov_b32_e32 v135, v27
	v_dual_mov_b32 v145, v37 :: v_dual_mov_b32 v142, v34
	v_dual_mov_b32 v139, v31 :: v_dual_mov_b32 v136, v28
	;; [unrolled: 1-line block ×6, first 2 shown]
	v_mov_b32_e32 v139, v6
	v_dual_mov_b32 v127, v18 :: v_dual_mov_b32 v124, v172
	v_dual_mov_b32 v126, v174 :: v_dual_mov_b32 v129, v177
	;; [unrolled: 1-line block ×15, first 2 shown]
	v_mov_b32_e32 v110, v134
	v_mov_b32_e32 v104, v20
	v_dual_mov_b32 v116, v8 :: v_dual_mov_b32 v75, v99
	v_mov_b32_e32 v87, v111
	v_dual_mov_b32 v93, v117 :: v_dual_mov_b32 v78, v102
	s_delay_alu instid0(VALU_DEP_3)
	v_dual_mov_b32 v81, v105 :: v_dual_mov_b32 v92, v116
	v_dual_mov_b32 v80, v104 :: v_dual_mov_b32 v83, v107
	;; [unrolled: 1-line block ×11, first 2 shown]
	v_mov_b32_e32 v63, v75
	s_delay_alu instid0(VALU_DEP_3)
	v_dual_mov_b32 v51, v87 :: v_dual_mov_b32 v54, v90
	v_dual_mov_b32 v71, v83 :: v_dual_mov_b32 v72, v84
	;; [unrolled: 1-line block ×14, first 2 shown]
	v_mov_b32_e32 v68, v80
	v_dual_mov_b32 v58, v10 :: v_dual_mov_b32 v59, v11
	v_dual_mov_b32 v60, v12 :: v_dual_mov_b32 v61, v2
	v_dual_mov_b32 v62, v14 :: v_dual_mov_b32 v71, v23
	v_dual_mov_b32 v70, v22 :: v_dual_mov_b32 v73, v1
	v_dual_mov_b32 v74, v26 :: v_dual_mov_b32 v161, v173
	v_dual_mov_b32 v160, v172 :: v_dual_mov_b32 v163, v175
	v_dual_mov_b32 v162, v174 :: v_dual_mov_b32 v165, v177
	v_dual_mov_b32 v164, v176 :: v_dual_mov_b32 v167, v179
	v_dual_mov_b32 v166, v178 :: v_dual_mov_b32 v169, v181
	v_dual_mov_b32 v168, v180 :: v_dual_mov_b32 v157, v37
	v_dual_mov_b32 v170, v182 :: v_dual_mov_b32 v155, v35
	v_dual_mov_b32 v156, v36 :: v_dual_mov_b32 v151, v31
	v_dual_mov_b32 v154, v34 :: v_dual_mov_b32 v149, v29
	v_dual_mov_b32 v152, v32 :: v_dual_mov_b32 v147, v27
	v_mov_b32_e32 v150, v30
	v_dual_mov_b32 v148, v28 :: v_dual_mov_b32 v19, v18
	v_dual_mov_b32 v4, v3 :: v_dual_mov_b32 v7, v6
.LBB109_71:
	s_or_b32 exec_lo, exec_lo, s2
	v_mov_b32_e32 v3, v44
	s_mov_b32 s2, exec_lo
	s_delay_alu instid0(VALU_DEP_2)
	v_cmpx_lt_f32_e32 v4, v44
	s_cbranch_execz .LBB109_73
; %bb.72:
	v_mov_b32_e32 v163, v20
	v_mov_b32_e32 v151, v8
	v_dual_mov_b32 v99, v159 :: v_dual_mov_b32 v102, v162
	v_dual_mov_b32 v111, v147 :: v_dual_mov_b32 v112, v148
	;; [unrolled: 1-line block ×10, first 2 shown]
	v_mov_b32_e32 v108, v168
	v_dual_mov_b32 v104, v164 :: v_dual_mov_b32 v109, v169
	v_mov_b32_e32 v116, v7
	v_mov_b32_e32 v107, v167
	;; [unrolled: 1-line block ×3, first 2 shown]
	v_dual_mov_b32 v87, v111 :: v_dual_mov_b32 v90, v114
	v_dual_mov_b32 v88, v112 :: v_dual_mov_b32 v89, v113
	;; [unrolled: 1-line block ×12, first 2 shown]
	v_mov_b32_e32 v93, v9
	v_mov_b32_e32 v43, v44
	v_dual_mov_b32 v44, v4 :: v_dual_mov_b32 v81, v21
	v_dual_mov_b32 v51, v87 :: v_dual_mov_b32 v56, v92
	;; [unrolled: 1-line block ×15, first 2 shown]
	v_mov_b32_e32 v136, v148
	v_dual_mov_b32 v54, v90 :: v_dual_mov_b32 v59, v11
	v_mov_b32_e32 v62, v14
	v_dual_mov_b32 v61, v2 :: v_dual_mov_b32 v72, v24
	v_dual_mov_b32 v70, v22 :: v_dual_mov_b32 v71, v23
	;; [unrolled: 1-line block ×14, first 2 shown]
	v_mov_b32_e32 v8, v7
.LBB109_73:
	s_or_b32 exec_lo, exec_lo, s2
	v_mov_b32_e32 v4, v45
	s_mov_b32 s2, exec_lo
	v_cmpx_lt_f32_e32 v3, v45
	s_cbranch_execz .LBB109_75
; %bb.74:
	v_mov_b32_e32 v140, v9
	v_dual_mov_b32 v128, v21 :: v_dual_mov_b32 v87, v135
	v_mov_b32_e32 v93, v141
	v_dual_mov_b32 v93, v8 :: v_dual_mov_b32 v94, v142
	v_dual_mov_b32 v96, v144 :: v_dual_mov_b32 v97, v145
	v_mov_b32_e32 v98, v146
	v_dual_mov_b32 v44, v45 :: v_dual_mov_b32 v75, v123
	v_dual_mov_b32 v84, v132 :: v_dual_mov_b32 v85, v133
	;; [unrolled: 1-line block ×8, first 2 shown]
	v_mov_b32_e32 v81, v20
	v_dual_mov_b32 v51, v87 :: v_dual_mov_b32 v52, v88
	v_dual_mov_b32 v76, v124 :: v_dual_mov_b32 v77, v125
	v_dual_mov_b32 v78, v126 :: v_dual_mov_b32 v79, v127
	v_dual_mov_b32 v61, v97 :: v_dual_mov_b32 v62, v98
	v_dual_mov_b32 v62, v14 :: v_dual_mov_b32 v63, v75
	v_dual_mov_b32 v72, v84 :: v_dual_mov_b32 v73, v85
	v_dual_mov_b32 v72, v24 :: v_dual_mov_b32 v99, v123
	v_dual_mov_b32 v57, v93 :: v_dual_mov_b32 v58, v94
	v_dual_mov_b32 v59, v95 :: v_dual_mov_b32 v60, v96
	v_dual_mov_b32 v70, v82 :: v_dual_mov_b32 v71, v83
	v_dual_mov_b32 v74, v86 :: v_dual_mov_b32 v71, v23
	v_dual_mov_b32 v108, v132 :: v_dual_mov_b32 v111, v135
	v_dual_mov_b32 v53, v89 :: v_dual_mov_b32 v54, v90
	v_dual_mov_b32 v55, v91 :: v_dual_mov_b32 v56, v92
	v_dual_mov_b32 v58, v10 :: v_dual_mov_b32 v59, v11
	v_dual_mov_b32 v60, v12 :: v_dual_mov_b32 v61, v2
	v_dual_mov_b32 v64, v76 :: v_dual_mov_b32 v65, v77
	v_dual_mov_b32 v66, v78 :: v_dual_mov_b32 v67, v79
	v_dual_mov_b32 v68, v80 :: v_dual_mov_b32 v69, v81
	v_dual_mov_b32 v70, v22 :: v_dual_mov_b32 v73, v1
	v_dual_mov_b32 v74, v26 :: v_dual_mov_b32 v101, v125
	v_dual_mov_b32 v100, v124 :: v_dual_mov_b32 v103, v127
	v_dual_mov_b32 v102, v126 :: v_dual_mov_b32 v105, v129
	v_dual_mov_b32 v104, v128 :: v_dual_mov_b32 v107, v131
	v_dual_mov_b32 v106, v130 :: v_dual_mov_b32 v109, v133
	v_dual_mov_b32 v110, v134 :: v_dual_mov_b32 v113, v137
	v_dual_mov_b32 v112, v136 :: v_dual_mov_b32 v115, v139
	v_dual_mov_b32 v114, v138 :: v_dual_mov_b32 v117, v141
	v_dual_mov_b32 v116, v140 :: v_dual_mov_b32 v119, v143
	v_dual_mov_b32 v118, v142 :: v_dual_mov_b32 v121, v145
	v_mov_b32_e32 v120, v144
	v_dual_mov_b32 v122, v146 :: v_dual_mov_b32 v21, v20
	v_dual_mov_b32 v4, v3 :: v_dual_mov_b32 v9, v8
.LBB109_75:
	s_or_b32 exec_lo, exec_lo, s2
	v_mov_b32_e32 v3, v46
	s_mov_b32 s2, exec_lo
	s_delay_alu instid0(VALU_DEP_2)
	v_cmpx_lt_f32_e32 v4, v46
	s_cbranch_execz .LBB109_77
; %bb.76:
	v_mov_b32_e32 v117, v10
	v_dual_mov_b32 v45, v46 :: v_dual_mov_b32 v46, v4
	v_mov_b32_e32 v105, v22
	v_dual_mov_b32 v51, v111 :: v_dual_mov_b32 v54, v114
	v_dual_mov_b32 v56, v116 :: v_dual_mov_b32 v63, v99
	;; [unrolled: 1-line block ×6, first 2 shown]
	v_mov_b32_e32 v58, v9
	v_dual_mov_b32 v61, v121 :: v_dual_mov_b32 v60, v12
	v_dual_mov_b32 v67, v103 :: v_dual_mov_b32 v70, v106
	;; [unrolled: 1-line block ×8, first 2 shown]
	v_mov_b32_e32 v62, v14
	v_dual_mov_b32 v61, v2 :: v_dual_mov_b32 v64, v100
	v_dual_mov_b32 v65, v101 :: v_dual_mov_b32 v68, v104
	;; [unrolled: 1-line block ×15, first 2 shown]
	v_mov_b32_e32 v98, v122
.LBB109_77:
	s_or_b32 exec_lo, exec_lo, s2
	v_mov_b32_e32 v4, v47
	s_mov_b32 s2, exec_lo
	v_cmpx_lt_f32_e32 v3, v47
	s_cbranch_execz .LBB109_79
; %bb.78:
	v_dual_mov_b32 v84, v24 :: v_dual_mov_b32 v85, v1
	v_dual_mov_b32 v94, v11 :: v_dual_mov_b32 v95, v10
	;; [unrolled: 1-line block ×4, first 2 shown]
	v_mov_b32_e32 v86, v26
	v_mov_b32_e32 v46, v47
	v_dual_mov_b32 v47, v3 :: v_dual_mov_b32 v98, v14
	v_dual_mov_b32 v63, v75 :: v_dual_mov_b32 v72, v84
	;; [unrolled: 1-line block ×3, first 2 shown]
	v_mov_b32_e32 v67, v79
	v_dual_mov_b32 v65, v77 :: v_dual_mov_b32 v66, v78
	v_dual_mov_b32 v69, v81 :: v_dual_mov_b32 v68, v80
	;; [unrolled: 1-line block ×9, first 2 shown]
	v_mov_b32_e32 v62, v98
	v_mov_b32_e32 v4, v3
.LBB109_79:
	s_or_b32 exec_lo, exec_lo, s2
	s_delay_alu instid0(VALU_DEP_1)
	v_cmp_lt_f32_e32 vcc_lo, v4, v48
	v_dual_mov_b32 v3, v41 :: v_dual_mov_b32 v8, v46
	v_dual_mov_b32 v5, v43 :: v_dual_mov_b32 v12, v50
	s_waitcnt vmcnt(0)
	v_cndmask_b32_e32 v37, v72, v71, vcc_lo
	v_dual_cndmask_b32 v71, v71, v72 :: v_dual_cndmask_b32 v38, v60, v59
	v_dual_cndmask_b32 v59, v59, v60 :: v_dual_mov_b32 v2, v40
	v_dual_cndmask_b32 v10, v48, v4 :: v_dual_mov_b32 v1, v39
	;; [unrolled: 1-line block ×3, first 2 shown]
	v_dual_mov_b32 v4, v42 :: v_dual_mov_b32 v7, v45
	v_mov_b32_e32 v11, v49
	s_mov_b32 s2, exec_lo
	v_cmpx_lt_f32_e32 v39, v40
	s_cbranch_execz .LBB109_81
; %bb.80:
	v_dual_mov_b32 v13, v2 :: v_dual_mov_b32 v14, v1
	v_dual_mov_b32 v15, v3 :: v_dual_mov_b32 v16, v4
	;; [unrolled: 1-line block ×6, first 2 shown]
	v_mov_b32_e32 v25, v63
	v_dual_mov_b32 v26, v51 :: v_dual_mov_b32 v1, v13
	v_swap_b32 v63, v64
	v_swap_b32 v51, v52
	v_dual_mov_b32 v2, v14 :: v_dual_mov_b32 v3, v15
	v_dual_mov_b32 v4, v16 :: v_dual_mov_b32 v5, v17
	;; [unrolled: 1-line block ×5, first 2 shown]
	v_mov_b32_e32 v12, v24
	v_mov_b32_e32 v40, v39
.LBB109_81:
	s_or_b32 exec_lo, exec_lo, s2
	v_mov_b32_e32 v60, v38
	v_dual_mov_b32 v72, v37 :: v_dual_mov_b32 v13, v51
	v_dual_mov_b32 v25, v63 :: v_dual_mov_b32 v98, v74
	;; [unrolled: 1-line block ×60, first 2 shown]
	s_mov_b32 s2, exec_lo
	v_dual_mov_b32 v96, v72 :: v_dual_mov_b32 v93, v69
	v_cmpx_lt_f32_e32 v40, v3
	s_cbranch_execz .LBB109_83
; %bb.82:
	v_dual_mov_b32 v134, v62 :: v_dual_mov_b32 v133, v61
	v_dual_mov_b32 v124, v52 :: v_dual_mov_b32 v123, v51
	v_mov_b32_e32 v124, v53
	v_dual_mov_b32 v128, v56 :: v_dual_mov_b32 v127, v55
	v_dual_mov_b32 v132, v60 :: v_dual_mov_b32 v131, v59
	v_dual_mov_b32 v126, v54 :: v_dual_mov_b32 v125, v53
	v_dual_mov_b32 v146, v74 :: v_dual_mov_b32 v145, v73
	v_dual_mov_b32 v125, v52 :: v_dual_mov_b32 v138, v66
	v_dual_mov_b32 v137, v65 :: v_dual_mov_b32 v136, v64
	v_dual_mov_b32 v135, v63 :: v_dual_mov_b32 v130, v58
	v_dual_mov_b32 v129, v57 :: v_dual_mov_b32 v140, v68
	v_dual_mov_b32 v139, v67 :: v_dual_mov_b32 v170, v134
	v_dual_mov_b32 v169, v133 :: v_dual_mov_b32 v144, v72
	v_dual_mov_b32 v143, v71 :: v_dual_mov_b32 v142, v70
	v_mov_b32_e32 v141, v69
	v_dual_mov_b32 v136, v65 :: v_dual_mov_b32 v137, v64
	v_dual_mov_b32 v160, v124 :: v_dual_mov_b32 v159, v123
	;; [unrolled: 1-line block ×40, first 2 shown]
	v_mov_b32_e32 v22, v84
	v_dual_mov_b32 v22, v38 :: v_dual_mov_b32 v25, v87
	v_dual_mov_b32 v16, v78 :: v_dual_mov_b32 v19, v81
	;; [unrolled: 1-line block ×16, first 2 shown]
	v_mov_b32_e32 v35, v73
	v_dual_mov_b32 v34, v37 :: v_dual_mov_b32 v39, v40
	v_dual_mov_b32 v36, v74 :: v_dual_mov_b32 v65, v64
	v_mov_b32_e32 v53, v52
.LBB109_83:
	s_or_b32 exec_lo, exec_lo, s2
	v_mov_b32_e32 v40, v4
	s_mov_b32 s2, exec_lo
	v_cmpx_lt_f32_e32 v39, v4
	s_cbranch_execz .LBB109_85
; %bb.84:
	v_mov_b32_e32 v137, v66
	v_mov_b32_e32 v125, v54
	;; [unrolled: 1-line block ×4, first 2 shown]
	v_dual_mov_b32 v170, v134 :: v_dual_mov_b32 v169, v133
	v_dual_mov_b32 v168, v132 :: v_dual_mov_b32 v159, v123
	;; [unrolled: 1-line block ×9, first 2 shown]
	v_mov_b32_e32 v157, v145
	v_dual_mov_b32 v155, v143 :: v_dual_mov_b32 v152, v140
	v_mov_b32_e32 v162, v53
	v_mov_b32_e32 v149, v137
	v_dual_mov_b32 v150, v65 :: v_dual_mov_b32 v111, v159
	v_dual_mov_b32 v112, v160 :: v_dual_mov_b32 v99, v147
	;; [unrolled: 1-line block ×13, first 2 shown]
	v_mov_b32_e32 v115, v55
	v_dual_mov_b32 v87, v99 :: v_dual_mov_b32 v88, v100
	v_dual_mov_b32 v75, v111 :: v_dual_mov_b32 v78, v114
	;; [unrolled: 1-line block ×3, first 2 shown]
	s_delay_alu instid0(VALU_DEP_4)
	v_dual_mov_b32 v80, v116 :: v_dual_mov_b32 v79, v115
	v_dual_mov_b32 v82, v118 :: v_dual_mov_b32 v81, v117
	;; [unrolled: 1-line block ×6, first 2 shown]
	v_mov_b32_e32 v96, v108
	v_dual_mov_b32 v92, v104 :: v_dual_mov_b32 v93, v105
	v_dual_mov_b32 v98, v110 :: v_dual_mov_b32 v95, v107
	;; [unrolled: 1-line block ×21, first 2 shown]
	v_mov_b32_e32 v34, v37
	v_dual_mov_b32 v35, v73 :: v_dual_mov_b32 v36, v74
	v_mov_b32_e32 v40, v39
	v_mov_b32_e32 v66, v65
	;; [unrolled: 1-line block ×3, first 2 shown]
.LBB109_85:
	s_or_b32 exec_lo, exec_lo, s2
	v_mov_b32_e32 v39, v5
	s_mov_b32 s2, exec_lo
	v_cmpx_lt_f32_e32 v40, v5
	s_cbranch_execz .LBB109_87
; %bb.86:
	v_mov_b32_e32 v126, v55
	v_mov_b32_e32 v111, v123
	;; [unrolled: 1-line block ×3, first 2 shown]
	v_dual_mov_b32 v115, v54 :: v_dual_mov_b32 v116, v128
	v_dual_mov_b32 v138, v67 :: v_dual_mov_b32 v113, v125
	v_mov_b32_e32 v112, v124
	v_dual_mov_b32 v118, v130 :: v_dual_mov_b32 v119, v131
	v_dual_mov_b32 v120, v132 :: v_dual_mov_b32 v121, v133
	;; [unrolled: 1-line block ×24, first 2 shown]
	v_mov_b32_e32 v22, v84
	v_dual_mov_b32 v22, v38 :: v_dual_mov_b32 v25, v87
	v_dual_mov_b32 v16, v78 :: v_dual_mov_b32 v19, v81
	;; [unrolled: 1-line block ×18, first 2 shown]
	v_mov_b32_e32 v35, v73
	v_dual_mov_b32 v34, v37 :: v_dual_mov_b32 v155, v143
	v_dual_mov_b32 v36, v74 :: v_dual_mov_b32 v157, v145
	;; [unrolled: 1-line block ×12, first 2 shown]
	v_mov_b32_e32 v55, v54
.LBB109_87:
	s_or_b32 exec_lo, exec_lo, s2
	v_mov_b32_e32 v40, v6
	s_mov_b32 s2, exec_lo
	v_cmpx_lt_f32_e32 v39, v6
	s_cbranch_execz .LBB109_89
; %bb.88:
	v_mov_b32_e32 v163, v56
	v_dual_mov_b32 v75, v159 :: v_dual_mov_b32 v80, v164
	v_dual_mov_b32 v80, v55 :: v_dual_mov_b32 v81, v165
	;; [unrolled: 1-line block ×7, first 2 shown]
	v_mov_b32_e32 v85, v169
	v_dual_mov_b32 v89, v149 :: v_dual_mov_b32 v92, v152
	v_dual_mov_b32 v91, v151 :: v_dual_mov_b32 v94, v154
	;; [unrolled: 1-line block ×6, first 2 shown]
	v_mov_b32_e32 v88, v148
	v_mov_b32_e32 v6, v39
	s_delay_alu instid0(VALU_DEP_3) | instskip(NEXT) | instid1(VALU_DEP_3)
	v_dual_mov_b32 v13, v75 :: v_dual_mov_b32 v14, v76
	v_dual_mov_b32 v25, v87 :: v_dual_mov_b32 v26, v88
	;; [unrolled: 1-line block ×30, first 2 shown]
	v_mov_b32_e32 v40, v39
	v_mov_b32_e32 v68, v67
	;; [unrolled: 1-line block ×3, first 2 shown]
.LBB109_89:
	s_or_b32 exec_lo, exec_lo, s2
	v_mov_b32_e32 v39, v7
	s_mov_b32 s2, exec_lo
	v_cmpx_lt_f32_e32 v40, v7
	s_cbranch_execz .LBB109_91
; %bb.90:
	v_mov_b32_e32 v116, v57
	v_dual_mov_b32 v6, v7 :: v_dual_mov_b32 v7, v40
	v_dual_mov_b32 v104, v69 :: v_dual_mov_b32 v13, v111
	v_mov_b32_e32 v22, v120
	v_dual_mov_b32 v22, v38 :: v_dual_mov_b32 v25, v99
	v_mov_b32_e32 v34, v108
	v_dual_mov_b32 v34, v37 :: v_dual_mov_b32 v87, v99
	v_dual_mov_b32 v16, v114 :: v_dual_mov_b32 v19, v117
	;; [unrolled: 1-line block ×12, first 2 shown]
	v_mov_b32_e32 v23, v61
	v_dual_mov_b32 v21, v59 :: v_dual_mov_b32 v24, v62
	v_dual_mov_b32 v27, v101 :: v_dual_mov_b32 v26, v100
	;; [unrolled: 1-line block ×3, first 2 shown]
	v_mov_b32_e32 v35, v73
	v_dual_mov_b32 v33, v71 :: v_dual_mov_b32 v36, v74
	v_dual_mov_b32 v89, v101 :: v_dual_mov_b32 v88, v100
	;; [unrolled: 1-line block ×9, first 2 shown]
	v_mov_b32_e32 v39, v40
	v_mov_b32_e32 v69, v68
	v_dual_mov_b32 v57, v56 :: v_dual_mov_b32 v94, v106
	v_dual_mov_b32 v97, v109 :: v_dual_mov_b32 v82, v118
	;; [unrolled: 1-line block ×3, first 2 shown]
.LBB109_91:
	s_or_b32 exec_lo, exec_lo, s2
	v_mov_b32_e32 v40, v8
	s_mov_b32 s2, exec_lo
	v_cmpx_lt_f32_e32 v39, v8
	s_cbranch_execz .LBB109_93
; %bb.92:
	v_dual_mov_b32 v81, v58 :: v_dual_mov_b32 v82, v57
	v_dual_mov_b32 v83, v59 :: v_dual_mov_b32 v84, v38
	;; [unrolled: 1-line block ×19, first 2 shown]
	v_mov_b32_e32 v40, v39
.LBB109_93:
	s_or_b32 exec_lo, exec_lo, s2
	s_delay_alu instid0(VALU_DEP_1)
	v_cmp_lt_f32_e32 vcc_lo, v40, v9
	v_dual_mov_b32 v38, v2 :: v_dual_mov_b32 v41, v5
	v_dual_mov_b32 v42, v6 :: v_dual_mov_b32 v47, v11
	v_dual_cndmask_b32 v145, v33, v32 :: v_dual_cndmask_b32 v32, v32, v33
	v_dual_cndmask_b32 v146, v21, v20 :: v_dual_mov_b32 v39, v3
	v_dual_cndmask_b32 v20, v20, v21 :: v_dual_cndmask_b32 v45, v9, v40
	v_dual_cndmask_b32 v44, v8, v9 :: v_dual_mov_b32 v37, v1
	v_dual_mov_b32 v40, v4 :: v_dual_mov_b32 v43, v7
	v_mov_b32_e32 v46, v10
	v_mov_b32_e32 v48, v12
	s_mov_b32 s2, exec_lo
	v_cmpx_lt_f32_e32 v1, v2
	s_cbranch_execz .LBB109_95
; %bb.94:
	v_dual_mov_b32 v49, v38 :: v_dual_mov_b32 v50, v37
	v_dual_mov_b32 v51, v39 :: v_dual_mov_b32 v52, v40
	;; [unrolled: 1-line block ×6, first 2 shown]
	v_mov_b32_e32 v3, v25
	v_mov_b32_e32 v4, v13
	v_dual_mov_b32 v37, v49 :: v_dual_mov_b32 v40, v52
	v_swap_b32 v25, v26
	v_swap_b32 v13, v14
	v_dual_mov_b32 v38, v50 :: v_dual_mov_b32 v39, v51
	v_dual_mov_b32 v41, v53 :: v_dual_mov_b32 v42, v54
	;; [unrolled: 1-line block ×5, first 2 shown]
	v_mov_b32_e32 v2, v1
.LBB109_95:
	s_or_b32 exec_lo, exec_lo, s2
	v_mov_b32_e32 v21, v146
	v_dual_mov_b32 v33, v145 :: v_dual_mov_b32 v60, v24
	v_dual_mov_b32 v72, v36 :: v_dual_mov_b32 v61, v25
	;; [unrolled: 1-line block ×43, first 2 shown]
	v_mov_b32_e32 v97, v13
	v_mov_b32_e32 v1, v39
	s_mov_b32 s2, exec_lo
	v_dual_mov_b32 v95, v35 :: v_dual_mov_b32 v94, v34
	v_dual_mov_b32 v93, v33 :: v_dual_mov_b32 v92, v32
	;; [unrolled: 1-line block ×5, first 2 shown]
	v_cmpx_lt_f32_e32 v2, v39
	s_cbranch_execz .LBB109_97
; %bb.96:
	v_dual_mov_b32 v108, v24 :: v_dual_mov_b32 v107, v23
	v_dual_mov_b32 v98, v14 :: v_dual_mov_b32 v97, v13
	v_mov_b32_e32 v98, v15
	v_dual_mov_b32 v104, v20 :: v_dual_mov_b32 v103, v19
	v_dual_mov_b32 v100, v16 :: v_dual_mov_b32 v99, v15
	v_dual_mov_b32 v120, v36 :: v_dual_mov_b32 v119, v35
	v_dual_mov_b32 v102, v18 :: v_dual_mov_b32 v101, v17
	v_dual_mov_b32 v99, v14 :: v_dual_mov_b32 v112, v28
	v_dual_mov_b32 v111, v27 :: v_dual_mov_b32 v110, v26
	v_dual_mov_b32 v109, v25 :: v_dual_mov_b32 v106, v22
	v_dual_mov_b32 v105, v21 :: v_dual_mov_b32 v118, v34
	v_dual_mov_b32 v117, v33 :: v_dual_mov_b32 v116, v32
	v_dual_mov_b32 v115, v31 :: v_dual_mov_b32 v114, v30
	v_dual_mov_b32 v113, v29 :: v_dual_mov_b32 v110, v27
	v_dual_mov_b32 v111, v26 :: v_dual_mov_b32 v144, v108
	v_dual_mov_b32 v143, v107 :: v_dual_mov_b32 v134, v98
	v_dual_mov_b32 v133, v97 :: v_dual_mov_b32 v140, v104
	v_dual_mov_b32 v139, v103 :: v_dual_mov_b32 v132, v120
	v_dual_mov_b32 v129, v117 :: v_dual_mov_b32 v138, v102
	v_dual_mov_b32 v137, v101 :: v_dual_mov_b32 v136, v100
	v_dual_mov_b32 v135, v99 :: v_dual_mov_b32 v124, v112
	v_dual_mov_b32 v121, v109 :: v_dual_mov_b32 v142, v106
	v_dual_mov_b32 v141, v105 :: v_dual_mov_b32 v136, v16
	v_dual_mov_b32 v131, v119 :: v_dual_mov_b32 v130, v118
	v_dual_mov_b32 v127, v115 :: v_dual_mov_b32 v128, v116
	v_dual_mov_b32 v125, v113 :: v_dual_mov_b32 v126, v114
	v_dual_mov_b32 v123, v111 :: v_dual_mov_b32 v124, v28
	v_dual_mov_b32 v122, v110 :: v_dual_mov_b32 v73, v133
	v_dual_mov_b32 v80, v140 :: v_dual_mov_b32 v83, v143
	v_mov_b32_e32 v84, v144
	v_dual_mov_b32 v74, v134 :: v_dual_mov_b32 v77, v137
	v_mov_b32_e32 v75, v135
	v_dual_mov_b32 v38, v39 :: v_dual_mov_b32 v85, v121
	v_dual_mov_b32 v76, v136 :: v_dual_mov_b32 v79, v139
	v_dual_mov_b32 v78, v138 :: v_dual_mov_b32 v81, v141
	v_dual_mov_b32 v82, v142 :: v_dual_mov_b32 v77, v17
	v_dual_mov_b32 v88, v124 :: v_dual_mov_b32 v89, v125
	v_dual_mov_b32 v90, v126 :: v_dual_mov_b32 v91, v127
	v_dual_mov_b32 v92, v128 :: v_dual_mov_b32 v93, v129
	v_dual_mov_b32 v94, v130 :: v_dual_mov_b32 v95, v131
	v_dual_mov_b32 v96, v132 :: v_dual_mov_b32 v89, v29
	v_dual_mov_b32 v86, v122 :: v_dual_mov_b32 v87, v123
	v_mov_b32_e32 v39, v2
	v_dual_mov_b32 v49, v73 :: v_dual_mov_b32 v50, v74
	v_dual_mov_b32 v59, v83 :: v_dual_mov_b32 v60, v84
	;; [unrolled: 1-line block ×18, first 2 shown]
	v_mov_b32_e32 v70, v34
	v_dual_mov_b32 v72, v36 :: v_dual_mov_b32 v1, v2
	v_mov_b32_e32 v27, v26
	v_mov_b32_e32 v15, v14
.LBB109_97:
	s_or_b32 exec_lo, exec_lo, s2
	v_mov_b32_e32 v2, v40
	s_mov_b32 s2, exec_lo
	v_cmpx_lt_f32_e32 v1, v40
	s_cbranch_execz .LBB109_99
; %bb.98:
	v_mov_b32_e32 v99, v16
	v_mov_b32_e32 v144, v108
	;; [unrolled: 1-line block ×3, first 2 shown]
	v_dual_mov_b32 v136, v15 :: v_dual_mov_b32 v111, v28
	v_dual_mov_b32 v142, v106 :: v_dual_mov_b32 v133, v97
	;; [unrolled: 1-line block ×4, first 2 shown]
	v_mov_b32_e32 v135, v99
	v_dual_mov_b32 v125, v113 :: v_dual_mov_b32 v124, v112
	v_mov_b32_e32 v143, v107
	v_dual_mov_b32 v141, v105 :: v_dual_mov_b32 v140, v104
	v_dual_mov_b32 v139, v103 :: v_dual_mov_b32 v138, v102
	;; [unrolled: 1-line block ×18, first 2 shown]
	v_mov_b32_e32 v95, v131
	v_dual_mov_b32 v89, v29 :: v_dual_mov_b32 v88, v124
	v_dual_mov_b32 v49, v73 :: v_dual_mov_b32 v54, v78
	v_mov_b32_e32 v50, v74
	v_dual_mov_b32 v52, v76 :: v_dual_mov_b32 v61, v85
	s_delay_alu instid0(VALU_DEP_4)
	v_dual_mov_b32 v64, v88 :: v_dual_mov_b32 v51, v75
	v_dual_mov_b32 v56, v80 :: v_dual_mov_b32 v53, v77
	;; [unrolled: 1-line block ×12, first 2 shown]
	v_mov_b32_e32 v58, v22
	v_dual_mov_b32 v57, v146 :: v_dual_mov_b32 v60, v24
	v_dual_mov_b32 v59, v23 :: v_dual_mov_b32 v62, v86
	;; [unrolled: 1-line block ×5, first 2 shown]
	v_mov_b32_e32 v2, v1
	v_mov_b32_e32 v28, v27
	;; [unrolled: 1-line block ×3, first 2 shown]
.LBB109_99:
	s_or_b32 exec_lo, exec_lo, s2
	v_mov_b32_e32 v1, v41
	s_mov_b32 s2, exec_lo
	v_cmpx_lt_f32_e32 v2, v41
	s_cbranch_execz .LBB109_101
; %bb.100:
	v_mov_b32_e32 v100, v17
	v_mov_b32_e32 v73, v97
	;; [unrolled: 1-line block ×3, first 2 shown]
	v_dual_mov_b32 v77, v16 :: v_dual_mov_b32 v78, v102
	v_dual_mov_b32 v112, v29 :: v_dual_mov_b32 v75, v99
	;; [unrolled: 1-line block ×3, first 2 shown]
	v_mov_b32_e32 v84, v108
	v_dual_mov_b32 v74, v98 :: v_dual_mov_b32 v85, v109
	v_mov_b32_e32 v86, v110
	v_dual_mov_b32 v76, v100 :: v_dual_mov_b32 v79, v103
	v_dual_mov_b32 v80, v104 :: v_dual_mov_b32 v81, v105
	;; [unrolled: 1-line block ×8, first 2 shown]
	v_mov_b32_e32 v49, v73
	v_dual_mov_b32 v89, v28 :: v_dual_mov_b32 v50, v74
	v_dual_mov_b32 v59, v83 :: v_dual_mov_b32 v60, v84
	;; [unrolled: 1-line block ×32, first 2 shown]
	v_mov_b32_e32 v17, v16
.LBB109_101:
	s_or_b32 exec_lo, exec_lo, s2
	v_mov_b32_e32 v2, v42
	s_mov_b32 s2, exec_lo
	v_cmpx_lt_f32_e32 v1, v42
	s_cbranch_execz .LBB109_103
; %bb.102:
	v_mov_b32_e32 v137, v18
	v_mov_b32_e32 v125, v30
	v_dual_mov_b32 v41, v42 :: v_dual_mov_b32 v42, v1
	v_dual_mov_b32 v49, v133 :: v_dual_mov_b32 v50, v134
	v_dual_mov_b32 v57, v141 :: v_dual_mov_b32 v60, v144
	v_dual_mov_b32 v60, v24 :: v_dual_mov_b32 v61, v121
	v_dual_mov_b32 v62, v122 :: v_dual_mov_b32 v51, v135
	v_dual_mov_b32 v54, v138 :: v_dual_mov_b32 v53, v137
	v_dual_mov_b32 v56, v140 :: v_dual_mov_b32 v55, v139
	v_dual_mov_b32 v58, v142 :: v_dual_mov_b32 v59, v143
	v_dual_mov_b32 v54, v17 :: v_dual_mov_b32 v63, v123
	v_dual_mov_b32 v66, v126 :: v_dual_mov_b32 v65, v125
	v_dual_mov_b32 v68, v128 :: v_dual_mov_b32 v67, v127
	v_dual_mov_b32 v70, v130 :: v_dual_mov_b32 v69, v129
	v_dual_mov_b32 v72, v132 :: v_dual_mov_b32 v71, v131
	v_mov_b32_e32 v66, v29
	v_dual_mov_b32 v85, v121 :: v_dual_mov_b32 v86, v122
	v_dual_mov_b32 v73, v133 :: v_dual_mov_b32 v74, v134
	;; [unrolled: 1-line block ×4, first 2 shown]
	v_mov_b32_e32 v64, v124
	v_dual_mov_b32 v58, v22 :: v_dual_mov_b32 v59, v23
	v_dual_mov_b32 v67, v31 :: v_dual_mov_b32 v68, v32
	;; [unrolled: 1-line block ×8, first 2 shown]
	v_mov_b32_e32 v2, v1
	v_mov_b32_e32 v30, v29
	v_dual_mov_b32 v18, v17 :: v_dual_mov_b32 v91, v127
	v_dual_mov_b32 v92, v128 :: v_dual_mov_b32 v93, v129
	;; [unrolled: 1-line block ×6, first 2 shown]
	v_mov_b32_e32 v84, v144
.LBB109_103:
	s_or_b32 exec_lo, exec_lo, s2
	v_mov_b32_e32 v1, v43
	s_mov_b32 s2, exec_lo
	v_cmpx_lt_f32_e32 v2, v43
	s_cbranch_execz .LBB109_105
; %bb.104:
	v_dual_mov_b32 v94, v34 :: v_dual_mov_b32 v95, v35
	v_dual_mov_b32 v78, v19 :: v_dual_mov_b32 v79, v18
	;; [unrolled: 1-line block ×6, first 2 shown]
	v_mov_b32_e32 v96, v36
	v_dual_mov_b32 v42, v43 :: v_dual_mov_b32 v43, v2
	v_dual_mov_b32 v84, v24 :: v_dual_mov_b32 v61, v85
	;; [unrolled: 1-line block ×14, first 2 shown]
.LBB109_105:
	s_or_b32 exec_lo, exec_lo, s2
	s_delay_alu instid0(VALU_DEP_1)
	v_cmp_lt_f32_e32 vcc_lo, v1, v44
	v_dual_mov_b32 v3, v39 :: v_dual_mov_b32 v10, v46
	v_dual_mov_b32 v5, v41 :: v_dual_mov_b32 v12, v48
	v_dual_cndmask_b32 v121, v68, v67 :: v_dual_mov_b32 v2, v38
	v_dual_cndmask_b32 v67, v67, v68 :: v_dual_cndmask_b32 v122, v56, v55
	v_dual_cndmask_b32 v55, v55, v56 :: v_dual_cndmask_b32 v8, v44, v1
	v_dual_cndmask_b32 v7, v43, v44 :: v_dual_mov_b32 v4, v40
	v_dual_mov_b32 v1, v37 :: v_dual_mov_b32 v6, v42
	v_mov_b32_e32 v9, v45
	v_mov_b32_e32 v11, v47
	s_mov_b32 s2, exec_lo
	v_cmpx_lt_f32_e32 v37, v38
	s_cbranch_execz .LBB109_107
; %bb.106:
	v_dual_mov_b32 v13, v2 :: v_dual_mov_b32 v14, v1
	v_dual_mov_b32 v15, v3 :: v_dual_mov_b32 v16, v4
	;; [unrolled: 1-line block ×6, first 2 shown]
	v_mov_b32_e32 v25, v61
	v_mov_b32_e32 v26, v49
	v_dual_mov_b32 v1, v13 :: v_dual_mov_b32 v4, v16
	v_swap_b32 v61, v62
	v_swap_b32 v49, v50
	v_dual_mov_b32 v2, v14 :: v_dual_mov_b32 v3, v15
	v_dual_mov_b32 v5, v17 :: v_dual_mov_b32 v6, v18
	;; [unrolled: 1-line block ×5, first 2 shown]
	v_mov_b32_e32 v38, v37
.LBB109_107:
	s_or_b32 exec_lo, exec_lo, s2
	v_mov_b32_e32 v56, v122
	v_mov_b32_e32 v68, v121
	;; [unrolled: 1-line block ×3, first 2 shown]
	v_dual_mov_b32 v27, v51 :: v_dual_mov_b32 v84, v72
	v_mov_b32_e32 v81, v69
	v_dual_mov_b32 v83, v71 :: v_dual_mov_b32 v96, v60
	v_dual_mov_b32 v91, v55 :: v_dual_mov_b32 v120, v72
	;; [unrolled: 1-line block ×31, first 2 shown]
	v_mov_b32_e32 v24, v60
	s_mov_b32 s2, exec_lo
	v_dual_mov_b32 v118, v70 :: v_dual_mov_b32 v115, v67
	v_dual_mov_b32 v116, v68 :: v_dual_mov_b32 v113, v65
	;; [unrolled: 1-line block ×3, first 2 shown]
	v_cmpx_lt_f32_e32 v38, v3
	s_cbranch_execz .LBB109_109
; %bb.108:
	v_dual_mov_b32 v13, v49 :: v_dual_mov_b32 v14, v50
	v_dual_mov_b32 v23, v59 :: v_dual_mov_b32 v24, v60
	;; [unrolled: 1-line block ×30, first 2 shown]
	v_mov_b32_e32 v112, v64
	v_dual_mov_b32 v34, v94 :: v_dual_mov_b32 v35, v95
	v_dual_mov_b32 v35, v59 :: v_dual_mov_b32 v34, v58
	;; [unrolled: 1-line block ×15, first 2 shown]
	v_mov_b32_e32 v81, v69
	v_dual_mov_b32 v80, v121 :: v_dual_mov_b32 v83, v71
	v_mov_b32_e32 v82, v70
	v_dual_mov_b32 v84, v72 :: v_dual_mov_b32 v37, v38
	v_mov_b32_e32 v63, v62
	v_mov_b32_e32 v51, v50
.LBB109_109:
	s_or_b32 exec_lo, exec_lo, s2
	v_mov_b32_e32 v38, v4
	s_mov_b32 s2, exec_lo
	v_cmpx_lt_f32_e32 v37, v4
	s_cbranch_execz .LBB109_111
; %bb.110:
	v_mov_b32_e32 v15, v52
	v_mov_b32_e32 v96, v24
	;; [unrolled: 1-line block ×3, first 2 shown]
	v_dual_mov_b32 v88, v51 :: v_dual_mov_b32 v99, v64
	v_dual_mov_b32 v94, v22 :: v_dual_mov_b32 v85, v13
	;; [unrolled: 1-line block ×3, first 2 shown]
	v_mov_b32_e32 v95, v23
	v_dual_mov_b32 v93, v21 :: v_dual_mov_b32 v92, v20
	v_dual_mov_b32 v91, v19 :: v_dual_mov_b32 v90, v18
	;; [unrolled: 1-line block ×7, first 2 shown]
	v_mov_b32_e32 v87, v15
	v_dual_mov_b32 v111, v99 :: v_dual_mov_b32 v110, v98
	v_dual_mov_b32 v112, v63 :: v_dual_mov_b32 v25, v85
	;; [unrolled: 1-line block ×3, first 2 shown]
	s_delay_alu instid0(VALU_DEP_3)
	v_dual_mov_b32 v74, v110 :: v_dual_mov_b32 v29, v89
	v_dual_mov_b32 v30, v90 :: v_dual_mov_b32 v31, v91
	;; [unrolled: 1-line block ×8, first 2 shown]
	v_mov_b32_e32 v84, v120
	v_dual_mov_b32 v3, v4 :: v_dual_mov_b32 v4, v37
	v_dual_mov_b32 v27, v87 :: v_dual_mov_b32 v28, v88
	;; [unrolled: 1-line block ×11, first 2 shown]
	v_mov_b32_e32 v38, v37
	v_mov_b32_e32 v64, v63
	;; [unrolled: 1-line block ×3, first 2 shown]
.LBB109_111:
	s_or_b32 exec_lo, exec_lo, s2
	v_mov_b32_e32 v16, v5
	s_mov_b32 s2, exec_lo
	v_cmpx_lt_f32_e32 v38, v5
	s_cbranch_execz .LBB109_113
; %bb.112:
	v_mov_b32_e32 v100, v65
	v_mov_b32_e32 v16, v53
	v_dual_mov_b32 v4, v5 :: v_dual_mov_b32 v5, v38
	v_dual_mov_b32 v36, v24 :: v_dual_mov_b32 v33, v21
	;; [unrolled: 1-line block ×3, first 2 shown]
	v_mov_b32_e32 v31, v19
	v_dual_mov_b32 v35, v59 :: v_dual_mov_b32 v34, v58
	v_dual_mov_b32 v73, v97 :: v_dual_mov_b32 v32, v20
	;; [unrolled: 1-line block ×8, first 2 shown]
	v_mov_b32_e32 v77, v64
	v_dual_mov_b32 v84, v108 :: v_dual_mov_b32 v79, v67
	v_dual_mov_b32 v120, v108 :: v_dual_mov_b32 v115, v103
	;; [unrolled: 1-line block ×19, first 2 shown]
	v_mov_b32_e32 v88, v16
	v_dual_mov_b32 v86, v14 :: v_dual_mov_b32 v65, v64
	v_dual_mov_b32 v16, v38 :: v_dual_mov_b32 v53, v52
	;; [unrolled: 1-line block ×3, first 2 shown]
.LBB109_113:
	s_or_b32 exec_lo, exec_lo, s2
	v_mov_b32_e32 v13, v6
	s_mov_b32 s2, exec_lo
	v_cmpx_lt_f32_e32 v16, v6
	s_cbranch_execz .LBB109_115
; %bb.114:
	v_dual_mov_b32 v89, v54 :: v_dual_mov_b32 v90, v53
	v_dual_mov_b32 v91, v55 :: v_dual_mov_b32 v92, v122
	;; [unrolled: 1-line block ×21, first 2 shown]
	v_mov_b32_e32 v13, v16
.LBB109_115:
	s_or_b32 exec_lo, exec_lo, s2
	s_delay_alu instid0(VALU_DEP_1)
	v_cmp_lt_f32_e32 vcc_lo, v13, v7
	v_dual_mov_b32 v14, v2 :: v_dual_mov_b32 v17, v5
	v_dual_mov_b32 v16, v4 :: v_dual_mov_b32 v21, v9
	v_dual_cndmask_b32 v37, v79, v78 :: v_dual_cndmask_b32 v78, v78, v79
	v_cndmask_b32_e32 v38, v31, v30, vcc_lo
	v_dual_cndmask_b32 v30, v30, v31 :: v_dual_cndmask_b32 v19, v7, v13
	v_dual_cndmask_b32 v18, v6, v7 :: v_dual_mov_b32 v15, v3
	v_dual_mov_b32 v13, v1 :: v_dual_mov_b32 v20, v8
	v_dual_mov_b32 v23, v11 :: v_dual_mov_b32 v22, v10
	v_mov_b32_e32 v24, v12
	s_mov_b32 s2, exec_lo
	v_cmpx_lt_f32_e32 v1, v2
	s_cbranch_execz .LBB109_117
; %bb.116:
	v_dual_mov_b32 v2, v14 :: v_dual_mov_b32 v3, v13
	v_dual_mov_b32 v12, v23 :: v_dual_mov_b32 v13, v24
	;; [unrolled: 1-line block ×6, first 2 shown]
	v_mov_b32_e32 v24, v13
	v_mov_b32_e32 v31, v73
	v_dual_mov_b32 v39, v25 :: v_dual_mov_b32 v18, v7
	v_swap_b32 v73, v74
	v_swap_b32 v25, v26
	v_dual_mov_b32 v23, v12 :: v_dual_mov_b32 v20, v9
	v_dual_mov_b32 v22, v11 :: v_dual_mov_b32 v21, v10
	;; [unrolled: 1-line block ×4, first 2 shown]
	v_mov_b32_e32 v15, v4
	v_dual_mov_b32 v13, v2 :: v_dual_mov_b32 v2, v1
.LBB109_117:
	s_or_b32 exec_lo, exec_lo, s2
	v_mov_b32_e32 v31, v38
	v_dual_mov_b32 v79, v37 :: v_dual_mov_b32 v50, v36
	v_dual_mov_b32 v51, v73 :: v_dual_mov_b32 v52, v74
	;; [unrolled: 1-line block ×24, first 2 shown]
	v_mov_b32_e32 v85, v25
	v_mov_b32_e32 v1, v15
	s_mov_b32 s2, exec_lo
	v_cmpx_lt_f32_e32 v2, v15
	s_cbranch_execz .LBB109_119
; %bb.118:
	v_dual_mov_b32 v96, v36 :: v_dual_mov_b32 v95, v35
	v_dual_mov_b32 v86, v26 :: v_dual_mov_b32 v85, v25
	;; [unrolled: 1-line block ×8, first 2 shown]
	v_mov_b32_e32 v105, v81
	v_dual_mov_b32 v43, v89 :: v_dual_mov_b32 v44, v90
	v_dual_mov_b32 v100, v76 :: v_dual_mov_b32 v97, v73
	;; [unrolled: 1-line block ×6, first 2 shown]
	v_mov_b32_e32 v98, v74
	v_dual_mov_b32 v98, v75 :: v_dual_mov_b32 v99, v74
	v_dual_mov_b32 v49, v95 :: v_dual_mov_b32 v50, v96
	;; [unrolled: 1-line block ×12, first 2 shown]
	v_mov_b32_e32 v40, v86
	v_dual_mov_b32 v42, v28 :: v_dual_mov_b32 v43, v29
	v_dual_mov_b32 v45, v38 :: v_dual_mov_b32 v46, v32
	;; [unrolled: 1-line block ×9, first 2 shown]
	v_mov_b32_e32 v75, v74
	v_mov_b32_e32 v27, v26
.LBB109_119:
	s_or_b32 exec_lo, exec_lo, s2
	v_mov_b32_e32 v2, v16
	s_mov_b32 s2, exec_lo
	v_cmpx_lt_f32_e32 v1, v16
	s_cbranch_execz .LBB109_121
; %bb.120:
	v_mov_b32_e32 v87, v28
	v_mov_b32_e32 v99, v76
	v_dual_mov_b32 v15, v16 :: v_dual_mov_b32 v16, v1
	v_dual_mov_b32 v39, v85 :: v_dual_mov_b32 v42, v88
	;; [unrolled: 1-line block ×13, first 2 shown]
	v_mov_b32_e32 v56, v78
	v_mov_b32_e32 v40, v86
	v_dual_mov_b32 v42, v27 :: v_dual_mov_b32 v43, v29
	v_dual_mov_b32 v45, v38 :: v_dual_mov_b32 v46, v32
	;; [unrolled: 1-line block ×8, first 2 shown]
	v_mov_b32_e32 v2, v1
	v_mov_b32_e32 v76, v75
	;; [unrolled: 1-line block ×3, first 2 shown]
.LBB109_121:
	s_or_b32 exec_lo, exec_lo, s2
	v_mov_b32_e32 v1, v17
	s_mov_b32 s2, exec_lo
	v_cmpx_lt_f32_e32 v2, v17
	s_cbranch_execz .LBB109_123
; %bb.122:
	v_dual_mov_b32 v106, v82 :: v_dual_mov_b32 v107, v83
	v_dual_mov_b32 v88, v29 :: v_dual_mov_b32 v89, v28
	v_dual_mov_b32 v90, v30 :: v_dual_mov_b32 v93, v33
	v_dual_mov_b32 v91, v38 :: v_dual_mov_b32 v92, v32
	v_dual_mov_b32 v94, v34 :: v_dual_mov_b32 v95, v35
	v_dual_mov_b32 v100, v77 :: v_dual_mov_b32 v101, v76
	v_dual_mov_b32 v102, v78 :: v_dual_mov_b32 v103, v37
	v_dual_mov_b32 v104, v80 :: v_dual_mov_b32 v105, v81
	v_mov_b32_e32 v108, v84
	v_dual_mov_b32 v16, v17 :: v_dual_mov_b32 v17, v2
	v_dual_mov_b32 v96, v36 :: v_dual_mov_b32 v51, v97
	;; [unrolled: 1-line block ×14, first 2 shown]
.LBB109_123:
	s_or_b32 exec_lo, exec_lo, s2
	s_delay_alu instid0(VALU_DEP_1)
	v_cmp_lt_f32_e32 vcc_lo, v1, v18
	v_dual_mov_b32 v27, v13 :: v_dual_mov_b32 v34, v20
	v_dual_mov_b32 v29, v15 :: v_dual_mov_b32 v36, v22
	v_dual_cndmask_b32 v63, v56, v55 :: v_dual_cndmask_b32 v32, v18, v1
	v_dual_cndmask_b32 v55, v55, v56 :: v_dual_cndmask_b32 v64, v44, v43
	v_dual_cndmask_b32 v43, v43, v44 :: v_dual_mov_b32 v28, v14
	v_dual_cndmask_b32 v31, v17, v18 :: v_dual_mov_b32 v30, v16
	v_dual_mov_b32 v33, v19 :: v_dual_mov_b32 v38, v24
	v_mov_b32_e32 v35, v21
	v_mov_b32_e32 v37, v23
	s_mov_b32 s2, exec_lo
	v_cmpx_lt_f32_e32 v13, v14
	s_cbranch_execz .LBB109_125
; %bb.124:
	s_delay_alu instid0(VALU_DEP_2)
	v_dual_mov_b32 v11, v37 :: v_dual_mov_b32 v12, v38
	v_dual_mov_b32 v1, v28 :: v_dual_mov_b32 v2, v27
	;; [unrolled: 1-line block ×7, first 2 shown]
	s_delay_alu instid0(VALU_DEP_2)
	v_dual_mov_b32 v16, v39 :: v_dual_mov_b32 v35, v9
	v_swap_b32 v51, v52
	v_swap_b32 v39, v40
	v_dual_mov_b32 v37, v11 :: v_dual_mov_b32 v36, v10
	v_dual_mov_b32 v34, v8 :: v_dual_mov_b32 v33, v7
	;; [unrolled: 1-line block ×5, first 2 shown]
	v_mov_b32_e32 v14, v13
.LBB109_125:
	s_or_b32 exec_lo, exec_lo, s2
	v_mov_b32_e32 v44, v64
	v_mov_b32_e32 v56, v63
	v_mov_b32_e32 v1, v39
	v_mov_b32_e32 v3, v41
	v_dual_mov_b32 v15, v51 :: v_dual_mov_b32 v2, v40
	v_dual_mov_b32 v16, v52 :: v_dual_mov_b32 v17, v53
	v_dual_mov_b32 v18, v54 :: v_dual_mov_b32 v19, v55
	v_dual_mov_b32 v20, v56 :: v_dual_mov_b32 v21, v57
	v_dual_mov_b32 v22, v58 :: v_dual_mov_b32 v23, v59
	v_dual_mov_b32 v24, v60 :: v_dual_mov_b32 v25, v61
	v_dual_mov_b32 v26, v62 :: v_dual_mov_b32 v5, v43
	v_dual_mov_b32 v4, v42 :: v_dual_mov_b32 v7, v45
	v_dual_mov_b32 v6, v44 :: v_dual_mov_b32 v9, v47
	v_dual_mov_b32 v8, v46 :: v_dual_mov_b32 v11, v49
	v_dual_mov_b32 v10, v48 :: v_dual_mov_b32 v13, v29
	v_mov_b32_e32 v12, v50
	s_mov_b32 s2, exec_lo
	v_cmpx_lt_f32_e32 v14, v29
	s_cbranch_execz .LBB109_127
; %bb.126:
	v_dual_mov_b32 v1, v39 :: v_dual_mov_b32 v2, v40
	v_dual_mov_b32 v11, v49 :: v_dual_mov_b32 v12, v50
	;; [unrolled: 1-line block ×25, first 2 shown]
	v_mov_b32_e32 v41, v40
.LBB109_127:
	s_or_b32 exec_lo, exec_lo, s2
	v_mov_b32_e32 v39, v30
	s_mov_b32 s2, exec_lo
	v_cmpx_lt_f32_e32 v13, v30
	s_cbranch_execz .LBB109_129
; %bb.128:
	v_dual_mov_b32 v29, v30 :: v_dual_mov_b32 v30, v13
	v_dual_mov_b32 v3, v42 :: v_dual_mov_b32 v4, v41
	;; [unrolled: 1-line block ×11, first 2 shown]
	v_mov_b32_e32 v39, v13
.LBB109_129:
	s_or_b32 exec_lo, exec_lo, s2
	s_delay_alu instid0(VALU_DEP_1)
	v_cmp_lt_f32_e32 vcc_lo, v39, v31
	v_dual_mov_b32 v40, v28 :: v_dual_mov_b32 v45, v33
	v_dual_mov_b32 v44, v32 :: v_dual_mov_b32 v47, v35
	v_dual_cndmask_b32 v13, v19, v18 :: v_dual_cndmask_b32 v18, v18, v19
	v_dual_cndmask_b32 v14, v5, v4 :: v_dual_cndmask_b32 v43, v31, v39
	v_dual_cndmask_b32 v4, v4, v5 :: v_dual_mov_b32 v39, v27
	v_dual_cndmask_b32 v42, v30, v31 :: v_dual_mov_b32 v41, v29
	v_dual_mov_b32 v46, v34 :: v_dual_mov_b32 v49, v37
	v_mov_b32_e32 v48, v36
	v_mov_b32_e32 v50, v38
	s_mov_b32 s2, exec_lo
	v_cmpx_lt_f32_e32 v27, v28
	s_cbranch_execz .LBB109_131
; %bb.130:
	v_dual_mov_b32 v28, v40 :: v_dual_mov_b32 v29, v39
	v_dual_mov_b32 v38, v49 :: v_dual_mov_b32 v39, v50
	;; [unrolled: 1-line block ×7, first 2 shown]
	v_mov_b32_e32 v5, v15
	v_swap_b32 v15, v16
	s_delay_alu instid0(VALU_DEP_4)
	v_mov_b32_e32 v48, v37
	v_swap_b32 v1, v2
	v_dual_mov_b32 v49, v38 :: v_dual_mov_b32 v46, v35
	v_dual_mov_b32 v47, v36 :: v_dual_mov_b32 v44, v33
	;; [unrolled: 1-line block ×4, first 2 shown]
	v_mov_b32_e32 v41, v30
	v_dual_mov_b32 v39, v28 :: v_dual_mov_b32 v28, v27
.LBB109_131:
	s_or_b32 exec_lo, exec_lo, s2
	v_mov_b32_e32 v5, v14
	v_mov_b32_e32 v19, v13
	;; [unrolled: 1-line block ×3, first 2 shown]
	s_mov_b32 s2, exec_lo
	v_cmpx_lt_f32_e32 v28, v41
	s_cbranch_execz .LBB109_133
; %bb.132:
	v_dual_mov_b32 v74, v26 :: v_dual_mov_b32 v73, v25
	v_dual_mov_b32 v62, v12 :: v_dual_mov_b32 v61, v11
	;; [unrolled: 1-line block ×22, first 2 shown]
	v_mov_b32_e32 v74, v26
	v_dual_mov_b32 v40, v41 :: v_dual_mov_b32 v41, v28
	v_dual_mov_b32 v62, v12 :: v_dual_mov_b32 v15, v63
	;; [unrolled: 1-line block ×14, first 2 shown]
.LBB109_133:
	s_or_b32 exec_lo, exec_lo, s2
	s_delay_alu instid0(VALU_DEP_1)
	v_cmp_lt_f32_e32 vcc_lo, v27, v42
	v_dual_mov_b32 v29, v24 :: v_dual_mov_b32 v32, v5
	v_dual_mov_b32 v31, v26 :: v_dual_mov_b32 v34, v7
	v_dual_cndmask_b32 v13, v18, v17 :: v_dual_cndmask_b32 v14, v4, v3
	v_cndmask_b32_e32 v51, v17, v18, vcc_lo
	v_dual_cndmask_b32 v59, v3, v4 :: v_dual_cndmask_b32 v60, v41, v42
	v_dual_cndmask_b32 v3, v42, v27 :: v_dual_mov_b32 v18, v21
	v_cmp_lt_f32_e32 vcc_lo, v39, v40
	v_dual_mov_b32 v4, v19 :: v_dual_mov_b32 v17, v20
	v_dual_mov_b32 v28, v23 :: v_dual_mov_b32 v27, v22
	;; [unrolled: 1-line block ×7, first 2 shown]
	v_mov_b32_e32 v58, v50
	v_dual_mov_b32 v52, v44 :: v_dual_mov_b32 v53, v45
	v_dual_mov_b32 v55, v47 :: v_dual_mov_b32 v56, v48
	v_mov_b32_e32 v57, v49
	s_and_saveexec_b32 s2, vcc_lo
	s_cbranch_execz .LBB109_135
; %bb.134:
	v_dual_mov_b32 v42, v40 :: v_dual_mov_b32 v27, v22
	v_dual_mov_b32 v4, v15 :: v_dual_mov_b32 v17, v20
	;; [unrolled: 1-line block ×3, first 2 shown]
	v_swap_b32 v15, v16
	v_swap_b32 v1, v2
	v_dual_mov_b32 v40, v39 :: v_dual_mov_b32 v29, v24
	v_dual_mov_b32 v4, v19 :: v_dual_mov_b32 v31, v26
	;; [unrolled: 1-line block ×10, first 2 shown]
	v_mov_b32_e32 v52, v44
	v_mov_b32_e32 v54, v46
	;; [unrolled: 1-line block ×4, first 2 shown]
.LBB109_135:
	s_or_b32 exec_lo, exec_lo, s2
	s_clause 0x1
	s_load_b32 s8, s[0:1], 0x28
	s_load_b128 s[4:7], s[0:1], 0x10
	v_mov_b32_e32 v6, 0
	s_waitcnt lgkmcnt(0)
	s_cmp_lt_i32 s8, 1
	s_cbranch_scc1 .LBB109_141
; %bb.136:
	v_cmp_lt_f32_e32 vcc_lo, v40, v60
	v_mov_b32_e32 v7, 0
	s_mov_b32 s9, 0x76543210
	s_mov_b32 s10, s8
	v_mov_b32_e32 v6, 0
	v_cndmask_b32_e32 v8, v60, v40, vcc_lo
	v_cndmask_b32_e32 v19, v61, v60, vcc_lo
	v_dual_cndmask_b32 v5, v59, v2 :: v_dual_cndmask_b32 v2, v2, v59
	v_dual_cndmask_b32 v9, v51, v16 :: v_dual_cndmask_b32 v20, v16, v51
	s_delay_alu instid0(VALU_DEP_3) | instskip(NEXT) | instid1(VALU_DEP_1)
	v_cmp_lt_f32_e64 s2, v39, v19
	v_cndmask_b32_e64 v10, v2, v1, s2
	v_cndmask_b32_e64 v11, v1, v2, s2
	;; [unrolled: 1-line block ×6, first 2 shown]
	v_dual_mov_b32 v20, v0 :: v_dual_mov_b32 v1, 0
	v_mov_b32_e32 v2, 0
.LBB109_137:                            ; =>This Inner Loop Header: Depth=1
	v_cmp_eq_u32_e32 vcc_lo, 1, v7
	v_cmp_eq_u32_e64 s2, 2, v7
	v_dual_cndmask_b32 v21, v16, v12 :: v_dual_cndmask_b32 v22, v11, v10
	s_delay_alu instid0(VALU_DEP_1) | instskip(NEXT) | instid1(VALU_DEP_2)
	v_cndmask_b32_e64 v21, v21, v8, s2
	v_cndmask_b32_e64 v22, v22, v5, s2
	v_cndmask_b32_e32 v23, v15, v19, vcc_lo
	v_cmp_eq_u32_e32 vcc_lo, 3, v7
	s_delay_alu instid0(VALU_DEP_3) | instskip(NEXT) | instid1(VALU_DEP_3)
	v_cndmask_b32_e32 v22, v22, v14, vcc_lo
	v_cndmask_b32_e64 v23, v23, v9, s2
	v_cmp_eq_u32_e64 s2, 4, v7
	s_delay_alu instid0(VALU_DEP_2) | instskip(NEXT) | instid1(VALU_DEP_2)
	v_cndmask_b32_e32 v23, v23, v13, vcc_lo
	v_cndmask_b32_e64 v22, v22, v32, s2
	v_cndmask_b32_e32 v21, v21, v3, vcc_lo
	v_cmp_eq_u32_e32 vcc_lo, 5, v7
	s_delay_alu instid0(VALU_DEP_4) | instskip(NEXT) | instid1(VALU_DEP_4)
	v_cndmask_b32_e64 v23, v23, v4, s2
	v_cndmask_b32_e32 v22, v22, v33, vcc_lo
	s_delay_alu instid0(VALU_DEP_4) | instskip(SKIP_1) | instid1(VALU_DEP_4)
	v_cndmask_b32_e64 v21, v21, v42, s2
	v_cmp_eq_u32_e64 s2, 6, v7
	v_cndmask_b32_e32 v23, v23, v17, vcc_lo
	s_delay_alu instid0(VALU_DEP_3) | instskip(SKIP_1) | instid1(VALU_DEP_4)
	v_cndmask_b32_e32 v21, v21, v52, vcc_lo
	v_cmp_eq_u32_e32 vcc_lo, 7, v7
	v_cndmask_b32_e64 v22, v22, v34, s2
	s_delay_alu instid0(VALU_DEP_4) | instskip(NEXT) | instid1(VALU_DEP_4)
	v_cndmask_b32_e64 v23, v23, v18, s2
	v_cndmask_b32_e64 v21, v21, v53, s2
	v_cmp_eq_u32_e64 s2, 8, v7
	s_delay_alu instid0(VALU_DEP_4) | instskip(NEXT) | instid1(VALU_DEP_4)
	v_cndmask_b32_e32 v22, v22, v35, vcc_lo
	v_cndmask_b32_e32 v23, v23, v27, vcc_lo
	s_delay_alu instid0(VALU_DEP_4) | instskip(SKIP_1) | instid1(VALU_DEP_4)
	v_cndmask_b32_e32 v21, v21, v54, vcc_lo
	v_cmp_eq_u32_e32 vcc_lo, 9, v7
	v_cndmask_b32_e64 v22, v22, v36, s2
	s_delay_alu instid0(VALU_DEP_4) | instskip(NEXT) | instid1(VALU_DEP_4)
	v_cndmask_b32_e64 v23, v23, v28, s2
	v_cndmask_b32_e64 v21, v21, v55, s2
	v_cmp_eq_u32_e64 s2, 10, v7
	s_delay_alu instid0(VALU_DEP_4) | instskip(NEXT) | instid1(VALU_DEP_4)
	v_cndmask_b32_e32 v22, v22, v37, vcc_lo
	v_cndmask_b32_e32 v23, v23, v29, vcc_lo
	s_delay_alu instid0(VALU_DEP_4) | instskip(SKIP_1) | instid1(VALU_DEP_4)
	v_cndmask_b32_e32 v21, v21, v56, vcc_lo
	v_cmp_eq_u32_e32 vcc_lo, 11, v7
	v_cndmask_b32_e64 v22, v22, v38, s2
	s_delay_alu instid0(VALU_DEP_4) | instskip(NEXT) | instid1(VALU_DEP_4)
	v_cndmask_b32_e64 v23, v23, v30, s2
	v_cndmask_b32_e64 v21, v21, v57, s2
	v_cmp_gt_u32_e64 s2, 12, v7
	s_delay_alu instid0(VALU_DEP_2) | instskip(NEXT) | instid1(VALU_DEP_1)
	v_dual_cndmask_b32 v22, v22, v41 :: v_dual_cndmask_b32 v21, v21, v58
	v_cndmask_b32_e64 v24, 0, v22, s2
	s_delay_alu instid0(VALU_DEP_2)
	v_cndmask_b32_e64 v21, 0xff800000, v21, s2
	;;#ASMSTART
	v_max_f32 v25, v21, v21 quad_perm:[1,0,3,2] row_mask:0xf bank_mask:0xf bound_ctrl:1
	;;#ASMEND
	;;#ASMSTART
	v_max_f32 v26, v25, v25 quad_perm:[2,3,0,1] row_mask:0xf bank_mask:0xf bound_ctrl:1
	;;#ASMEND
	;;#ASMSTART
	v_max_f32 v25, v26, v26 row_half_mirror row_mask:0xf bank_mask:0xf bound_ctrl:1
	;;#ASMEND
	;;#ASMSTART
	v_max_f32 v26, v25, v25 row_mirror row_mask:0xf bank_mask:0xf bound_ctrl:1
	;;#ASMEND
	v_permlanex16_b32 v25, v26, s9, 0xfedcba98 op_sel:[1,1]
	s_delay_alu instid0(VALU_DEP_1) | instskip(NEXT) | instid1(VALU_DEP_1)
	v_dual_max_f32 v26, v26, v26 :: v_dual_max_f32 v25, v25, v25
	v_max_f32_e32 v25, v26, v25
	s_delay_alu instid0(VALU_DEP_1) | instskip(SKIP_1) | instid1(VALU_DEP_2)
	v_cmp_eq_f32_e64 s3, v21, v25
	v_cndmask_b32_e32 v21, v23, v31, vcc_lo
	s_ctz_i32_b32 s11, s3
	s_cmp_lg_u32 s3, 0
	s_cselect_b32 s3, s11, 0
	s_add_i32 s10, s10, -1
	v_readlane_b32 s3, v24, s3
	s_delay_alu instid0(VALU_DEP_1)
	v_cmp_eq_u32_e32 vcc_lo, s3, v22
	s_and_b32 vcc_lo, s2, vcc_lo
	s_and_b32 s2, s3, 31
	v_cndmask_b32_e32 v21, 0, v21, vcc_lo
	v_add_co_ci_u32_e32 v7, vcc_lo, 0, v7, vcc_lo
	s_cmp_eq_u32 s10, 0
	s_delay_alu instid0(VALU_DEP_2) | instskip(SKIP_2) | instid1(VALU_DEP_3)
	v_readlane_b32 s11, v21, s2
	v_cmp_eq_u32_e64 s2, 0, v20
	v_add_nc_u32_e32 v20, -1, v20
	v_add_f32_e32 v6, s11, v6
	s_delay_alu instid0(VALU_DEP_3)
	v_cndmask_b32_e64 v2, v2, s11, s2
	v_cndmask_b32_e64 v1, v1, s3, s2
	s_cbranch_scc0 .LBB109_137
; %bb.138:
	s_mov_b32 s2, exec_lo
	v_cmpx_gt_i32_e64 s8, v0
	s_cbranch_execz .LBB109_140
.LBB109_139:
	s_load_b32 s2, s[0:1], 0x30
	v_max_f32_e32 v0, v6, v6
	s_load_b64 s[0:1], s[0:1], 0x20
	s_ashr_i32 s3, s15, 31
	s_delay_alu instid0(VALU_DEP_1) | instskip(SKIP_1) | instid1(VALU_DEP_1)
	v_max_f32_e32 v0, 0x1e3ce508, v0
	s_waitcnt lgkmcnt(0)
	v_div_scale_f32 v3, null, v0, v0, s2
	v_div_scale_f32 v6, vcc_lo, s2, v0, s2
	s_mul_i32 s1, s15, s1
	s_delay_alu instid0(VALU_DEP_2)
	v_rcp_f32_e32 v4, v3
	s_mul_hi_u32 s8, s15, s0
	s_mul_i32 s3, s3, s0
	s_add_i32 s1, s8, s1
	s_mul_i32 s0, s15, s0
	s_add_i32 s1, s1, s3
	s_delay_alu instid0(SALU_CYCLE_1) | instskip(SKIP_2) | instid1(VALU_DEP_1)
	s_lshl_b64 s[0:1], s[0:1], 2
	s_waitcnt_depctr 0xfff
	v_fma_f32 v5, -v3, v4, 1.0
	v_fmac_f32_e32 v4, v5, v4
	s_delay_alu instid0(VALU_DEP_1) | instskip(NEXT) | instid1(VALU_DEP_1)
	v_mul_f32_e32 v5, v6, v4
	v_fma_f32 v7, -v3, v5, v6
	s_delay_alu instid0(VALU_DEP_1) | instskip(NEXT) | instid1(VALU_DEP_1)
	v_fmac_f32_e32 v5, v7, v4
	v_fma_f32 v3, -v3, v5, v6
	s_delay_alu instid0(VALU_DEP_1) | instskip(NEXT) | instid1(VALU_DEP_1)
	v_div_fmas_f32 v3, v3, v4, v5
	v_div_fixup_f32 v0, v3, v0, s2
	s_add_u32 s2, s4, s0
	s_addc_u32 s3, s5, s1
	s_add_u32 s0, s6, s0
	s_addc_u32 s1, s7, s1
	v_mul_f32_e32 v0, v2, v0
	s_clause 0x1
	global_store_b32 v183, v0, s[2:3]
	global_store_b32 v183, v1, s[0:1]
.LBB109_140:
	s_endpgm
.LBB109_141:
	v_dual_mov_b32 v1, 0 :: v_dual_mov_b32 v2, 0
	s_mov_b32 s2, exec_lo
	v_cmpx_gt_i32_e64 s8, v0
	s_cbranch_execnz .LBB109_139
	s_branch .LBB109_140
	.section	.rodata,"a",@progbits
	.p2align	6, 0x0
	.amdhsa_kernel _ZN5aiter24topk_softplus_kernel_optI6__halffLi384ELb1ELi1EEEvPKT_PKT0_PfPimiif
		.amdhsa_group_segment_fixed_size 0
		.amdhsa_private_segment_fixed_size 196
		.amdhsa_kernarg_size 52
		.amdhsa_user_sgpr_count 15
		.amdhsa_user_sgpr_dispatch_ptr 0
		.amdhsa_user_sgpr_queue_ptr 0
		.amdhsa_user_sgpr_kernarg_segment_ptr 1
		.amdhsa_user_sgpr_dispatch_id 0
		.amdhsa_user_sgpr_private_segment_size 0
		.amdhsa_wavefront_size32 1
		.amdhsa_uses_dynamic_stack 0
		.amdhsa_enable_private_segment 1
		.amdhsa_system_sgpr_workgroup_id_x 1
		.amdhsa_system_sgpr_workgroup_id_y 0
		.amdhsa_system_sgpr_workgroup_id_z 0
		.amdhsa_system_sgpr_workgroup_info 0
		.amdhsa_system_vgpr_workitem_id 0
		.amdhsa_next_free_vgpr 184
		.amdhsa_next_free_sgpr 16
		.amdhsa_reserve_vcc 1
		.amdhsa_float_round_mode_32 0
		.amdhsa_float_round_mode_16_64 0
		.amdhsa_float_denorm_mode_32 3
		.amdhsa_float_denorm_mode_16_64 3
		.amdhsa_dx10_clamp 1
		.amdhsa_ieee_mode 1
		.amdhsa_fp16_overflow 0
		.amdhsa_workgroup_processor_mode 1
		.amdhsa_memory_ordered 1
		.amdhsa_forward_progress 0
		.amdhsa_shared_vgpr_count 0
		.amdhsa_exception_fp_ieee_invalid_op 0
		.amdhsa_exception_fp_denorm_src 0
		.amdhsa_exception_fp_ieee_div_zero 0
		.amdhsa_exception_fp_ieee_overflow 0
		.amdhsa_exception_fp_ieee_underflow 0
		.amdhsa_exception_fp_ieee_inexact 0
		.amdhsa_exception_int_div_zero 0
	.end_amdhsa_kernel
	.section	.text._ZN5aiter24topk_softplus_kernel_optI6__halffLi384ELb1ELi1EEEvPKT_PKT0_PfPimiif,"axG",@progbits,_ZN5aiter24topk_softplus_kernel_optI6__halffLi384ELb1ELi1EEEvPKT_PKT0_PfPimiif,comdat
.Lfunc_end109:
	.size	_ZN5aiter24topk_softplus_kernel_optI6__halffLi384ELb1ELi1EEEvPKT_PKT0_PfPimiif, .Lfunc_end109-_ZN5aiter24topk_softplus_kernel_optI6__halffLi384ELb1ELi1EEEvPKT_PKT0_PfPimiif
                                        ; -- End function
	.section	.AMDGPU.csdata,"",@progbits
; Kernel info:
; codeLenInByte = 28048
; NumSgprs: 18
; NumVgprs: 184
; ScratchSize: 196
; MemoryBound: 0
; FloatMode: 240
; IeeeMode: 1
; LDSByteSize: 0 bytes/workgroup (compile time only)
; SGPRBlocks: 2
; VGPRBlocks: 22
; NumSGPRsForWavesPerEU: 18
; NumVGPRsForWavesPerEU: 184
; Occupancy: 8
; WaveLimiterHint : 0
; COMPUTE_PGM_RSRC2:SCRATCH_EN: 1
; COMPUTE_PGM_RSRC2:USER_SGPR: 15
; COMPUTE_PGM_RSRC2:TRAP_HANDLER: 0
; COMPUTE_PGM_RSRC2:TGID_X_EN: 1
; COMPUTE_PGM_RSRC2:TGID_Y_EN: 0
; COMPUTE_PGM_RSRC2:TGID_Z_EN: 0
; COMPUTE_PGM_RSRC2:TIDIG_COMP_CNT: 0
	.section	.text._ZN5aiter24topk_softplus_kernel_optI6__halffLi384ELb0ELi1EEEvPKT_PKT0_PfPimiif,"axG",@progbits,_ZN5aiter24topk_softplus_kernel_optI6__halffLi384ELb0ELi1EEEvPKT_PKT0_PfPimiif,comdat
	.protected	_ZN5aiter24topk_softplus_kernel_optI6__halffLi384ELb0ELi1EEEvPKT_PKT0_PfPimiif ; -- Begin function _ZN5aiter24topk_softplus_kernel_optI6__halffLi384ELb0ELi1EEEvPKT_PKT0_PfPimiif
	.globl	_ZN5aiter24topk_softplus_kernel_optI6__halffLi384ELb0ELi1EEEvPKT_PKT0_PfPimiif
	.p2align	8
	.type	_ZN5aiter24topk_softplus_kernel_optI6__halffLi384ELb0ELi1EEEvPKT_PKT0_PfPimiif,@function
_ZN5aiter24topk_softplus_kernel_optI6__halffLi384ELb0ELi1EEEvPKT_PKT0_PfPimiif: ; @_ZN5aiter24topk_softplus_kernel_optI6__halffLi384ELb0ELi1EEEvPKT_PKT0_PfPimiif
; %bb.0:
	s_load_b128 s[4:7], s[0:1], 0x0
	s_mul_i32 s2, s15, 0x180
	v_lshlrev_b32_e32 v1, 1, v0
	s_ashr_i32 s3, s2, 31
	v_lshlrev_b32_e32 v183, 2, v0
	s_lshl_b64 s[2:3], s[2:3], 1
	s_waitcnt lgkmcnt(0)
	s_add_u32 s4, s4, s2
	s_addc_u32 s5, s5, s3
	s_mov_b32 s3, 0xbfb8aa3b
	global_load_u16 v2, v1, s[4:5]
	s_cmp_lg_u64 s[6:7], 0
	s_cselect_b32 s2, -1, 0
	s_waitcnt vmcnt(0)
	v_cvt_f32_f16_e32 v3, v2
	s_delay_alu instid0(VALU_DEP_1) | instskip(NEXT) | instid1(VALU_DEP_1)
	v_mul_f32_e32 v3, 0xbfb8aa3b, v3
	v_cmp_gt_f32_e32 vcc_lo, 0xc2fc0000, v3
	v_cndmask_b32_e64 v3, 0, 0x42800000, vcc_lo
	s_delay_alu instid0(VALU_DEP_1) | instskip(SKIP_2) | instid1(VALU_DEP_2)
	v_fma_mix_f32 v2, v2, s3, v3 op_sel_hi:[1,0,0]
	v_cndmask_b32_e64 v3, 1.0, 0x1f800000, vcc_lo
	s_and_b32 vcc_lo, exec_lo, s2
	v_exp_f32_e32 v2, v2
	s_waitcnt_depctr 0xfff
	v_fma_f32 v2, v2, v3, 1.0
	s_delay_alu instid0(VALU_DEP_1) | instskip(SKIP_3) | instid1(VALU_DEP_1)
	v_rcp_f32_e32 v37, v2
	s_waitcnt_depctr 0xfff
	v_mov_b32_e32 v48, v37
	v_add_co_u32 v1, s4, s4, v1
	v_add_co_ci_u32_e64 v2, null, s5, 0, s4
	s_cbranch_vccz .LBB110_2
; %bb.1:
	global_load_b32 v3, v183, s[6:7]
	s_waitcnt vmcnt(0)
	v_add_f32_e32 v48, v37, v3
.LBB110_2:
	global_load_u16 v3, v[1:2], off offset:64
	s_waitcnt vmcnt(0)
	v_cvt_f32_f16_e32 v4, v3
	s_delay_alu instid0(VALU_DEP_1) | instskip(NEXT) | instid1(VALU_DEP_1)
	v_mul_f32_e32 v4, 0xbfb8aa3b, v4
	v_cmp_gt_f32_e32 vcc_lo, 0xc2fc0000, v4
	v_cndmask_b32_e64 v5, 0, 0x42800000, vcc_lo
	v_cndmask_b32_e64 v4, 1.0, 0x1f800000, vcc_lo
	s_and_not1_b32 vcc_lo, exec_lo, s2
	s_delay_alu instid0(VALU_DEP_2) | instskip(NEXT) | instid1(VALU_DEP_1)
	v_fma_mix_f32 v3, v3, s3, v5 op_sel_hi:[1,0,0]
	v_exp_f32_e32 v3, v3
	s_waitcnt_depctr 0xfff
	v_fma_f32 v3, v3, v4, 1.0
	s_delay_alu instid0(VALU_DEP_1)
	v_rcp_f32_e32 v14, v3
	v_cndmask_b32_e64 v3, 0, 1, s2
	s_waitcnt_depctr 0xfff
	v_mov_b32_e32 v49, v14
	s_cbranch_vccnz .LBB110_4
; %bb.3:
	global_load_b32 v4, v183, s[6:7] offset:128
	s_waitcnt vmcnt(0)
	v_add_f32_e32 v49, v14, v4
.LBB110_4:
	global_load_u16 v4, v[1:2], off offset:128
	s_mov_b32 s2, 0xbfb8aa3b
	s_waitcnt vmcnt(0)
	v_cvt_f32_f16_e32 v5, v4
	s_delay_alu instid0(VALU_DEP_1) | instskip(NEXT) | instid1(VALU_DEP_1)
	v_mul_f32_e32 v5, 0xbfb8aa3b, v5
	v_cmp_gt_f32_e32 vcc_lo, 0xc2fc0000, v5
	v_cndmask_b32_e64 v6, 0, 0x42800000, vcc_lo
	v_cndmask_b32_e64 v5, 1.0, 0x1f800000, vcc_lo
	v_cmp_ne_u32_e32 vcc_lo, 1, v3
	s_delay_alu instid0(VALU_DEP_3) | instskip(SKIP_1) | instid1(VALU_DEP_1)
	v_fma_mix_f32 v4, v4, s2, v6 op_sel_hi:[1,0,0]
	s_and_b32 vcc_lo, exec_lo, vcc_lo
	v_exp_f32_e32 v4, v4
	s_waitcnt_depctr 0xfff
	v_fma_f32 v4, v4, v5, 1.0
	s_delay_alu instid0(VALU_DEP_1)
	v_rcp_f32_e32 v15, v4
	s_waitcnt_depctr 0xfff
	v_mov_b32_e32 v50, v15
	s_cbranch_vccnz .LBB110_6
; %bb.5:
	global_load_b32 v4, v183, s[6:7] offset:256
	s_waitcnt vmcnt(0)
	v_add_f32_e32 v50, v15, v4
.LBB110_6:
	global_load_u16 v4, v[1:2], off offset:192
	s_waitcnt vmcnt(0)
	v_cvt_f32_f16_e32 v5, v4
	s_delay_alu instid0(VALU_DEP_1) | instskip(NEXT) | instid1(VALU_DEP_1)
	v_mul_f32_e32 v5, 0xbfb8aa3b, v5
	v_cmp_gt_f32_e32 vcc_lo, 0xc2fc0000, v5
	v_cndmask_b32_e64 v6, 0, 0x42800000, vcc_lo
	v_cndmask_b32_e64 v5, 1.0, 0x1f800000, vcc_lo
	v_cmp_ne_u32_e32 vcc_lo, 1, v3
	s_delay_alu instid0(VALU_DEP_3) | instskip(SKIP_1) | instid1(VALU_DEP_1)
	v_fma_mix_f32 v4, v4, s2, v6 op_sel_hi:[1,0,0]
	s_and_b32 vcc_lo, exec_lo, vcc_lo
	v_exp_f32_e32 v4, v4
	s_waitcnt_depctr 0xfff
	v_fma_f32 v4, v4, v5, 1.0
	s_delay_alu instid0(VALU_DEP_1)
	v_rcp_f32_e32 v16, v4
	s_waitcnt_depctr 0xfff
	v_mov_b32_e32 v51, v16
	s_cbranch_vccnz .LBB110_8
; %bb.7:
	global_load_b32 v4, v183, s[6:7] offset:384
	s_waitcnt vmcnt(0)
	v_add_f32_e32 v51, v16, v4
.LBB110_8:
	global_load_u16 v4, v[1:2], off offset:256
	;; [unrolled: 25-line block ×9, first 2 shown]
	s_waitcnt vmcnt(0)
	v_cvt_f32_f16_e32 v2, v1
	s_delay_alu instid0(VALU_DEP_1) | instskip(NEXT) | instid1(VALU_DEP_1)
	v_mul_f32_e32 v2, 0xbfb8aa3b, v2
	v_cmp_gt_f32_e32 vcc_lo, 0xc2fc0000, v2
	v_cndmask_b32_e64 v4, 0, 0x42800000, vcc_lo
	v_cndmask_b32_e64 v2, 1.0, 0x1f800000, vcc_lo
	v_cmp_ne_u32_e32 vcc_lo, 1, v3
	s_delay_alu instid0(VALU_DEP_3) | instskip(NEXT) | instid1(VALU_DEP_1)
	v_fma_mix_f32 v1, v1, s2, v4 op_sel_hi:[1,0,0]
	v_exp_f32_e32 v1, v1
	s_waitcnt_depctr 0xfff
	v_fma_f32 v1, v1, v2, 1.0
	s_delay_alu instid0(VALU_DEP_1)
	v_rcp_f32_e32 v24, v1
	s_cbranch_vccnz .LBB110_24
; %bb.23:
	global_load_b32 v1, v183, s[6:7] offset:1408
	s_waitcnt vmcnt(0)
	v_add_f32_e32 v59, v24, v1
	s_branch .LBB110_25
.LBB110_24:
	s_waitcnt_depctr 0xfff
	v_mov_b32_e32 v59, v24
.LBB110_25:
	v_dual_mov_b32 v1, v48 :: v_dual_add_nc_u32 v26, 32, v0
	v_dual_mov_b32 v2, v49 :: v_dual_add_nc_u32 v27, 64, v0
	;; [unrolled: 1-line block ×11, first 2 shown]
	v_dual_mov_b32 v12, v59 :: v_dual_mov_b32 v13, v37
	v_mov_b32_e32 v25, v0
	s_mov_b32 s2, exec_lo
	v_cmpx_lt_f32_e32 v48, v49
	s_xor_b32 s2, exec_lo, s2
; %bb.26:
	v_dual_mov_b32 v1, v49 :: v_dual_mov_b32 v2, v48
	v_dual_mov_b32 v3, v50 :: v_dual_mov_b32 v4, v51
	;; [unrolled: 1-line block ×6, first 2 shown]
	v_mov_b32_e32 v49, v48
	v_dual_mov_b32 v13, v14 :: v_dual_mov_b32 v14, v37
	v_dual_mov_b32 v25, v26 :: v_dual_mov_b32 v26, v0
; %bb.27:
	s_or_b32 exec_lo, exec_lo, s2
	v_dual_mov_b32 v122, v24 :: v_dual_mov_b32 v119, v21
	v_dual_mov_b32 v86, v24 :: v_dual_mov_b32 v85, v23
	;; [unrolled: 1-line block ×37, first 2 shown]
	s_clause 0x8
	scratch_store_b128 off, v[13:16], off
	scratch_store_b128 off, v[17:20], off offset:16
	scratch_store_b128 off, v[21:24], off offset:32
	;; [unrolled: 1-line block ×8, first 2 shown]
	v_dual_mov_b32 v72, v34 :: v_dual_mov_b32 v69, v31
	v_dual_mov_b32 v70, v32 :: v_dual_mov_b32 v67, v29
	;; [unrolled: 1-line block ×29, first 2 shown]
	v_mov_b32_e32 v160, v26
	s_clause 0x2
	scratch_store_b128 off, v[25:28], off offset:144
	scratch_store_b128 off, v[29:32], off offset:160
	;; [unrolled: 1-line block ×3, first 2 shown]
	s_mov_b32 s2, exec_lo
	v_dual_mov_b32 v182, v36 :: v_dual_mov_b32 v179, v33
	v_dual_mov_b32 v181, v35 :: v_dual_mov_b32 v180, v34
	;; [unrolled: 1-line block ×6, first 2 shown]
	v_cmpx_lt_f32_e32 v49, v3
	s_cbranch_execz .LBB110_29
; %bb.28:
	v_dual_mov_b32 v182, v36 :: v_dual_mov_b32 v179, v33
	v_dual_mov_b32 v174, v28 :: v_dual_mov_b32 v171, v25
	;; [unrolled: 1-line block ×3, first 2 shown]
	v_mov_b32_e32 v172, v26
	v_dual_mov_b32 v62, v49 :: v_dual_mov_b32 v181, v35
	v_dual_mov_b32 v180, v34 :: v_dual_mov_b32 v177, v31
	;; [unrolled: 1-line block ×11, first 2 shown]
	v_mov_b32_e32 v125, v14
	v_dual_mov_b32 v162, v174 :: v_dual_mov_b32 v163, v175
	v_dual_mov_b32 v164, v176 :: v_dual_mov_b32 v165, v177
	v_dual_mov_b32 v160, v172 :: v_dual_mov_b32 v161, v173
	v_dual_mov_b32 v166, v178 :: v_dual_mov_b32 v167, v179
	v_dual_mov_b32 v168, v180 :: v_dual_mov_b32 v169, v181
	v_mov_b32_e32 v162, v28
	v_dual_mov_b32 v170, v182 :: v_dual_mov_b32 v37, v159
	s_clause 0x2
	scratch_store_b128 off, v[123:126], off offset:96
	scratch_store_b128 off, v[127:130], off offset:112
	;; [unrolled: 1-line block ×3, first 2 shown]
	v_dual_mov_b32 v42, v164 :: v_dual_mov_b32 v47, v169
	v_dual_mov_b32 v126, v16 :: v_dual_mov_b32 v45, v167
	;; [unrolled: 1-line block ×5, first 2 shown]
	v_mov_b32_e32 v38, v160
	v_mov_b32_e32 v40, v162
	s_clause 0x2
	scratch_store_b128 off, v[37:40], off offset:144
	scratch_store_b128 off, v[41:44], off offset:160
	;; [unrolled: 1-line block ×3, first 2 shown]
	v_dual_mov_b32 v2, v3 :: v_dual_mov_b32 v3, v49
	v_mov_b32_e32 v147, v159
	v_mov_b32_e32 v127, v17
	;; [unrolled: 1-line block ×3, first 2 shown]
	v_dual_mov_b32 v151, v163 :: v_dual_mov_b32 v148, v160
	v_dual_mov_b32 v153, v165 :: v_dual_mov_b32 v152, v164
	;; [unrolled: 1-line block ×3, first 2 shown]
	v_mov_b32_e32 v158, v170
	v_dual_mov_b32 v150, v162 :: v_dual_mov_b32 v155, v167
	v_mov_b32_e32 v156, v168
	v_mov_b32_e32 v152, v30
	;; [unrolled: 1-line block ×3, first 2 shown]
	v_dual_mov_b32 v27, v26 :: v_dual_mov_b32 v42, v128
	v_mov_b32_e32 v37, v123
	v_dual_mov_b32 v43, v129 :: v_dual_mov_b32 v44, v130
	v_mov_b32_e32 v39, v125
	v_dual_mov_b32 v45, v131 :: v_dual_mov_b32 v46, v132
	v_dual_mov_b32 v47, v133 :: v_dual_mov_b32 v48, v134
	v_mov_b32_e32 v38, v124
	v_mov_b32_e32 v40, v126
	s_clause 0x2
	scratch_store_b128 off, v[37:40], off offset:48
	scratch_store_b128 off, v[41:44], off offset:64
	scratch_store_b128 off, v[45:48], off offset:80
	v_mov_b32_e32 v37, v123
	v_mov_b32_e32 v39, v125
	v_dual_mov_b32 v41, v127 :: v_dual_mov_b32 v38, v124
	v_mov_b32_e32 v99, v147
	v_mov_b32_e32 v105, v153
	v_dual_mov_b32 v105, v31 :: v_dual_mov_b32 v106, v154
	v_dual_mov_b32 v40, v126 :: v_dual_mov_b32 v101, v149
	;; [unrolled: 1-line block ×3, first 2 shown]
	v_mov_b32_e32 v110, v158
	v_mov_b32_e32 v50, v123
	v_dual_mov_b32 v100, v148 :: v_dual_mov_b32 v107, v155
	v_dual_mov_b32 v102, v150 :: v_dual_mov_b32 v109, v157
	;; [unrolled: 1-line block ×7, first 2 shown]
	v_mov_b32_e32 v58, v131
	v_mov_b32_e32 v56, v19
	s_clause 0x2
	scratch_store_b128 off, v[37:40], off
	scratch_store_b128 off, v[41:44], off offset:16
	scratch_store_b128 off, v[45:48], off offset:32
	v_dual_mov_b32 v60, v133 :: v_dual_mov_b32 v55, v128
	v_mov_b32_e32 v37, v99
	v_mov_b32_e32 v41, v103
	;; [unrolled: 1-line block ×3, first 2 shown]
	v_dual_mov_b32 v43, v105 :: v_dual_mov_b32 v48, v110
	v_dual_mov_b32 v38, v100 :: v_dual_mov_b32 v45, v107
	v_mov_b32_e32 v44, v106
	v_dual_mov_b32 v122, v61 :: v_dual_mov_b32 v113, v52
	v_dual_mov_b32 v40, v102 :: v_dual_mov_b32 v47, v109
	;; [unrolled: 1-line block ×7, first 2 shown]
	v_mov_b32_e32 v114, v53
	v_mov_b32_e32 v116, v55
	v_mov_b32_e32 v112, v51
	v_mov_b32_e32 v118, v20
	v_dual_mov_b32 v98, v48 :: v_dual_mov_b32 v95, v45
	v_mov_b32_e32 v95, v33
	v_mov_b32_e32 v93, v43
	;; [unrolled: 1-line block ×4, first 2 shown]
	v_dual_mov_b32 v87, v37 :: v_dual_mov_b32 v146, v122
	v_dual_mov_b32 v137, v113 :: v_dual_mov_b32 v96, v46
	;; [unrolled: 1-line block ×3, first 2 shown]
	v_mov_b32_e32 v135, v111
	v_dual_mov_b32 v97, v47 :: v_dual_mov_b32 v94, v44
	v_dual_mov_b32 v92, v42 :: v_dual_mov_b32 v143, v119
	;; [unrolled: 1-line block ×4, first 2 shown]
	v_mov_b32_e32 v138, v114
	v_dual_mov_b32 v142, v118 :: v_dual_mov_b32 v143, v21
	v_dual_mov_b32 v140, v116 :: v_dual_mov_b32 v63, v87
	;; [unrolled: 1-line block ×8, first 2 shown]
	v_mov_b32_e32 v86, v146
	v_dual_mov_b32 v64, v88 :: v_dual_mov_b32 v69, v93
	v_dual_mov_b32 v66, v90 :: v_dual_mov_b32 v71, v95
	;; [unrolled: 1-line block ×7, first 2 shown]
	v_mov_b32_e32 v82, v142
	v_mov_b32_e32 v84, v22
	;; [unrolled: 1-line block ×3, first 2 shown]
.LBB110_29:
	s_or_b32 exec_lo, exec_lo, s2
	v_mov_b32_e32 v13, v4
	s_mov_b32 s2, exec_lo
	v_cmpx_lt_f32_e32 v62, v4
	s_cbranch_execz .LBB110_31
; %bb.30:
	s_clause 0x2
	scratch_load_b128 v[37:40], off, off offset:96
	scratch_load_b128 v[41:44], off, off offset:112
	scratch_load_b128 v[45:48], off, off offset:128
	v_dual_mov_b32 v173, v28 :: v_dual_mov_b32 v28, v27
	v_mov_b32_e32 v3, v4
	s_waitcnt vmcnt(0)
	v_dual_mov_b32 v13, v62 :: v_dual_mov_b32 v134, v48
	v_dual_mov_b32 v133, v47 :: v_dual_mov_b32 v124, v38
	;; [unrolled: 1-line block ×3, first 2 shown]
	v_mov_b32_e32 v125, v16
	v_dual_mov_b32 v159, v171 :: v_dual_mov_b32 v160, v172
	s_delay_alu instid0(VALU_DEP_3) | instskip(NEXT) | instid1(VALU_DEP_3)
	v_dual_mov_b32 v162, v174 :: v_dual_mov_b32 v37, v123
	v_dual_mov_b32 v38, v124 :: v_dual_mov_b32 v39, v125
	;; [unrolled: 1-line block ×5, first 2 shown]
	v_mov_b32_e32 v126, v15
	s_clause 0x2
	scratch_store_b128 off, v[37:40], off offset:96
	scratch_store_b128 off, v[41:44], off offset:112
	;; [unrolled: 1-line block ×3, first 2 shown]
	v_dual_mov_b32 v161, v173 :: v_dual_mov_b32 v164, v176
	v_dual_mov_b32 v167, v179 :: v_dual_mov_b32 v170, v182
	;; [unrolled: 1-line block ×5, first 2 shown]
	s_delay_alu instid0(VALU_DEP_2) | instskip(SKIP_2) | instid1(VALU_DEP_4)
	v_dual_mov_b32 v42, v164 :: v_dual_mov_b32 v43, v165
	v_dual_mov_b32 v48, v170 :: v_dual_mov_b32 v37, v159
	;; [unrolled: 1-line block ×6, first 2 shown]
	s_clause 0x2
	scratch_store_b128 off, v[37:40], off offset:144
	scratch_store_b128 off, v[41:44], off offset:160
	;; [unrolled: 1-line block ×3, first 2 shown]
	v_dual_mov_b32 v42, v128 :: v_dual_mov_b32 v43, v129
	v_dual_mov_b32 v48, v134 :: v_dual_mov_b32 v37, v123
	;; [unrolled: 1-line block ×6, first 2 shown]
	s_clause 0x2
	scratch_store_b128 off, v[37:40], off offset:48
	scratch_store_b128 off, v[41:44], off offset:64
	;; [unrolled: 1-line block ×3, first 2 shown]
	v_dual_mov_b32 v147, v159 :: v_dual_mov_b32 v148, v160
	v_dual_mov_b32 v151, v163 :: v_dual_mov_b32 v152, v164
	;; [unrolled: 1-line block ×10, first 2 shown]
	s_delay_alu instid0(VALU_DEP_4)
	v_dual_mov_b32 v106, v154 :: v_dual_mov_b32 v107, v155
	v_mov_b32_e32 v110, v158
	v_dual_mov_b32 v100, v148 :: v_dual_mov_b32 v101, v149
	v_dual_mov_b32 v104, v152 :: v_dual_mov_b32 v105, v153
	;; [unrolled: 1-line block ×5, first 2 shown]
	v_mov_b32_e32 v61, v134
	s_clause 0x2
	scratch_store_b128 off, v[37:40], off
	scratch_store_b128 off, v[41:44], off offset:16
	scratch_store_b128 off, v[45:48], off offset:32
	v_dual_mov_b32 v54, v127 :: v_dual_mov_b32 v55, v128
	v_dual_mov_b32 v56, v129 :: v_dual_mov_b32 v57, v130
	;; [unrolled: 1-line block ×8, first 2 shown]
	v_mov_b32_e32 v48, v110
	v_mov_b32_e32 v44, v32
	v_dual_mov_b32 v42, v104 :: v_dual_mov_b32 v43, v105
	v_dual_mov_b32 v46, v108 :: v_dual_mov_b32 v47, v109
	;; [unrolled: 1-line block ×9, first 2 shown]
	v_mov_b32_e32 v114, v53
	v_mov_b32_e32 v112, v51
	v_dual_mov_b32 v98, v48 :: v_dual_mov_b32 v91, v41
	v_dual_mov_b32 v94, v44 :: v_dual_mov_b32 v87, v37
	;; [unrolled: 1-line block ×3, first 2 shown]
	v_mov_b32_e32 v89, v39
	v_mov_b32_e32 v95, v45
	v_dual_mov_b32 v93, v43 :: v_dual_mov_b32 v146, v122
	v_dual_mov_b32 v143, v119 :: v_dual_mov_b32 v140, v116
	;; [unrolled: 1-line block ×15, first 2 shown]
	v_mov_b32_e32 v86, v146
	v_dual_mov_b32 v64, v88 :: v_dual_mov_b32 v65, v89
	v_dual_mov_b32 v66, v90 :: v_dual_mov_b32 v67, v91
	;; [unrolled: 1-line block ×8, first 2 shown]
	v_mov_b32_e32 v84, v22
	v_mov_b32_e32 v86, v24
.LBB110_31:
	s_or_b32 exec_lo, exec_lo, s2
	v_mov_b32_e32 v14, v5
	s_mov_b32 s2, exec_lo
	v_cmpx_lt_f32_e32 v13, v5
	s_cbranch_execz .LBB110_33
; %bb.32:
	s_clause 0x2
	scratch_load_b128 v[37:40], off, off offset:96
	scratch_load_b128 v[41:44], off, off offset:112
	;; [unrolled: 1-line block ×3, first 2 shown]
	v_mov_b32_e32 v174, v29
	v_mov_b32_e32 v14, v13
	;; [unrolled: 1-line block ×3, first 2 shown]
	v_dual_mov_b32 v17, v16 :: v_dual_mov_b32 v4, v5
	v_mov_b32_e32 v29, v28
	s_waitcnt vmcnt(0)
	v_dual_mov_b32 v73, v48 :: v_dual_mov_b32 v64, v39
	v_dual_mov_b32 v70, v45 :: v_dual_mov_b32 v69, v44
	;; [unrolled: 1-line block ×18, first 2 shown]
	v_mov_b32_e32 v127, v16
	v_dual_mov_b32 v147, v159 :: v_dual_mov_b32 v148, v160
	v_dual_mov_b32 v149, v161 :: v_dual_mov_b32 v152, v164
	;; [unrolled: 1-line block ×19, first 2 shown]
	v_mov_b32_e32 v61, v134
	s_clause 0x2
	scratch_store_b128 off, v[37:40], off
	scratch_store_b128 off, v[41:44], off offset:16
	scratch_store_b128 off, v[45:48], off offset:32
	v_dual_mov_b32 v53, v126 :: v_dual_mov_b32 v54, v127
	v_dual_mov_b32 v101, v149 :: v_dual_mov_b32 v102, v150
	;; [unrolled: 1-line block ×10, first 2 shown]
	v_mov_b32_e32 v46, v108
	v_dual_mov_b32 v122, v61 :: v_dual_mov_b32 v121, v60
	v_dual_mov_b32 v43, v105 :: v_dual_mov_b32 v44, v106
	;; [unrolled: 1-line block ×8, first 2 shown]
	v_mov_b32_e32 v112, v51
	v_mov_b32_e32 v118, v20
	v_dual_mov_b32 v98, v48 :: v_dual_mov_b32 v93, v43
	v_dual_mov_b32 v92, v42 :: v_dual_mov_b32 v87, v37
	v_mov_b32_e32 v97, v47
	v_dual_mov_b32 v95, v45 :: v_dual_mov_b32 v146, v122
	v_dual_mov_b32 v143, v119 :: v_dual_mov_b32 v138, v114
	;; [unrolled: 1-line block ×7, first 2 shown]
	v_mov_b32_e32 v89, v39
	s_clause 0x5
	scratch_store_b128 off, v[62:65], off offset:48
	scratch_store_b128 off, v[66:69], off offset:64
	;; [unrolled: 1-line block ×6, first 2 shown]
	v_dual_mov_b32 v142, v118 :: v_dual_mov_b32 v139, v115
	v_dual_mov_b32 v140, v116 :: v_dual_mov_b32 v137, v113
	;; [unrolled: 1-line block ×17, first 2 shown]
	v_mov_b32_e32 v84, v22
	v_mov_b32_e32 v86, v24
.LBB110_33:
	s_or_b32 exec_lo, exec_lo, s2
	v_mov_b32_e32 v13, v6
	s_mov_b32 s2, exec_lo
	v_cmpx_lt_f32_e32 v14, v6
	s_cbranch_execz .LBB110_35
; %bb.34:
	s_clause 0x2
	scratch_load_b128 v[37:40], off, off offset:144
	scratch_load_b128 v[41:44], off, off offset:160
	;; [unrolled: 1-line block ×3, first 2 shown]
	v_mov_b32_e32 v5, v6
	s_waitcnt vmcnt(0)
	v_dual_mov_b32 v13, v14 :: v_dual_mov_b32 v170, v48
	v_dual_mov_b32 v169, v47 :: v_dual_mov_b32 v162, v40
	;; [unrolled: 1-line block ×6, first 2 shown]
	s_clause 0x2
	scratch_load_b128 v[37:40], off, off offset:48
	scratch_load_b128 v[41:44], off, off offset:64
	;; [unrolled: 1-line block ×3, first 2 shown]
	v_dual_mov_b32 v163, v30 :: v_dual_mov_b32 v30, v29
	s_waitcnt vmcnt(0)
	v_dual_mov_b32 v73, v48 :: v_dual_mov_b32 v72, v47
	v_dual_mov_b32 v65, v40 :: v_dual_mov_b32 v62, v37
	v_mov_b32_e32 v63, v38
	v_dual_mov_b32 v67, v42 :: v_dual_mov_b32 v64, v39
	v_dual_mov_b32 v71, v46 :: v_dual_mov_b32 v70, v45
	;; [unrolled: 1-line block ×4, first 2 shown]
	v_mov_b32_e32 v148, v160
	v_dual_mov_b32 v134, v73 :: v_dual_mov_b32 v133, v72
	v_dual_mov_b32 v124, v63 :: v_dual_mov_b32 v123, v62
	;; [unrolled: 1-line block ×11, first 2 shown]
	v_mov_b32_e32 v128, v17
	v_mov_b32_e32 v152, v29
	v_dual_mov_b32 v50, v123 :: v_dual_mov_b32 v51, v124
	v_mov_b32_e32 v99, v147
	s_delay_alu instid0(VALU_DEP_3)
	v_dual_mov_b32 v53, v126 :: v_dual_mov_b32 v104, v152
	v_dual_mov_b32 v105, v153 :: v_dual_mov_b32 v100, v148
	;; [unrolled: 1-line block ×7, first 2 shown]
	v_mov_b32_e32 v57, v130
	v_dual_mov_b32 v102, v150 :: v_dual_mov_b32 v103, v151
	v_dual_mov_b32 v108, v156 :: v_dual_mov_b32 v109, v157
	;; [unrolled: 1-line block ×3, first 2 shown]
	v_mov_b32_e32 v58, v131
	v_mov_b32_e32 v56, v19
	v_dual_mov_b32 v37, v99 :: v_dual_mov_b32 v38, v100
	v_mov_b32_e32 v39, v101
	v_dual_mov_b32 v43, v105 :: v_dual_mov_b32 v48, v110
	s_delay_alu instid0(VALU_DEP_4)
	v_dual_mov_b32 v122, v61 :: v_dual_mov_b32 v117, v56
	v_dual_mov_b32 v42, v104 :: v_dual_mov_b32 v45, v107
	;; [unrolled: 1-line block ×9, first 2 shown]
	v_mov_b32_e32 v118, v20
	v_mov_b32_e32 v44, v32
	;; [unrolled: 1-line block ×3, first 2 shown]
	v_dual_mov_b32 v98, v48 :: v_dual_mov_b32 v95, v45
	v_dual_mov_b32 v146, v122 :: v_dual_mov_b32 v145, v121
	s_delay_alu instid0(VALU_DEP_4)
	v_dual_mov_b32 v94, v44 :: v_dual_mov_b32 v87, v37
	v_dual_mov_b32 v97, v47 :: v_dual_mov_b32 v144, v120
	;; [unrolled: 1-line block ×5, first 2 shown]
	v_mov_b32_e32 v93, v43
	v_dual_mov_b32 v91, v41 :: v_dual_mov_b32 v90, v40
	v_dual_mov_b32 v141, v117 :: v_dual_mov_b32 v88, v38
	;; [unrolled: 1-line block ×6, first 2 shown]
	s_clause 0x2
	scratch_store_b128 off, v[62:65], off
	scratch_store_b128 off, v[66:69], off offset:16
	scratch_store_b128 off, v[70:73], off offset:32
	v_dual_mov_b32 v63, v87 :: v_dual_mov_b32 v74, v98
	v_dual_mov_b32 v75, v135 :: v_dual_mov_b32 v72, v96
	;; [unrolled: 1-line block ×14, first 2 shown]
	v_mov_b32_e32 v84, v22
	v_mov_b32_e32 v86, v24
	v_mov_b32_e32 v18, v17
.LBB110_35:
	s_or_b32 exec_lo, exec_lo, s2
	v_mov_b32_e32 v14, v7
	s_mov_b32 s2, exec_lo
	v_cmpx_lt_f32_e32 v13, v7
	s_cbranch_execz .LBB110_37
; %bb.36:
	s_clause 0x2
	scratch_load_b128 v[37:40], off, off
	scratch_load_b128 v[41:44], off, off offset:16
	scratch_load_b128 v[45:48], off, off offset:32
	v_mov_b32_e32 v164, v31
	v_dual_mov_b32 v14, v13 :: v_dual_mov_b32 v31, v30
	s_waitcnt vmcnt(0)
	v_dual_mov_b32 v134, v48 :: v_dual_mov_b32 v133, v47
	v_dual_mov_b32 v130, v44 :: v_dual_mov_b32 v127, v41
	;; [unrolled: 1-line block ×5, first 2 shown]
	v_mov_b32_e32 v125, v39
	v_dual_mov_b32 v99, v159 :: v_dual_mov_b32 v100, v160
	v_dual_mov_b32 v128, v19 :: v_dual_mov_b32 v101, v161
	v_mov_b32_e32 v110, v170
	v_dual_mov_b32 v50, v123 :: v_dual_mov_b32 v53, v126
	v_dual_mov_b32 v106, v166 :: v_dual_mov_b32 v107, v167
	;; [unrolled: 1-line block ×19, first 2 shown]
	v_mov_b32_e32 v47, v109
	v_dual_mov_b32 v114, v53 :: v_dual_mov_b32 v111, v50
	v_mov_b32_e32 v118, v20
	v_dual_mov_b32 v120, v59 :: v_dual_mov_b32 v117, v56
	v_dual_mov_b32 v116, v55 :: v_dual_mov_b32 v113, v52
	v_mov_b32_e32 v44, v32
	v_mov_b32_e32 v112, v51
	v_dual_mov_b32 v98, v48 :: v_dual_mov_b32 v95, v45
	v_dual_mov_b32 v146, v122 :: v_dual_mov_b32 v145, v121
	;; [unrolled: 1-line block ×8, first 2 shown]
	v_mov_b32_e32 v89, v39
	v_dual_mov_b32 v93, v43 :: v_dual_mov_b32 v88, v38
	v_dual_mov_b32 v141, v117 :: v_dual_mov_b32 v140, v116
	v_mov_b32_e32 v95, v33
	v_dual_mov_b32 v139, v115 :: v_dual_mov_b32 v138, v114
	v_dual_mov_b32 v143, v21 :: v_dual_mov_b32 v136, v112
	;; [unrolled: 1-line block ×24, first 2 shown]
	v_mov_b32_e32 v158, v170
.LBB110_37:
	s_or_b32 exec_lo, exec_lo, s2
	v_mov_b32_e32 v13, v8
	s_mov_b32 s2, exec_lo
	v_cmpx_lt_f32_e32 v14, v8
	s_cbranch_execz .LBB110_39
; %bb.38:
	v_mov_b32_e32 v129, v20
	v_mov_b32_e32 v153, v32
	v_dual_mov_b32 v111, v123 :: v_dual_mov_b32 v114, v126
	v_dual_mov_b32 v37, v147 :: v_dual_mov_b32 v38, v148
	;; [unrolled: 1-line block ×10, first 2 shown]
	v_mov_b32_e32 v120, v132
	v_dual_mov_b32 v116, v128 :: v_dual_mov_b32 v121, v133
	v_mov_b32_e32 v44, v31
	v_dual_mov_b32 v119, v131 :: v_dual_mov_b32 v98, v48
	v_dual_mov_b32 v118, v19 :: v_dual_mov_b32 v95, v45
	;; [unrolled: 1-line block ×13, first 2 shown]
	v_mov_b32_e32 v95, v33
	v_dual_mov_b32 v7, v8 :: v_dual_mov_b32 v8, v14
	v_mov_b32_e32 v143, v21
	v_dual_mov_b32 v63, v87 :: v_dual_mov_b32 v68, v92
	v_dual_mov_b32 v64, v88 :: v_dual_mov_b32 v75, v135
	v_dual_mov_b32 v80, v140 :: v_dual_mov_b32 v67, v91
	v_dual_mov_b32 v72, v96 :: v_dual_mov_b32 v69, v93
	v_dual_mov_b32 v74, v98 :: v_dual_mov_b32 v73, v97
	v_dual_mov_b32 v78, v138 :: v_dual_mov_b32 v79, v139
	v_dual_mov_b32 v84, v144 :: v_dual_mov_b32 v81, v141
	v_dual_mov_b32 v86, v146 :: v_dual_mov_b32 v85, v145
	v_mov_b32_e32 v74, v36
	v_dual_mov_b32 v50, v123 :: v_dual_mov_b32 v51, v124
	v_dual_mov_b32 v99, v147 :: v_dual_mov_b32 v100, v148
	v_dual_mov_b32 v65, v89 :: v_dual_mov_b32 v70, v94
	v_dual_mov_b32 v66, v90 :: v_dual_mov_b32 v71, v95
	v_dual_mov_b32 v76, v136 :: v_dual_mov_b32 v77, v137
	v_dual_mov_b32 v82, v142 :: v_dual_mov_b32 v83, v143
	v_dual_mov_b32 v72, v34 :: v_dual_mov_b32 v73, v35
	;; [unrolled: 9-line block ×3, first 2 shown]
	v_dual_mov_b32 v105, v153 :: v_dual_mov_b32 v106, v154
	v_dual_mov_b32 v107, v155 :: v_dual_mov_b32 v108, v156
	;; [unrolled: 1-line block ×4, first 2 shown]
	v_mov_b32_e32 v32, v31
.LBB110_39:
	s_or_b32 exec_lo, exec_lo, s2
	v_mov_b32_e32 v14, v9
	s_mov_b32 s2, exec_lo
	v_cmpx_lt_f32_e32 v13, v9
	s_cbranch_execz .LBB110_41
; %bb.40:
	v_mov_b32_e32 v57, v21
	v_mov_b32_e32 v106, v33
	v_dual_mov_b32 v146, v61 :: v_dual_mov_b32 v145, v60
	v_dual_mov_b32 v87, v99 :: v_dual_mov_b32 v90, v102
	v_mov_b32_e32 v88, v100
	v_dual_mov_b32 v136, v51 :: v_dual_mov_b32 v135, v50
	v_dual_mov_b32 v91, v103 :: v_dual_mov_b32 v94, v106
	;; [unrolled: 1-line block ×7, first 2 shown]
	v_mov_b32_e32 v139, v54
	v_dual_mov_b32 v89, v101 :: v_dual_mov_b32 v92, v104
	v_dual_mov_b32 v138, v53 :: v_dual_mov_b32 v137, v52
	;; [unrolled: 1-line block ×3, first 2 shown]
	v_mov_b32_e32 v143, v20
	s_delay_alu instid0(VALU_DEP_4)
	v_dual_mov_b32 v63, v87 :: v_dual_mov_b32 v68, v92
	v_dual_mov_b32 v66, v90 :: v_dual_mov_b32 v75, v135
	;; [unrolled: 1-line block ×8, first 2 shown]
	v_mov_b32_e32 v74, v36
	v_dual_mov_b32 v122, v61 :: v_dual_mov_b32 v121, v60
	v_dual_mov_b32 v37, v99 :: v_dual_mov_b32 v38, v100
	v_dual_mov_b32 v9, v13 :: v_dual_mov_b32 v64, v88
	v_dual_mov_b32 v65, v89 :: v_dual_mov_b32 v70, v94
	v_dual_mov_b32 v71, v95 :: v_dual_mov_b32 v76, v136
	v_dual_mov_b32 v77, v137 :: v_dual_mov_b32 v82, v142
	v_dual_mov_b32 v83, v143 :: v_dual_mov_b32 v72, v34
	v_dual_mov_b32 v73, v35 :: v_dual_mov_b32 v84, v22
	v_dual_mov_b32 v85, v23 :: v_dual_mov_b32 v86, v24
	v_dual_mov_b32 v120, v59 :: v_dual_mov_b32 v119, v58
	v_dual_mov_b32 v118, v57 :: v_dual_mov_b32 v117, v56
	v_dual_mov_b32 v116, v55 :: v_dual_mov_b32 v115, v54
	v_dual_mov_b32 v114, v53 :: v_dual_mov_b32 v113, v52
	v_dual_mov_b32 v112, v51 :: v_dual_mov_b32 v111, v50
	v_dual_mov_b32 v39, v101 :: v_dual_mov_b32 v40, v102
	v_dual_mov_b32 v41, v103 :: v_dual_mov_b32 v42, v104
	v_dual_mov_b32 v43, v105 :: v_dual_mov_b32 v44, v106
	v_dual_mov_b32 v45, v107 :: v_dual_mov_b32 v46, v108
	v_dual_mov_b32 v47, v109 :: v_dual_mov_b32 v48, v110
	v_dual_mov_b32 v14, v13 :: v_dual_mov_b32 v21, v20
	v_mov_b32_e32 v33, v32
.LBB110_41:
	s_or_b32 exec_lo, exec_lo, s2
	v_mov_b32_e32 v15, v10
	s_mov_b32 s2, exec_lo
	v_cmpx_lt_f32_e32 v14, v10
	s_cbranch_execz .LBB110_43
; %bb.42:
	v_mov_b32_e32 v45, v34
	v_dual_mov_b32 v9, v10 :: v_dual_mov_b32 v74, v48
	v_mov_b32_e32 v72, v46
	v_mov_b32_e32 v72, v33
	s_delay_alu instid0(VALU_DEP_4) | instskip(SKIP_4) | instid1(VALU_DEP_4)
	v_mov_b32_e32 v71, v45
	v_dual_mov_b32 v119, v22 :: v_dual_mov_b32 v70, v44
	v_dual_mov_b32 v75, v111 :: v_dual_mov_b32 v78, v114
	;; [unrolled: 1-line block ×27, first 2 shown]
	v_mov_b32_e32 v34, v33
.LBB110_43:
	s_or_b32 exec_lo, exec_lo, s2
	v_mov_b32_e32 v13, v11
	s_mov_b32 s2, exec_lo
	v_cmpx_lt_f32_e32 v15, v11
	s_cbranch_execz .LBB110_45
; %bb.44:
	v_dual_mov_b32 v144, v23 :: v_dual_mov_b32 v145, v22
	v_dual_mov_b32 v96, v35 :: v_dual_mov_b32 v97, v34
	v_mov_b32_e32 v146, v24
	v_mov_b32_e32 v10, v11
	v_dual_mov_b32 v11, v15 :: v_dual_mov_b32 v98, v36
	v_dual_mov_b32 v75, v135 :: v_dual_mov_b32 v84, v144
	;; [unrolled: 1-line block ×3, first 2 shown]
	v_mov_b32_e32 v79, v139
	v_dual_mov_b32 v77, v137 :: v_dual_mov_b32 v78, v138
	v_dual_mov_b32 v81, v141 :: v_dual_mov_b32 v80, v140
	;; [unrolled: 1-line block ×10, first 2 shown]
.LBB110_45:
	s_or_b32 exec_lo, exec_lo, s2
	s_delay_alu instid0(VALU_DEP_1)
	v_cmp_lt_f32_e32 vcc_lo, v13, v12
	v_cmp_lt_f32_e64 s2, v1, v2
	v_dual_mov_b32 v40, v76 :: v_dual_mov_b32 v41, v77
	v_dual_mov_b32 v43, v79 :: v_dual_mov_b32 v44, v80
	v_dual_cndmask_b32 v23, v12, v13 :: v_dual_mov_b32 v42, v78
	v_dual_cndmask_b32 v11, v11, v12 :: v_dual_cndmask_b32 v62, v74, v73
	s_delay_alu instid0(VALU_DEP_2) | instskip(SKIP_3) | instid1(VALU_DEP_4)
	v_dual_cndmask_b32 v49, v85, v86 :: v_dual_mov_b32 v12, v23
	v_dual_cndmask_b32 v61, v73, v74 :: v_dual_cndmask_b32 v50, v86, v85
	v_mov_b32_e32 v39, v75
	v_dual_mov_b32 v45, v81 :: v_dual_mov_b32 v48, v84
	v_dual_mov_b32 v38, v12 :: v_dual_mov_b32 v37, v11
	;; [unrolled: 1-line block ×13, first 2 shown]
	s_and_saveexec_b32 s3, s2
	s_delay_alu instid0(SALU_CYCLE_1)
	s_xor_b32 s2, exec_lo, s3
	s_cbranch_execz .LBB110_47
; %bb.46:
	v_dual_mov_b32 v12, v2 :: v_dual_mov_b32 v13, v1
	v_dual_mov_b32 v14, v3 :: v_dual_mov_b32 v15, v4
	;; [unrolled: 1-line block ×6, first 2 shown]
	s_delay_alu instid0(VALU_DEP_2) | instskip(NEXT) | instid1(VALU_DEP_2)
	v_dual_mov_b32 v38, v23 :: v_dual_mov_b32 v35, v20
	v_dual_mov_b32 v36, v21 :: v_dual_mov_b32 v37, v22
	;; [unrolled: 1-line block ×15, first 2 shown]
	v_mov_b32_e32 v58, v70
	v_mov_b32_e32 v60, v72
.LBB110_47:
	s_or_b32 exec_lo, exec_lo, s2
	v_dual_mov_b32 v1, v29 :: v_dual_mov_b32 v122, v50
	v_dual_mov_b32 v15, v39 :: v_dual_mov_b32 v16, v40
	;; [unrolled: 1-line block ×30, first 2 shown]
	v_mov_b32_e32 v135, v39
	s_clause 0x2
	scratch_store_b128 off, v[39:42], off offset:48
	scratch_store_b128 off, v[43:46], off offset:64
	;; [unrolled: 1-line block ×3, first 2 shown]
	v_dual_mov_b32 v3, v51 :: v_dual_mov_b32 v6, v54
	v_dual_mov_b32 v13, v61 :: v_dual_mov_b32 v74, v62
	;; [unrolled: 1-line block ×34, first 2 shown]
	v_mov_b32_e32 v159, v51
	s_mov_b32 s2, exec_lo
	v_dual_mov_b32 v73, v61 :: v_dual_mov_b32 v72, v60
	v_mov_b32_e32 v4, v52
	s_clause 0x2
	scratch_store_b128 off, v[51:54], off
	scratch_store_b128 off, v[55:58], off offset:16
	scratch_store_b128 off, v[59:62], off offset:32
	v_dual_mov_b32 v182, v50 :: v_dual_mov_b32 v181, v49
	v_dual_mov_b32 v180, v48 :: v_dual_mov_b32 v179, v47
	;; [unrolled: 1-line block ×6, first 2 shown]
	v_cmpx_lt_f32_e32 v2, v29
	s_cbranch_execz .LBB110_49
; %bb.48:
	v_dual_mov_b32 v170, v62 :: v_dual_mov_b32 v169, v61
	v_dual_mov_b32 v162, v54 :: v_dual_mov_b32 v161, v53
	;; [unrolled: 1-line block ×7, first 2 shown]
	s_clause 0x2
	scratch_store_b128 off, v[159:162], off
	scratch_store_b128 off, v[163:166], off offset:16
	scratch_store_b128 off, v[167:170], off offset:32
	v_dual_mov_b32 v182, v50 :: v_dual_mov_b32 v181, v49
	v_dual_mov_b32 v172, v40 :: v_dual_mov_b32 v171, v39
	;; [unrolled: 1-line block ×8, first 2 shown]
	s_delay_alu instid0(VALU_DEP_3)
	v_dual_mov_b32 v140, v176 :: v_dual_mov_b32 v141, v177
	v_dual_mov_b32 v138, v174 :: v_dual_mov_b32 v139, v175
	;; [unrolled: 1-line block ×3, first 2 shown]
	v_mov_b32_e32 v146, v182
	v_dual_mov_b32 v136, v172 :: v_dual_mov_b32 v137, v173
	v_mov_b32_e32 v138, v42
	v_dual_mov_b32 v142, v178 :: v_dual_mov_b32 v143, v179
	v_mov_b32_e32 v53, v52
	v_mov_b32_e32 v139, v43
	;; [unrolled: 1-line block ×3, first 2 shown]
	v_dual_mov_b32 v147, v159 :: v_dual_mov_b32 v148, v160
	v_mov_b32_e32 v151, v163
	v_dual_mov_b32 v149, v161 :: v_dual_mov_b32 v150, v162
	v_dual_mov_b32 v153, v165 :: v_dual_mov_b32 v152, v164
	;; [unrolled: 1-line block ×16, first 2 shown]
	v_mov_b32_e32 v122, v146
	v_dual_mov_b32 v114, v138 :: v_dual_mov_b32 v117, v141
	v_dual_mov_b32 v116, v140 :: v_dual_mov_b32 v119, v143
	v_dual_mov_b32 v118, v142 :: v_dual_mov_b32 v121, v145
	v_dual_mov_b32 v112, v136 :: v_dual_mov_b32 v115, v139
	v_dual_mov_b32 v120, v144 :: v_dual_mov_b32 v87, v123
	v_dual_mov_b32 v116, v44 :: v_dual_mov_b32 v91, v127
	v_dual_mov_b32 v88, v124 :: v_dual_mov_b32 v93, v129
	v_dual_mov_b32 v89, v125 :: v_dual_mov_b32 v96, v132
	v_dual_mov_b32 v75, v111 :: v_dual_mov_b32 v90, v126
	v_dual_mov_b32 v95, v131 :: v_dual_mov_b32 v92, v128
	v_dual_mov_b32 v97, v133 :: v_dual_mov_b32 v94, v130
	v_dual_mov_b32 v93, v57 :: v_dual_mov_b32 v98, v134
	v_dual_mov_b32 v77, v113 :: v_dual_mov_b32 v86, v122
	v_dual_mov_b32 v78, v114 :: v_dual_mov_b32 v83, v119
	v_mov_b32_e32 v82, v118
	v_dual_mov_b32 v76, v112 :: v_dual_mov_b32 v81, v117
	v_dual_mov_b32 v80, v116 :: v_dual_mov_b32 v85, v121
	;; [unrolled: 1-line block ×6, first 2 shown]
	v_mov_b32_e32 v81, v45
	v_dual_mov_b32 v65, v89 :: v_dual_mov_b32 v72, v96
	v_mov_b32_e32 v29, v2
	s_delay_alu instid0(VALU_DEP_3)
	v_dual_mov_b32 v110, v86 :: v_dual_mov_b32 v105, v81
	v_dual_mov_b32 v70, v94 :: v_dual_mov_b32 v73, v97
	;; [unrolled: 1-line block ×11, first 2 shown]
	v_mov_b32_e32 v106, v46
	s_clause 0x2
	scratch_store_b128 off, v[3:6], off offset:48
	scratch_store_b128 off, v[7:10], off offset:64
	;; [unrolled: 1-line block ×3, first 2 shown]
	v_dual_mov_b32 v100, v76 :: v_dual_mov_b32 v3, v63
	v_dual_mov_b32 v12, v72 :: v_dual_mov_b32 v5, v65
	;; [unrolled: 1-line block ×16, first 2 shown]
	v_mov_b32_e32 v26, v50
.LBB110_49:
	s_or_b32 exec_lo, exec_lo, s2
	v_mov_b32_e32 v2, v30
	s_mov_b32 s2, exec_lo
	v_cmpx_lt_f32_e32 v1, v30
	s_cbranch_execz .LBB110_51
; %bb.50:
	s_clause 0x2
	scratch_load_b128 v[2:5], off, off
	scratch_load_b128 v[6:9], off, off offset:16
	scratch_load_b128 v[10:13], off, off offset:32
	v_dual_mov_b32 v29, v30 :: v_dual_mov_b32 v30, v1
	v_dual_mov_b32 v161, v54 :: v_dual_mov_b32 v54, v53
	s_waitcnt vmcnt(0)
	v_dual_mov_b32 v170, v13 :: v_dual_mov_b32 v169, v12
	v_mov_b32_e32 v160, v3
	v_dual_mov_b32 v162, v5 :: v_dual_mov_b32 v159, v2
	v_dual_mov_b32 v173, v42 :: v_dual_mov_b32 v168, v11
	;; [unrolled: 1-line block ×3, first 2 shown]
	s_delay_alu instid0(VALU_DEP_3)
	v_dual_mov_b32 v165, v8 :: v_dual_mov_b32 v2, v159
	v_dual_mov_b32 v3, v160 :: v_dual_mov_b32 v4, v161
	;; [unrolled: 1-line block ×3, first 2 shown]
	s_clause 0x2
	scratch_store_b128 off, v[2:5], off
	scratch_store_b128 off, v[6:9], off offset:16
	scratch_store_b128 off, v[10:13], off offset:32
	v_dual_mov_b32 v162, v53 :: v_dual_mov_b32 v135, v171
	v_dual_mov_b32 v140, v176 :: v_dual_mov_b32 v141, v177
	;; [unrolled: 1-line block ×14, first 2 shown]
	v_mov_b32_e32 v137, v173
	v_dual_mov_b32 v123, v147 :: v_dual_mov_b32 v126, v150
	v_dual_mov_b32 v124, v148 :: v_dual_mov_b32 v111, v135
	s_delay_alu instid0(VALU_DEP_4)
	v_dual_mov_b32 v112, v136 :: v_dual_mov_b32 v125, v149
	v_dual_mov_b32 v128, v152 :: v_dual_mov_b32 v115, v139
	;; [unrolled: 1-line block ×7, first 2 shown]
	v_mov_b32_e32 v128, v56
	v_dual_mov_b32 v116, v44 :: v_dual_mov_b32 v87, v123
	v_dual_mov_b32 v113, v137 :: v_dual_mov_b32 v114, v138
	;; [unrolled: 1-line block ×21, first 2 shown]
	v_mov_b32_e32 v81, v45
	v_dual_mov_b32 v63, v87 :: v_dual_mov_b32 v66, v90
	v_mov_b32_e32 v64, v88
	v_dual_mov_b32 v110, v86 :: v_dual_mov_b32 v109, v85
	v_dual_mov_b32 v65, v89 :: v_dual_mov_b32 v68, v92
	;; [unrolled: 1-line block ×9, first 2 shown]
	v_mov_b32_e32 v102, v78
	v_dual_mov_b32 v42, v41 :: v_dual_mov_b32 v103, v79
	v_mov_b32_e32 v100, v76
	v_mov_b32_e32 v106, v46
	s_clause 0x2
	scratch_store_b128 off, v[2:5], off offset:48
	scratch_store_b128 off, v[6:9], off offset:64
	;; [unrolled: 1-line block ×3, first 2 shown]
	v_dual_mov_b32 v2, v1 :: v_dual_mov_b32 v107, v83
	v_mov_b32_e32 v3, v63
	v_mov_b32_e32 v5, v65
	v_dual_mov_b32 v7, v67 :: v_dual_mov_b32 v14, v74
	v_dual_mov_b32 v15, v99 :: v_dual_mov_b32 v6, v66
	;; [unrolled: 1-line block ×14, first 2 shown]
	v_mov_b32_e32 v24, v48
	v_mov_b32_e32 v26, v50
.LBB110_51:
	s_or_b32 exec_lo, exec_lo, s2
	v_mov_b32_e32 v1, v31
	s_mov_b32 s2, exec_lo
	v_cmpx_lt_f32_e32 v2, v31
	s_cbranch_execz .LBB110_53
; %bb.52:
	s_clause 0x2
	scratch_load_b128 v[3:6], off, off
	scratch_load_b128 v[7:10], off, off offset:16
	scratch_load_b128 v[11:14], off, off offset:32
	v_dual_mov_b32 v30, v31 :: v_dual_mov_b32 v31, v2
	v_mov_b32_e32 v1, v2
	s_waitcnt vmcnt(0)
	v_dual_mov_b32 v170, v14 :: v_dual_mov_b32 v169, v13
	v_dual_mov_b32 v161, v5 :: v_dual_mov_b32 v160, v4
	;; [unrolled: 1-line block ×5, first 2 shown]
	v_mov_b32_e32 v174, v43
	v_mov_b32_e32 v159, v3
	;; [unrolled: 1-line block ×3, first 2 shown]
	v_dual_mov_b32 v135, v171 :: v_dual_mov_b32 v136, v172
	v_mov_b32_e32 v137, v173
	s_delay_alu instid0(VALU_DEP_4) | instskip(NEXT) | instid1(VALU_DEP_4)
	v_dual_mov_b32 v147, v159 :: v_dual_mov_b32 v148, v160
	v_dual_mov_b32 v149, v161 :: v_dual_mov_b32 v150, v162
	;; [unrolled: 1-line block ×10, first 2 shown]
	v_mov_b32_e32 v139, v42
	v_mov_b32_e32 v151, v54
	v_dual_mov_b32 v146, v182 :: v_dual_mov_b32 v123, v147
	v_dual_mov_b32 v111, v135 :: v_dual_mov_b32 v112, v136
	;; [unrolled: 1-line block ×3, first 2 shown]
	s_delay_alu instid0(VALU_DEP_4)
	v_dual_mov_b32 v124, v148 :: v_dual_mov_b32 v127, v151
	v_dual_mov_b32 v128, v152 :: v_dual_mov_b32 v131, v155
	;; [unrolled: 1-line block ×9, first 2 shown]
	v_mov_b32_e32 v120, v144
	v_dual_mov_b32 v116, v44 :: v_dual_mov_b32 v87, v123
	v_mov_b32_e32 v114, v138
	v_dual_mov_b32 v98, v134 :: v_dual_mov_b32 v75, v111
	v_dual_mov_b32 v88, v124 :: v_dual_mov_b32 v89, v125
	;; [unrolled: 1-line block ×3, first 2 shown]
	v_mov_b32_e32 v86, v122
	v_dual_mov_b32 v90, v126 :: v_dual_mov_b32 v91, v127
	v_dual_mov_b32 v92, v128 :: v_dual_mov_b32 v93, v129
	;; [unrolled: 1-line block ×8, first 2 shown]
	v_mov_b32_e32 v79, v115
	v_mov_b32_e32 v81, v45
	v_dual_mov_b32 v63, v87 :: v_dual_mov_b32 v66, v90
	v_dual_mov_b32 v64, v88 :: v_dual_mov_b32 v73, v97
	;; [unrolled: 1-line block ×9, first 2 shown]
	v_mov_b32_e32 v108, v84
	v_dual_mov_b32 v106, v46 :: v_dual_mov_b32 v3, v63
	v_dual_mov_b32 v105, v81 :: v_dual_mov_b32 v104, v80
	;; [unrolled: 1-line block ×19, first 2 shown]
	v_mov_b32_e32 v26, v50
	v_mov_b32_e32 v43, v42
	;; [unrolled: 1-line block ×3, first 2 shown]
	s_clause 0x2
	scratch_store_b128 off, v[171:174], off offset:48
	scratch_store_b128 off, v[175:178], off offset:64
	;; [unrolled: 1-line block ×3, first 2 shown]
.LBB110_53:
	s_or_b32 exec_lo, exec_lo, s2
	v_mov_b32_e32 v2, v32
	s_mov_b32 s2, exec_lo
	v_cmpx_lt_f32_e32 v1, v32
	s_cbranch_execz .LBB110_55
; %bb.54:
	s_clause 0x2
	scratch_load_b128 v[2:5], off, off offset:48
	scratch_load_b128 v[6:9], off, off offset:64
	;; [unrolled: 1-line block ×3, first 2 shown]
	v_dual_mov_b32 v163, v56 :: v_dual_mov_b32 v56, v55
	s_waitcnt vmcnt(0)
	v_dual_mov_b32 v31, v32 :: v_dual_mov_b32 v146, v13
	v_dual_mov_b32 v138, v5 :: v_dual_mov_b32 v137, v4
	;; [unrolled: 1-line block ×6, first 2 shown]
	v_mov_b32_e32 v139, v44
	v_dual_mov_b32 v123, v159 :: v_dual_mov_b32 v124, v160
	v_dual_mov_b32 v125, v161 :: v_dual_mov_b32 v128, v164
	;; [unrolled: 1-line block ×12, first 2 shown]
	v_mov_b32_e32 v120, v144
	v_mov_b32_e32 v116, v43
	v_dual_mov_b32 v87, v123 :: v_dual_mov_b32 v88, v124
	v_dual_mov_b32 v89, v125 :: v_dual_mov_b32 v98, v134
	;; [unrolled: 1-line block ×12, first 2 shown]
	v_mov_b32_e32 v79, v115
	v_mov_b32_e32 v81, v45
	v_dual_mov_b32 v63, v87 :: v_dual_mov_b32 v66, v90
	v_dual_mov_b32 v64, v88 :: v_dual_mov_b32 v73, v97
	;; [unrolled: 1-line block ×8, first 2 shown]
	v_mov_b32_e32 v70, v58
	v_dual_mov_b32 v106, v46 :: v_dual_mov_b32 v65, v89
	v_dual_mov_b32 v68, v92 :: v_dual_mov_b32 v105, v81
	;; [unrolled: 1-line block ×4, first 2 shown]
	v_mov_b32_e32 v100, v76
	v_dual_mov_b32 v32, v1 :: v_dual_mov_b32 v3, v63
	v_dual_mov_b32 v14, v74 :: v_dual_mov_b32 v15, v99
	v_mov_b32_e32 v26, v110
	v_dual_mov_b32 v10, v70 :: v_dual_mov_b32 v11, v71
	v_dual_mov_b32 v12, v72 :: v_dual_mov_b32 v13, v73
	;; [unrolled: 1-line block ×20, first 2 shown]
	v_mov_b32_e32 v2, v1
	v_mov_b32_e32 v44, v43
.LBB110_55:
	s_or_b32 exec_lo, exec_lo, s2
	v_mov_b32_e32 v1, v33
	s_mov_b32 s2, exec_lo
	v_cmpx_lt_f32_e32 v2, v33
	s_cbranch_execz .LBB110_57
; %bb.56:
	v_mov_b32_e32 v140, v45
	v_dual_mov_b32 v152, v57 :: v_dual_mov_b32 v75, v135
	v_dual_mov_b32 v87, v147 :: v_dual_mov_b32 v90, v150
	;; [unrolled: 1-line block ×3, first 2 shown]
	s_delay_alu instid0(VALU_DEP_3)
	v_dual_mov_b32 v92, v152 :: v_dual_mov_b32 v93, v153
	v_dual_mov_b32 v76, v136 :: v_dual_mov_b32 v79, v139
	;; [unrolled: 1-line block ×6, first 2 shown]
	v_mov_b32_e32 v93, v56
	v_dual_mov_b32 v84, v144 :: v_dual_mov_b32 v63, v87
	v_dual_mov_b32 v78, v138 :: v_dual_mov_b32 v81, v141
	;; [unrolled: 1-line block ×5, first 2 shown]
	s_delay_alu instid0(VALU_DEP_3) | instskip(SKIP_1) | instid1(VALU_DEP_4)
	v_dual_mov_b32 v110, v86 :: v_dual_mov_b32 v109, v85
	v_dual_mov_b32 v100, v76 :: v_dual_mov_b32 v99, v75
	v_dual_mov_b32 v108, v84 :: v_dual_mov_b32 v107, v83
	v_dual_mov_b32 v69, v93 :: v_dual_mov_b32 v70, v94
	v_dual_mov_b32 v106, v82 :: v_dual_mov_b32 v105, v81
	v_dual_mov_b32 v64, v88 :: v_dual_mov_b32 v65, v89
	v_dual_mov_b32 v67, v91 :: v_dual_mov_b32 v68, v92
	v_dual_mov_b32 v71, v95 :: v_dual_mov_b32 v72, v96
	v_dual_mov_b32 v73, v97 :: v_dual_mov_b32 v74, v98
	v_dual_mov_b32 v104, v80 :: v_dual_mov_b32 v103, v79
	v_dual_mov_b32 v102, v78 :: v_dual_mov_b32 v101, v77
	v_mov_b32_e32 v106, v46
	v_dual_mov_b32 v70, v58 :: v_dual_mov_b32 v15, v99
	v_dual_mov_b32 v3, v63 :: v_dual_mov_b32 v24, v108
	v_dual_mov_b32 v24, v48 :: v_dual_mov_b32 v111, v135
	s_delay_alu instid0(VALU_DEP_3)
	v_dual_mov_b32 v10, v70 :: v_dual_mov_b32 v11, v71
	v_dual_mov_b32 v12, v72 :: v_dual_mov_b32 v13, v73
	;; [unrolled: 1-line block ×26, first 2 shown]
	v_mov_b32_e32 v1, v2
	v_dual_mov_b32 v134, v158 :: v_dual_mov_b32 v45, v44
	v_mov_b32_e32 v57, v56
.LBB110_57:
	s_or_b32 exec_lo, exec_lo, s2
	v_mov_b32_e32 v2, v34
	s_mov_b32 s2, exec_lo
	v_cmpx_lt_f32_e32 v1, v34
	s_cbranch_execz .LBB110_59
; %bb.58:
	v_mov_b32_e32 v129, v58
	v_dual_mov_b32 v63, v123 :: v_dual_mov_b32 v70, v130
	v_dual_mov_b32 v70, v57 :: v_dual_mov_b32 v71, v131
	;; [unrolled: 1-line block ×22, first 2 shown]
	v_mov_b32_e32 v34, v1
	v_dual_mov_b32 v5, v65 :: v_dual_mov_b32 v6, v66
	v_dual_mov_b32 v7, v67 :: v_dual_mov_b32 v8, v68
	;; [unrolled: 1-line block ×20, first 2 shown]
	v_mov_b32_e32 v2, v1
	v_mov_b32_e32 v46, v45
	;; [unrolled: 1-line block ×3, first 2 shown]
.LBB110_59:
	s_or_b32 exec_lo, exec_lo, s2
	v_mov_b32_e32 v1, v35
	s_mov_b32 s2, exec_lo
	v_cmpx_lt_f32_e32 v2, v35
	s_cbranch_execz .LBB110_61
; %bb.60:
	v_mov_b32_e32 v94, v59
	v_dual_mov_b32 v34, v35 :: v_dual_mov_b32 v35, v2
	v_mov_b32_e32 v82, v47
	v_dual_mov_b32 v3, v87 :: v_dual_mov_b32 v4, v88
	v_dual_mov_b32 v12, v96 :: v_dual_mov_b32 v9, v93
	;; [unrolled: 1-line block ×13, first 2 shown]
	v_mov_b32_e32 v7, v91
	v_mov_b32_e32 v11, v58
	v_dual_mov_b32 v14, v62 :: v_dual_mov_b32 v17, v77
	v_dual_mov_b32 v16, v76 :: v_dual_mov_b32 v19, v79
	;; [unrolled: 1-line block ×14, first 2 shown]
	v_mov_b32_e32 v47, v46
	v_mov_b32_e32 v59, v58
	v_mov_b32_e32 v74, v98
.LBB110_61:
	s_or_b32 exec_lo, exec_lo, s2
	v_mov_b32_e32 v39, v36
	s_mov_b32 s2, exec_lo
	v_cmpx_lt_f32_e32 v1, v36
	s_cbranch_execz .LBB110_63
; %bb.62:
	v_dual_mov_b32 v71, v60 :: v_dual_mov_b32 v72, v59
	v_dual_mov_b32 v73, v61 :: v_dual_mov_b32 v108, v47
	v_dual_mov_b32 v107, v48 :: v_dual_mov_b32 v110, v50
	v_dual_mov_b32 v109, v49 :: v_dual_mov_b32 v74, v62
	v_dual_mov_b32 v15, v99 :: v_dual_mov_b32 v16, v100
	v_dual_mov_b32 v3, v63 :: v_dual_mov_b32 v4, v64
	v_dual_mov_b32 v35, v36 :: v_dual_mov_b32 v36, v1
	v_dual_mov_b32 v17, v101 :: v_dual_mov_b32 v18, v102
	v_dual_mov_b32 v19, v103 :: v_dual_mov_b32 v20, v104
	v_dual_mov_b32 v21, v105 :: v_dual_mov_b32 v22, v106
	v_dual_mov_b32 v23, v107 :: v_dual_mov_b32 v24, v108
	v_dual_mov_b32 v25, v109 :: v_dual_mov_b32 v26, v110
	v_dual_mov_b32 v5, v65 :: v_dual_mov_b32 v6, v66
	v_dual_mov_b32 v7, v67 :: v_dual_mov_b32 v8, v68
	v_dual_mov_b32 v9, v69 :: v_dual_mov_b32 v10, v70
	v_dual_mov_b32 v11, v71 :: v_dual_mov_b32 v12, v72
	v_dual_mov_b32 v13, v73 :: v_dual_mov_b32 v14, v74
	v_mov_b32_e32 v39, v1
.LBB110_63:
	s_or_b32 exec_lo, exec_lo, s2
	s_delay_alu instid0(VALU_DEP_1)
	v_cmp_lt_f32_e32 vcc_lo, v39, v37
	v_dual_mov_b32 v40, v28 :: v_dual_mov_b32 v43, v31
	v_dual_mov_b32 v42, v30 :: v_dual_mov_b32 v45, v33
	v_dual_cndmask_b32 v1, v25, v24 :: v_dual_cndmask_b32 v24, v24, v25
	v_cndmask_b32_e32 v2, v13, v12, vcc_lo
	v_dual_cndmask_b32 v12, v12, v13 :: v_dual_cndmask_b32 v49, v37, v39
	v_dual_cndmask_b32 v48, v36, v37 :: v_dual_mov_b32 v41, v29
	v_dual_mov_b32 v39, v27 :: v_dual_mov_b32 v44, v32
	v_dual_mov_b32 v47, v35 :: v_dual_mov_b32 v46, v34
	v_mov_b32_e32 v50, v38
	s_mov_b32 s2, exec_lo
	v_cmpx_lt_f32_e32 v27, v28
	s_cbranch_execz .LBB110_65
; %bb.64:
	v_dual_mov_b32 v28, v40 :: v_dual_mov_b32 v29, v39
	v_dual_mov_b32 v38, v49 :: v_dual_mov_b32 v39, v50
	;; [unrolled: 1-line block ×6, first 2 shown]
	v_mov_b32_e32 v50, v39
	v_mov_b32_e32 v13, v15
	v_dual_mov_b32 v25, v3 :: v_dual_mov_b32 v44, v33
	v_swap_b32 v15, v16
	v_swap_b32 v3, v4
	v_dual_mov_b32 v49, v38 :: v_dual_mov_b32 v46, v35
	v_dual_mov_b32 v48, v37 :: v_dual_mov_b32 v47, v36
	v_dual_mov_b32 v42, v31 :: v_dual_mov_b32 v45, v34
	v_dual_mov_b32 v40, v29 :: v_dual_mov_b32 v43, v32
	v_mov_b32_e32 v41, v30
	v_dual_mov_b32 v39, v28 :: v_dual_mov_b32 v28, v27
.LBB110_65:
	s_or_b32 exec_lo, exec_lo, s2
	v_mov_b32_e32 v13, v2
	v_dual_mov_b32 v25, v1 :: v_dual_mov_b32 v62, v14
	v_dual_mov_b32 v74, v26 :: v_dual_mov_b32 v63, v15
	v_mov_b32_e32 v86, v26
	v_dual_mov_b32 v72, v24 :: v_dual_mov_b32 v75, v15
	v_dual_mov_b32 v110, v26 :: v_dual_mov_b32 v53, v5
	;; [unrolled: 1-line block ×61, first 2 shown]
	v_mov_b32_e32 v149, v5
	v_mov_b32_e32 v147, v3
	;; [unrolled: 1-line block ×3, first 2 shown]
	s_mov_b32 s2, exec_lo
	v_dual_mov_b32 v85, v25 :: v_dual_mov_b32 v84, v24
	v_dual_mov_b32 v83, v23 :: v_dual_mov_b32 v82, v22
	s_clause 0x2
	scratch_store_b128 off, v[3:6], off
	scratch_store_b128 off, v[7:10], off offset:16
	scratch_store_b128 off, v[11:14], off offset:32
	v_cmpx_lt_f32_e32 v28, v41
	s_cbranch_execz .LBB110_67
; %bb.66:
	v_dual_mov_b32 v158, v14 :: v_dual_mov_b32 v157, v13
	v_dual_mov_b32 v150, v6 :: v_dual_mov_b32 v149, v5
	v_dual_mov_b32 v148, v4 :: v_dual_mov_b32 v147, v3
	v_dual_mov_b32 v156, v12 :: v_dual_mov_b32 v155, v11
	v_dual_mov_b32 v154, v10 :: v_dual_mov_b32 v153, v9
	v_dual_mov_b32 v152, v8 :: v_dual_mov_b32 v151, v7
	v_dual_mov_b32 v148, v5 :: v_dual_mov_b32 v149, v4
	s_clause 0x2
	scratch_store_b128 off, v[147:150], off
	scratch_store_b128 off, v[151:154], off offset:16
	scratch_store_b128 off, v[155:158], off offset:32
	v_dual_mov_b32 v182, v26 :: v_dual_mov_b32 v181, v25
	v_dual_mov_b32 v172, v16 :: v_dual_mov_b32 v171, v15
	;; [unrolled: 1-line block ×8, first 2 shown]
	s_delay_alu instid0(VALU_DEP_4) | instskip(SKIP_1) | instid1(VALU_DEP_4)
	v_dual_mov_b32 v160, v172 :: v_dual_mov_b32 v161, v173
	v_dual_mov_b32 v162, v174 :: v_dual_mov_b32 v163, v175
	;; [unrolled: 1-line block ×4, first 2 shown]
	v_mov_b32_e32 v170, v182
	v_dual_mov_b32 v166, v178 :: v_dual_mov_b32 v167, v179
	v_mov_b32_e32 v162, v18
	v_dual_mov_b32 v40, v41 :: v_dual_mov_b32 v41, v28
	v_mov_b32_e32 v5, v4
	v_mov_b32_e32 v17, v16
	;; [unrolled: 1-line block ×3, first 2 shown]
	v_dual_mov_b32 v137, v149 :: v_dual_mov_b32 v144, v156
	v_dual_mov_b32 v123, v159 :: v_dual_mov_b32 v136, v148
	;; [unrolled: 1-line block ×12, first 2 shown]
	v_mov_b32_e32 v133, v169
	v_dual_mov_b32 v111, v135 :: v_dual_mov_b32 v112, v136
	v_dual_mov_b32 v99, v123 :: v_dual_mov_b32 v100, v124
	;; [unrolled: 1-line block ×12, first 2 shown]
	v_mov_b32_e32 v104, v20
	v_dual_mov_b32 v116, v8 :: v_dual_mov_b32 v75, v99
	v_mov_b32_e32 v87, v111
	v_dual_mov_b32 v93, v117 :: v_dual_mov_b32 v78, v102
	s_delay_alu instid0(VALU_DEP_3)
	v_dual_mov_b32 v81, v105 :: v_dual_mov_b32 v92, v116
	v_dual_mov_b32 v90, v114 :: v_dual_mov_b32 v91, v115
	;; [unrolled: 1-line block ×11, first 2 shown]
	v_mov_b32_e32 v51, v87
	v_dual_mov_b32 v63, v75 :: v_dual_mov_b32 v66, v78
	v_dual_mov_b32 v55, v91 :: v_dual_mov_b32 v58, v94
	;; [unrolled: 1-line block ×14, first 2 shown]
	v_mov_b32_e32 v72, v24
	v_dual_mov_b32 v62, v14 :: v_dual_mov_b32 v71, v23
	v_dual_mov_b32 v70, v22 :: v_dual_mov_b32 v73, v1
	v_mov_b32_e32 v74, v26
.LBB110_67:
	s_or_b32 exec_lo, exec_lo, s2
	v_mov_b32_e32 v3, v42
	v_cmp_lt_f32_e32 vcc_lo, v13, v42
	s_mov_b32 s2, exec_lo
	s_clause 0x2
	scratch_load_b128 v[27:30], off, off
	scratch_load_b128 v[31:34], off, off offset:16
	scratch_load_b128 v[35:38], off, off offset:32
	s_and_b32 s3, s2, vcc_lo
	s_delay_alu instid0(SALU_CYCLE_1)
	s_mov_b32 exec_lo, s3
	s_cbranch_execz .LBB110_69
; %bb.68:
	v_mov_b32_e32 v173, v18
	s_waitcnt vmcnt(2)
	v_mov_b32_e32 v29, v6
	v_dual_mov_b32 v159, v171 :: v_dual_mov_b32 v160, v172
	s_waitcnt vmcnt(0)
	v_dual_mov_b32 v158, v38 :: v_dual_mov_b32 v157, v37
	v_dual_mov_b32 v156, v36 :: v_dual_mov_b32 v147, v27
	;; [unrolled: 1-line block ×6, first 2 shown]
	v_mov_b32_e32 v168, v180
	v_dual_mov_b32 v164, v176 :: v_dual_mov_b32 v165, v177
	v_dual_mov_b32 v170, v182 :: v_dual_mov_b32 v155, v35
	;; [unrolled: 1-line block ×4, first 2 shown]
	v_mov_b32_e32 v150, v5
	v_mov_b32_e32 v169, v181
	v_dual_mov_b32 v162, v17 :: v_dual_mov_b32 v135, v147
	v_dual_mov_b32 v136, v148 :: v_dual_mov_b32 v123, v159
	;; [unrolled: 1-line block ×13, first 2 shown]
	v_mov_b32_e32 v139, v7
	v_dual_mov_b32 v99, v123 :: v_dual_mov_b32 v100, v124
	v_dual_mov_b32 v111, v135 :: v_dual_mov_b32 v114, v138
	;; [unrolled: 1-line block ×4, first 2 shown]
	v_mov_b32_e32 v120, v144
	v_dual_mov_b32 v104, v128 :: v_dual_mov_b32 v105, v129
	v_dual_mov_b32 v110, v134 :: v_dual_mov_b32 v115, v139
	;; [unrolled: 1-line block ×21, first 2 shown]
	v_mov_b32_e32 v93, v9
	v_dual_mov_b32 v63, v75 :: v_dual_mov_b32 v64, v76
	v_dual_mov_b32 v51, v87 :: v_dual_mov_b32 v54, v90
	;; [unrolled: 1-line block ×3, first 2 shown]
	s_delay_alu instid0(VALU_DEP_4)
	v_dual_mov_b32 v58, v94 :: v_dual_mov_b32 v57, v93
	v_dual_mov_b32 v60, v96 :: v_dual_mov_b32 v59, v95
	;; [unrolled: 1-line block ×9, first 2 shown]
	v_mov_b32_e32 v42, v13
	v_dual_mov_b32 v53, v89 :: v_dual_mov_b32 v56, v92
	v_dual_mov_b32 v68, v80 :: v_dual_mov_b32 v59, v11
	v_mov_b32_e32 v62, v14
	v_dual_mov_b32 v61, v2 :: v_dual_mov_b32 v72, v24
	v_dual_mov_b32 v70, v22 :: v_dual_mov_b32 v71, v23
	;; [unrolled: 1-line block ×3, first 2 shown]
	v_mov_b32_e32 v3, v13
	v_mov_b32_e32 v18, v17
	;; [unrolled: 1-line block ×3, first 2 shown]
.LBB110_69:
	s_or_b32 exec_lo, exec_lo, s2
	v_mov_b32_e32 v4, v43
	s_mov_b32 s2, exec_lo
	v_cmpx_lt_f32_e32 v3, v43
	s_cbranch_execz .LBB110_71
; %bb.70:
	v_mov_b32_e32 v174, v19
	s_waitcnt vmcnt(2)
	v_mov_b32_e32 v30, v7
	v_mov_b32_e32 v123, v171
	s_waitcnt vmcnt(0)
	v_dual_mov_b32 v125, v173 :: v_dual_mov_b32 v146, v38
	s_delay_alu instid0(VALU_DEP_3)
	v_dual_mov_b32 v143, v35 :: v_dual_mov_b32 v138, v30
	v_mov_b32_e32 v135, v27
	v_dual_mov_b32 v145, v37 :: v_dual_mov_b32 v142, v34
	v_dual_mov_b32 v139, v31 :: v_dual_mov_b32 v136, v28
	;; [unrolled: 1-line block ×6, first 2 shown]
	v_mov_b32_e32 v139, v6
	v_dual_mov_b32 v127, v18 :: v_dual_mov_b32 v124, v172
	v_dual_mov_b32 v126, v174 :: v_dual_mov_b32 v129, v177
	;; [unrolled: 1-line block ×15, first 2 shown]
	v_mov_b32_e32 v110, v134
	v_mov_b32_e32 v104, v20
	v_dual_mov_b32 v116, v8 :: v_dual_mov_b32 v75, v99
	v_mov_b32_e32 v87, v111
	v_dual_mov_b32 v93, v117 :: v_dual_mov_b32 v78, v102
	s_delay_alu instid0(VALU_DEP_3)
	v_dual_mov_b32 v81, v105 :: v_dual_mov_b32 v92, v116
	v_dual_mov_b32 v80, v104 :: v_dual_mov_b32 v83, v107
	;; [unrolled: 1-line block ×11, first 2 shown]
	v_mov_b32_e32 v63, v75
	s_delay_alu instid0(VALU_DEP_3)
	v_dual_mov_b32 v51, v87 :: v_dual_mov_b32 v54, v90
	v_dual_mov_b32 v71, v83 :: v_dual_mov_b32 v72, v84
	;; [unrolled: 1-line block ×14, first 2 shown]
	v_mov_b32_e32 v68, v80
	v_dual_mov_b32 v58, v10 :: v_dual_mov_b32 v59, v11
	v_dual_mov_b32 v60, v12 :: v_dual_mov_b32 v61, v2
	;; [unrolled: 1-line block ×14, first 2 shown]
	v_mov_b32_e32 v150, v30
	v_dual_mov_b32 v148, v28 :: v_dual_mov_b32 v19, v18
	v_dual_mov_b32 v4, v3 :: v_dual_mov_b32 v7, v6
.LBB110_71:
	s_or_b32 exec_lo, exec_lo, s2
	v_mov_b32_e32 v3, v44
	s_mov_b32 s2, exec_lo
	s_delay_alu instid0(VALU_DEP_2)
	v_cmpx_lt_f32_e32 v4, v44
	s_cbranch_execz .LBB110_73
; %bb.72:
	v_mov_b32_e32 v163, v20
	v_mov_b32_e32 v151, v8
	v_dual_mov_b32 v99, v159 :: v_dual_mov_b32 v102, v162
	v_dual_mov_b32 v111, v147 :: v_dual_mov_b32 v112, v148
	;; [unrolled: 1-line block ×10, first 2 shown]
	v_mov_b32_e32 v108, v168
	v_dual_mov_b32 v104, v164 :: v_dual_mov_b32 v109, v169
	v_mov_b32_e32 v116, v7
	v_mov_b32_e32 v107, v167
	;; [unrolled: 1-line block ×3, first 2 shown]
	v_dual_mov_b32 v87, v111 :: v_dual_mov_b32 v90, v114
	v_dual_mov_b32 v88, v112 :: v_dual_mov_b32 v89, v113
	;; [unrolled: 1-line block ×12, first 2 shown]
	v_mov_b32_e32 v93, v9
	v_mov_b32_e32 v43, v44
	v_dual_mov_b32 v44, v4 :: v_dual_mov_b32 v81, v21
	v_dual_mov_b32 v51, v87 :: v_dual_mov_b32 v56, v92
	;; [unrolled: 1-line block ×15, first 2 shown]
	v_mov_b32_e32 v136, v148
	v_dual_mov_b32 v54, v90 :: v_dual_mov_b32 v59, v11
	v_mov_b32_e32 v62, v14
	v_dual_mov_b32 v61, v2 :: v_dual_mov_b32 v72, v24
	v_dual_mov_b32 v70, v22 :: v_dual_mov_b32 v71, v23
	;; [unrolled: 1-line block ×14, first 2 shown]
	v_mov_b32_e32 v8, v7
.LBB110_73:
	s_or_b32 exec_lo, exec_lo, s2
	v_mov_b32_e32 v4, v45
	s_mov_b32 s2, exec_lo
	v_cmpx_lt_f32_e32 v3, v45
	s_cbranch_execz .LBB110_75
; %bb.74:
	v_mov_b32_e32 v140, v9
	v_dual_mov_b32 v128, v21 :: v_dual_mov_b32 v87, v135
	v_mov_b32_e32 v93, v141
	v_dual_mov_b32 v93, v8 :: v_dual_mov_b32 v94, v142
	v_dual_mov_b32 v96, v144 :: v_dual_mov_b32 v97, v145
	v_mov_b32_e32 v98, v146
	v_dual_mov_b32 v44, v45 :: v_dual_mov_b32 v75, v123
	v_dual_mov_b32 v84, v132 :: v_dual_mov_b32 v85, v133
	;; [unrolled: 1-line block ×8, first 2 shown]
	v_mov_b32_e32 v81, v20
	v_dual_mov_b32 v51, v87 :: v_dual_mov_b32 v52, v88
	v_dual_mov_b32 v76, v124 :: v_dual_mov_b32 v77, v125
	;; [unrolled: 1-line block ×30, first 2 shown]
	v_mov_b32_e32 v120, v144
	v_dual_mov_b32 v122, v146 :: v_dual_mov_b32 v21, v20
	v_dual_mov_b32 v4, v3 :: v_dual_mov_b32 v9, v8
.LBB110_75:
	s_or_b32 exec_lo, exec_lo, s2
	v_mov_b32_e32 v3, v46
	s_mov_b32 s2, exec_lo
	s_delay_alu instid0(VALU_DEP_2)
	v_cmpx_lt_f32_e32 v4, v46
	s_cbranch_execz .LBB110_77
; %bb.76:
	v_mov_b32_e32 v117, v10
	v_dual_mov_b32 v45, v46 :: v_dual_mov_b32 v46, v4
	v_mov_b32_e32 v105, v22
	v_dual_mov_b32 v51, v111 :: v_dual_mov_b32 v54, v114
	v_dual_mov_b32 v56, v116 :: v_dual_mov_b32 v63, v99
	;; [unrolled: 1-line block ×6, first 2 shown]
	v_mov_b32_e32 v58, v9
	v_dual_mov_b32 v61, v121 :: v_dual_mov_b32 v60, v12
	v_dual_mov_b32 v67, v103 :: v_dual_mov_b32 v70, v106
	;; [unrolled: 1-line block ×8, first 2 shown]
	v_mov_b32_e32 v62, v14
	v_dual_mov_b32 v61, v2 :: v_dual_mov_b32 v64, v100
	v_dual_mov_b32 v65, v101 :: v_dual_mov_b32 v68, v104
	;; [unrolled: 1-line block ×15, first 2 shown]
	v_mov_b32_e32 v98, v122
.LBB110_77:
	s_or_b32 exec_lo, exec_lo, s2
	v_mov_b32_e32 v4, v47
	s_mov_b32 s2, exec_lo
	v_cmpx_lt_f32_e32 v3, v47
	s_cbranch_execz .LBB110_79
; %bb.78:
	v_dual_mov_b32 v84, v24 :: v_dual_mov_b32 v85, v1
	v_dual_mov_b32 v94, v11 :: v_dual_mov_b32 v95, v10
	;; [unrolled: 1-line block ×4, first 2 shown]
	v_mov_b32_e32 v86, v26
	v_mov_b32_e32 v46, v47
	v_dual_mov_b32 v47, v3 :: v_dual_mov_b32 v98, v14
	v_dual_mov_b32 v63, v75 :: v_dual_mov_b32 v72, v84
	;; [unrolled: 1-line block ×3, first 2 shown]
	v_mov_b32_e32 v67, v79
	v_dual_mov_b32 v65, v77 :: v_dual_mov_b32 v66, v78
	v_dual_mov_b32 v69, v81 :: v_dual_mov_b32 v68, v80
	;; [unrolled: 1-line block ×9, first 2 shown]
	v_mov_b32_e32 v62, v98
	v_mov_b32_e32 v4, v3
.LBB110_79:
	s_or_b32 exec_lo, exec_lo, s2
	s_delay_alu instid0(VALU_DEP_1)
	v_cmp_lt_f32_e32 vcc_lo, v4, v48
	v_dual_mov_b32 v3, v41 :: v_dual_mov_b32 v8, v46
	v_dual_mov_b32 v5, v43 :: v_dual_mov_b32 v12, v50
	s_waitcnt vmcnt(0)
	v_cndmask_b32_e32 v37, v72, v71, vcc_lo
	v_dual_cndmask_b32 v71, v71, v72 :: v_dual_cndmask_b32 v38, v60, v59
	v_dual_cndmask_b32 v59, v59, v60 :: v_dual_mov_b32 v2, v40
	v_dual_cndmask_b32 v10, v48, v4 :: v_dual_mov_b32 v1, v39
	;; [unrolled: 1-line block ×3, first 2 shown]
	v_dual_mov_b32 v4, v42 :: v_dual_mov_b32 v7, v45
	v_mov_b32_e32 v11, v49
	s_mov_b32 s2, exec_lo
	v_cmpx_lt_f32_e32 v39, v40
	s_cbranch_execz .LBB110_81
; %bb.80:
	v_dual_mov_b32 v13, v2 :: v_dual_mov_b32 v14, v1
	v_dual_mov_b32 v15, v3 :: v_dual_mov_b32 v16, v4
	;; [unrolled: 1-line block ×6, first 2 shown]
	v_mov_b32_e32 v25, v63
	v_dual_mov_b32 v26, v51 :: v_dual_mov_b32 v1, v13
	v_swap_b32 v63, v64
	v_swap_b32 v51, v52
	v_dual_mov_b32 v2, v14 :: v_dual_mov_b32 v3, v15
	v_dual_mov_b32 v4, v16 :: v_dual_mov_b32 v5, v17
	;; [unrolled: 1-line block ×5, first 2 shown]
	v_mov_b32_e32 v12, v24
	v_mov_b32_e32 v40, v39
.LBB110_81:
	s_or_b32 exec_lo, exec_lo, s2
	v_mov_b32_e32 v60, v38
	v_dual_mov_b32 v72, v37 :: v_dual_mov_b32 v13, v51
	v_dual_mov_b32 v25, v63 :: v_dual_mov_b32 v98, v74
	;; [unrolled: 1-line block ×60, first 2 shown]
	s_mov_b32 s2, exec_lo
	v_dual_mov_b32 v96, v72 :: v_dual_mov_b32 v93, v69
	v_cmpx_lt_f32_e32 v40, v3
	s_cbranch_execz .LBB110_83
; %bb.82:
	v_dual_mov_b32 v134, v62 :: v_dual_mov_b32 v133, v61
	v_dual_mov_b32 v124, v52 :: v_dual_mov_b32 v123, v51
	v_mov_b32_e32 v124, v53
	v_dual_mov_b32 v128, v56 :: v_dual_mov_b32 v127, v55
	v_dual_mov_b32 v132, v60 :: v_dual_mov_b32 v131, v59
	;; [unrolled: 1-line block ×11, first 2 shown]
	v_mov_b32_e32 v141, v69
	v_dual_mov_b32 v136, v65 :: v_dual_mov_b32 v137, v64
	v_dual_mov_b32 v160, v124 :: v_dual_mov_b32 v159, v123
	;; [unrolled: 1-line block ×40, first 2 shown]
	v_mov_b32_e32 v22, v84
	v_dual_mov_b32 v22, v38 :: v_dual_mov_b32 v25, v87
	v_dual_mov_b32 v16, v78 :: v_dual_mov_b32 v19, v81
	;; [unrolled: 1-line block ×16, first 2 shown]
	v_mov_b32_e32 v35, v73
	v_dual_mov_b32 v34, v37 :: v_dual_mov_b32 v39, v40
	v_dual_mov_b32 v36, v74 :: v_dual_mov_b32 v65, v64
	v_mov_b32_e32 v53, v52
.LBB110_83:
	s_or_b32 exec_lo, exec_lo, s2
	v_mov_b32_e32 v40, v4
	s_mov_b32 s2, exec_lo
	v_cmpx_lt_f32_e32 v39, v4
	s_cbranch_execz .LBB110_85
; %bb.84:
	v_mov_b32_e32 v137, v66
	v_mov_b32_e32 v125, v54
	v_mov_b32_e32 v158, v146
	v_mov_b32_e32 v156, v144
	v_dual_mov_b32 v170, v134 :: v_dual_mov_b32 v169, v133
	v_dual_mov_b32 v168, v132 :: v_dual_mov_b32 v159, v123
	v_dual_mov_b32 v154, v142 :: v_dual_mov_b32 v161, v125
	v_dual_mov_b32 v160, v124 :: v_dual_mov_b32 v147, v135
	v_dual_mov_b32 v163, v127 :: v_dual_mov_b32 v162, v126
	v_dual_mov_b32 v153, v141 :: v_dual_mov_b32 v150, v138
	v_dual_mov_b32 v151, v139 :: v_dual_mov_b32 v148, v136
	v_dual_mov_b32 v167, v131 :: v_dual_mov_b32 v166, v130
	v_dual_mov_b32 v165, v129 :: v_dual_mov_b32 v164, v128
	v_mov_b32_e32 v157, v145
	v_dual_mov_b32 v155, v143 :: v_dual_mov_b32 v152, v140
	v_mov_b32_e32 v162, v53
	v_mov_b32_e32 v149, v137
	v_dual_mov_b32 v150, v65 :: v_dual_mov_b32 v111, v159
	v_dual_mov_b32 v112, v160 :: v_dual_mov_b32 v99, v147
	;; [unrolled: 1-line block ×13, first 2 shown]
	v_mov_b32_e32 v115, v55
	v_dual_mov_b32 v87, v99 :: v_dual_mov_b32 v88, v100
	v_dual_mov_b32 v75, v111 :: v_dual_mov_b32 v78, v114
	;; [unrolled: 1-line block ×3, first 2 shown]
	s_delay_alu instid0(VALU_DEP_4)
	v_dual_mov_b32 v80, v116 :: v_dual_mov_b32 v79, v115
	v_dual_mov_b32 v82, v118 :: v_dual_mov_b32 v81, v117
	;; [unrolled: 1-line block ×6, first 2 shown]
	v_mov_b32_e32 v96, v108
	v_dual_mov_b32 v92, v104 :: v_dual_mov_b32 v93, v105
	v_dual_mov_b32 v98, v110 :: v_dual_mov_b32 v95, v107
	;; [unrolled: 1-line block ×21, first 2 shown]
	v_mov_b32_e32 v34, v37
	v_dual_mov_b32 v35, v73 :: v_dual_mov_b32 v36, v74
	v_mov_b32_e32 v40, v39
	v_mov_b32_e32 v66, v65
	;; [unrolled: 1-line block ×3, first 2 shown]
.LBB110_85:
	s_or_b32 exec_lo, exec_lo, s2
	v_mov_b32_e32 v39, v5
	s_mov_b32 s2, exec_lo
	v_cmpx_lt_f32_e32 v40, v5
	s_cbranch_execz .LBB110_87
; %bb.86:
	v_mov_b32_e32 v126, v55
	v_mov_b32_e32 v111, v123
	;; [unrolled: 1-line block ×3, first 2 shown]
	v_dual_mov_b32 v115, v54 :: v_dual_mov_b32 v116, v128
	v_dual_mov_b32 v138, v67 :: v_dual_mov_b32 v113, v125
	v_mov_b32_e32 v112, v124
	v_dual_mov_b32 v118, v130 :: v_dual_mov_b32 v119, v131
	v_dual_mov_b32 v120, v132 :: v_dual_mov_b32 v121, v133
	;; [unrolled: 1-line block ×24, first 2 shown]
	v_mov_b32_e32 v22, v84
	v_dual_mov_b32 v22, v38 :: v_dual_mov_b32 v25, v87
	v_dual_mov_b32 v16, v78 :: v_dual_mov_b32 v19, v81
	;; [unrolled: 1-line block ×18, first 2 shown]
	v_mov_b32_e32 v35, v73
	v_dual_mov_b32 v34, v37 :: v_dual_mov_b32 v155, v143
	v_dual_mov_b32 v36, v74 :: v_dual_mov_b32 v157, v145
	;; [unrolled: 1-line block ×12, first 2 shown]
	v_mov_b32_e32 v55, v54
.LBB110_87:
	s_or_b32 exec_lo, exec_lo, s2
	v_mov_b32_e32 v40, v6
	s_mov_b32 s2, exec_lo
	v_cmpx_lt_f32_e32 v39, v6
	s_cbranch_execz .LBB110_89
; %bb.88:
	v_mov_b32_e32 v163, v56
	v_dual_mov_b32 v75, v159 :: v_dual_mov_b32 v80, v164
	v_dual_mov_b32 v80, v55 :: v_dual_mov_b32 v81, v165
	;; [unrolled: 1-line block ×7, first 2 shown]
	v_mov_b32_e32 v85, v169
	v_dual_mov_b32 v89, v149 :: v_dual_mov_b32 v92, v152
	v_dual_mov_b32 v91, v151 :: v_dual_mov_b32 v94, v154
	;; [unrolled: 1-line block ×6, first 2 shown]
	v_mov_b32_e32 v88, v148
	v_mov_b32_e32 v6, v39
	s_delay_alu instid0(VALU_DEP_3) | instskip(NEXT) | instid1(VALU_DEP_3)
	v_dual_mov_b32 v13, v75 :: v_dual_mov_b32 v14, v76
	v_dual_mov_b32 v25, v87 :: v_dual_mov_b32 v26, v88
	;; [unrolled: 1-line block ×30, first 2 shown]
	v_mov_b32_e32 v40, v39
	v_mov_b32_e32 v68, v67
	v_mov_b32_e32 v56, v55
.LBB110_89:
	s_or_b32 exec_lo, exec_lo, s2
	v_mov_b32_e32 v39, v7
	s_mov_b32 s2, exec_lo
	v_cmpx_lt_f32_e32 v40, v7
	s_cbranch_execz .LBB110_91
; %bb.90:
	v_mov_b32_e32 v116, v57
	v_dual_mov_b32 v6, v7 :: v_dual_mov_b32 v7, v40
	v_dual_mov_b32 v104, v69 :: v_dual_mov_b32 v13, v111
	v_mov_b32_e32 v22, v120
	v_dual_mov_b32 v22, v38 :: v_dual_mov_b32 v25, v99
	v_mov_b32_e32 v34, v108
	v_dual_mov_b32 v34, v37 :: v_dual_mov_b32 v87, v99
	v_dual_mov_b32 v16, v114 :: v_dual_mov_b32 v19, v117
	;; [unrolled: 1-line block ×12, first 2 shown]
	v_mov_b32_e32 v23, v61
	v_dual_mov_b32 v21, v59 :: v_dual_mov_b32 v24, v62
	v_dual_mov_b32 v27, v101 :: v_dual_mov_b32 v26, v100
	;; [unrolled: 1-line block ×3, first 2 shown]
	v_mov_b32_e32 v35, v73
	v_dual_mov_b32 v33, v71 :: v_dual_mov_b32 v36, v74
	v_dual_mov_b32 v89, v101 :: v_dual_mov_b32 v88, v100
	v_dual_mov_b32 v91, v103 :: v_dual_mov_b32 v90, v102
	v_dual_mov_b32 v93, v105 :: v_dual_mov_b32 v92, v104
	v_dual_mov_b32 v95, v107 :: v_dual_mov_b32 v98, v110
	v_dual_mov_b32 v77, v113 :: v_dual_mov_b32 v76, v112
	v_dual_mov_b32 v79, v115 :: v_dual_mov_b32 v78, v114
	v_dual_mov_b32 v81, v117 :: v_dual_mov_b32 v80, v116
	v_dual_mov_b32 v83, v119 :: v_dual_mov_b32 v86, v122
	v_mov_b32_e32 v39, v40
	v_mov_b32_e32 v69, v68
	v_dual_mov_b32 v57, v56 :: v_dual_mov_b32 v94, v106
	v_dual_mov_b32 v97, v109 :: v_dual_mov_b32 v82, v118
	;; [unrolled: 1-line block ×3, first 2 shown]
.LBB110_91:
	s_or_b32 exec_lo, exec_lo, s2
	v_mov_b32_e32 v40, v8
	s_mov_b32 s2, exec_lo
	v_cmpx_lt_f32_e32 v39, v8
	s_cbranch_execz .LBB110_93
; %bb.92:
	v_dual_mov_b32 v81, v58 :: v_dual_mov_b32 v82, v57
	v_dual_mov_b32 v83, v59 :: v_dual_mov_b32 v84, v38
	;; [unrolled: 1-line block ×19, first 2 shown]
	v_mov_b32_e32 v40, v39
.LBB110_93:
	s_or_b32 exec_lo, exec_lo, s2
	s_delay_alu instid0(VALU_DEP_1)
	v_cmp_lt_f32_e32 vcc_lo, v40, v9
	v_dual_mov_b32 v38, v2 :: v_dual_mov_b32 v41, v5
	v_dual_mov_b32 v42, v6 :: v_dual_mov_b32 v47, v11
	v_dual_cndmask_b32 v145, v33, v32 :: v_dual_cndmask_b32 v32, v32, v33
	v_dual_cndmask_b32 v146, v21, v20 :: v_dual_mov_b32 v39, v3
	v_dual_cndmask_b32 v20, v20, v21 :: v_dual_cndmask_b32 v45, v9, v40
	v_dual_cndmask_b32 v44, v8, v9 :: v_dual_mov_b32 v37, v1
	v_dual_mov_b32 v40, v4 :: v_dual_mov_b32 v43, v7
	v_mov_b32_e32 v46, v10
	v_mov_b32_e32 v48, v12
	s_mov_b32 s2, exec_lo
	v_cmpx_lt_f32_e32 v1, v2
	s_cbranch_execz .LBB110_95
; %bb.94:
	v_dual_mov_b32 v49, v38 :: v_dual_mov_b32 v50, v37
	v_dual_mov_b32 v51, v39 :: v_dual_mov_b32 v52, v40
	;; [unrolled: 1-line block ×6, first 2 shown]
	v_mov_b32_e32 v3, v25
	v_mov_b32_e32 v4, v13
	v_dual_mov_b32 v37, v49 :: v_dual_mov_b32 v40, v52
	v_swap_b32 v25, v26
	v_swap_b32 v13, v14
	v_dual_mov_b32 v38, v50 :: v_dual_mov_b32 v39, v51
	v_dual_mov_b32 v41, v53 :: v_dual_mov_b32 v42, v54
	;; [unrolled: 1-line block ×5, first 2 shown]
	v_mov_b32_e32 v2, v1
.LBB110_95:
	s_or_b32 exec_lo, exec_lo, s2
	v_mov_b32_e32 v21, v146
	v_dual_mov_b32 v33, v145 :: v_dual_mov_b32 v60, v24
	v_dual_mov_b32 v72, v36 :: v_dual_mov_b32 v61, v25
	;; [unrolled: 1-line block ×43, first 2 shown]
	v_mov_b32_e32 v97, v13
	v_mov_b32_e32 v1, v39
	s_mov_b32 s2, exec_lo
	v_dual_mov_b32 v95, v35 :: v_dual_mov_b32 v94, v34
	v_dual_mov_b32 v93, v33 :: v_dual_mov_b32 v92, v32
	;; [unrolled: 1-line block ×5, first 2 shown]
	v_cmpx_lt_f32_e32 v2, v39
	s_cbranch_execz .LBB110_97
; %bb.96:
	v_dual_mov_b32 v108, v24 :: v_dual_mov_b32 v107, v23
	v_dual_mov_b32 v98, v14 :: v_dual_mov_b32 v97, v13
	v_mov_b32_e32 v98, v15
	v_dual_mov_b32 v104, v20 :: v_dual_mov_b32 v103, v19
	v_dual_mov_b32 v100, v16 :: v_dual_mov_b32 v99, v15
	v_dual_mov_b32 v120, v36 :: v_dual_mov_b32 v119, v35
	v_dual_mov_b32 v102, v18 :: v_dual_mov_b32 v101, v17
	v_dual_mov_b32 v99, v14 :: v_dual_mov_b32 v112, v28
	v_dual_mov_b32 v111, v27 :: v_dual_mov_b32 v110, v26
	v_dual_mov_b32 v109, v25 :: v_dual_mov_b32 v106, v22
	v_dual_mov_b32 v105, v21 :: v_dual_mov_b32 v118, v34
	v_dual_mov_b32 v117, v33 :: v_dual_mov_b32 v116, v32
	v_dual_mov_b32 v115, v31 :: v_dual_mov_b32 v114, v30
	v_dual_mov_b32 v113, v29 :: v_dual_mov_b32 v110, v27
	v_dual_mov_b32 v111, v26 :: v_dual_mov_b32 v144, v108
	v_dual_mov_b32 v143, v107 :: v_dual_mov_b32 v134, v98
	v_dual_mov_b32 v133, v97 :: v_dual_mov_b32 v140, v104
	v_dual_mov_b32 v139, v103 :: v_dual_mov_b32 v132, v120
	v_dual_mov_b32 v129, v117 :: v_dual_mov_b32 v138, v102
	v_dual_mov_b32 v137, v101 :: v_dual_mov_b32 v136, v100
	v_dual_mov_b32 v135, v99 :: v_dual_mov_b32 v124, v112
	v_dual_mov_b32 v121, v109 :: v_dual_mov_b32 v142, v106
	v_dual_mov_b32 v141, v105 :: v_dual_mov_b32 v136, v16
	v_dual_mov_b32 v131, v119 :: v_dual_mov_b32 v130, v118
	v_dual_mov_b32 v127, v115 :: v_dual_mov_b32 v128, v116
	v_dual_mov_b32 v125, v113 :: v_dual_mov_b32 v126, v114
	v_dual_mov_b32 v123, v111 :: v_dual_mov_b32 v124, v28
	v_dual_mov_b32 v122, v110 :: v_dual_mov_b32 v73, v133
	v_dual_mov_b32 v80, v140 :: v_dual_mov_b32 v83, v143
	v_mov_b32_e32 v84, v144
	v_dual_mov_b32 v74, v134 :: v_dual_mov_b32 v77, v137
	v_mov_b32_e32 v75, v135
	v_dual_mov_b32 v38, v39 :: v_dual_mov_b32 v85, v121
	v_dual_mov_b32 v76, v136 :: v_dual_mov_b32 v79, v139
	;; [unrolled: 1-line block ×10, first 2 shown]
	v_mov_b32_e32 v39, v2
	v_dual_mov_b32 v49, v73 :: v_dual_mov_b32 v50, v74
	v_dual_mov_b32 v59, v83 :: v_dual_mov_b32 v60, v84
	v_dual_mov_b32 v60, v24 :: v_dual_mov_b32 v61, v85
	v_dual_mov_b32 v53, v77 :: v_dual_mov_b32 v54, v78
	v_dual_mov_b32 v55, v79 :: v_dual_mov_b32 v56, v80
	v_dual_mov_b32 v57, v81 :: v_dual_mov_b32 v58, v82
	v_dual_mov_b32 v66, v90 :: v_dual_mov_b32 v67, v91
	v_dual_mov_b32 v68, v92 :: v_dual_mov_b32 v69, v93
	v_dual_mov_b32 v70, v94 :: v_dual_mov_b32 v71, v95
	v_dual_mov_b32 v72, v96 :: v_dual_mov_b32 v67, v31
	v_dual_mov_b32 v51, v75 :: v_dual_mov_b32 v52, v76
	v_dual_mov_b32 v54, v18 :: v_dual_mov_b32 v55, v19
	v_dual_mov_b32 v56, v20 :: v_dual_mov_b32 v57, v146
	v_dual_mov_b32 v58, v22 :: v_dual_mov_b32 v59, v23
	v_dual_mov_b32 v62, v86 :: v_dual_mov_b32 v63, v87
	v_dual_mov_b32 v64, v88 :: v_dual_mov_b32 v65, v89
	v_dual_mov_b32 v66, v30 :: v_dual_mov_b32 v69, v145
	v_dual_mov_b32 v68, v32 :: v_dual_mov_b32 v71, v35
	v_mov_b32_e32 v70, v34
	v_dual_mov_b32 v72, v36 :: v_dual_mov_b32 v1, v2
	v_mov_b32_e32 v27, v26
	v_mov_b32_e32 v15, v14
.LBB110_97:
	s_or_b32 exec_lo, exec_lo, s2
	v_mov_b32_e32 v2, v40
	s_mov_b32 s2, exec_lo
	v_cmpx_lt_f32_e32 v1, v40
	s_cbranch_execz .LBB110_99
; %bb.98:
	v_mov_b32_e32 v99, v16
	v_mov_b32_e32 v144, v108
	v_mov_b32_e32 v136, v100
	v_dual_mov_b32 v136, v15 :: v_dual_mov_b32 v111, v28
	v_dual_mov_b32 v142, v106 :: v_dual_mov_b32 v133, v97
	;; [unrolled: 1-line block ×4, first 2 shown]
	v_mov_b32_e32 v135, v99
	v_dual_mov_b32 v125, v113 :: v_dual_mov_b32 v124, v112
	v_mov_b32_e32 v143, v107
	v_dual_mov_b32 v141, v105 :: v_dual_mov_b32 v140, v104
	v_dual_mov_b32 v139, v103 :: v_dual_mov_b32 v138, v102
	;; [unrolled: 1-line block ×18, first 2 shown]
	v_mov_b32_e32 v95, v131
	v_dual_mov_b32 v89, v29 :: v_dual_mov_b32 v88, v124
	v_dual_mov_b32 v49, v73 :: v_dual_mov_b32 v54, v78
	v_mov_b32_e32 v50, v74
	v_dual_mov_b32 v52, v76 :: v_dual_mov_b32 v61, v85
	s_delay_alu instid0(VALU_DEP_4)
	v_dual_mov_b32 v64, v88 :: v_dual_mov_b32 v51, v75
	v_dual_mov_b32 v56, v80 :: v_dual_mov_b32 v53, v77
	;; [unrolled: 1-line block ×12, first 2 shown]
	v_mov_b32_e32 v58, v22
	v_dual_mov_b32 v57, v146 :: v_dual_mov_b32 v60, v24
	v_dual_mov_b32 v59, v23 :: v_dual_mov_b32 v62, v86
	;; [unrolled: 1-line block ×5, first 2 shown]
	v_mov_b32_e32 v2, v1
	v_mov_b32_e32 v28, v27
	;; [unrolled: 1-line block ×3, first 2 shown]
.LBB110_99:
	s_or_b32 exec_lo, exec_lo, s2
	v_mov_b32_e32 v1, v41
	s_mov_b32 s2, exec_lo
	v_cmpx_lt_f32_e32 v2, v41
	s_cbranch_execz .LBB110_101
; %bb.100:
	v_mov_b32_e32 v100, v17
	v_mov_b32_e32 v73, v97
	;; [unrolled: 1-line block ×3, first 2 shown]
	v_dual_mov_b32 v77, v16 :: v_dual_mov_b32 v78, v102
	v_dual_mov_b32 v112, v29 :: v_dual_mov_b32 v75, v99
	;; [unrolled: 1-line block ×3, first 2 shown]
	v_mov_b32_e32 v84, v108
	v_dual_mov_b32 v74, v98 :: v_dual_mov_b32 v85, v109
	v_mov_b32_e32 v86, v110
	v_dual_mov_b32 v76, v100 :: v_dual_mov_b32 v79, v103
	v_dual_mov_b32 v80, v104 :: v_dual_mov_b32 v81, v105
	;; [unrolled: 1-line block ×8, first 2 shown]
	v_mov_b32_e32 v49, v73
	v_dual_mov_b32 v89, v28 :: v_dual_mov_b32 v50, v74
	v_dual_mov_b32 v59, v83 :: v_dual_mov_b32 v60, v84
	;; [unrolled: 1-line block ×32, first 2 shown]
	v_mov_b32_e32 v17, v16
.LBB110_101:
	s_or_b32 exec_lo, exec_lo, s2
	v_mov_b32_e32 v2, v42
	s_mov_b32 s2, exec_lo
	v_cmpx_lt_f32_e32 v1, v42
	s_cbranch_execz .LBB110_103
; %bb.102:
	v_mov_b32_e32 v137, v18
	v_mov_b32_e32 v125, v30
	v_dual_mov_b32 v41, v42 :: v_dual_mov_b32 v42, v1
	v_dual_mov_b32 v49, v133 :: v_dual_mov_b32 v50, v134
	;; [unrolled: 1-line block ×13, first 2 shown]
	v_mov_b32_e32 v66, v29
	v_dual_mov_b32 v85, v121 :: v_dual_mov_b32 v86, v122
	v_dual_mov_b32 v73, v133 :: v_dual_mov_b32 v74, v134
	;; [unrolled: 1-line block ×4, first 2 shown]
	v_mov_b32_e32 v64, v124
	v_dual_mov_b32 v58, v22 :: v_dual_mov_b32 v59, v23
	v_dual_mov_b32 v67, v31 :: v_dual_mov_b32 v68, v32
	;; [unrolled: 1-line block ×8, first 2 shown]
	v_mov_b32_e32 v2, v1
	v_mov_b32_e32 v30, v29
	v_dual_mov_b32 v18, v17 :: v_dual_mov_b32 v91, v127
	v_dual_mov_b32 v92, v128 :: v_dual_mov_b32 v93, v129
	;; [unrolled: 1-line block ×6, first 2 shown]
	v_mov_b32_e32 v84, v144
.LBB110_103:
	s_or_b32 exec_lo, exec_lo, s2
	v_mov_b32_e32 v1, v43
	s_mov_b32 s2, exec_lo
	v_cmpx_lt_f32_e32 v2, v43
	s_cbranch_execz .LBB110_105
; %bb.104:
	v_dual_mov_b32 v94, v34 :: v_dual_mov_b32 v95, v35
	v_dual_mov_b32 v78, v19 :: v_dual_mov_b32 v79, v18
	;; [unrolled: 1-line block ×6, first 2 shown]
	v_mov_b32_e32 v96, v36
	v_dual_mov_b32 v42, v43 :: v_dual_mov_b32 v43, v2
	v_dual_mov_b32 v84, v24 :: v_dual_mov_b32 v61, v85
	;; [unrolled: 1-line block ×14, first 2 shown]
.LBB110_105:
	s_or_b32 exec_lo, exec_lo, s2
	s_delay_alu instid0(VALU_DEP_1)
	v_cmp_lt_f32_e32 vcc_lo, v1, v44
	v_dual_mov_b32 v3, v39 :: v_dual_mov_b32 v10, v46
	v_dual_mov_b32 v5, v41 :: v_dual_mov_b32 v12, v48
	v_dual_cndmask_b32 v121, v68, v67 :: v_dual_mov_b32 v2, v38
	v_dual_cndmask_b32 v67, v67, v68 :: v_dual_cndmask_b32 v122, v56, v55
	v_dual_cndmask_b32 v55, v55, v56 :: v_dual_cndmask_b32 v8, v44, v1
	v_dual_cndmask_b32 v7, v43, v44 :: v_dual_mov_b32 v4, v40
	v_dual_mov_b32 v1, v37 :: v_dual_mov_b32 v6, v42
	v_mov_b32_e32 v9, v45
	v_mov_b32_e32 v11, v47
	s_mov_b32 s2, exec_lo
	v_cmpx_lt_f32_e32 v37, v38
	s_cbranch_execz .LBB110_107
; %bb.106:
	v_dual_mov_b32 v13, v2 :: v_dual_mov_b32 v14, v1
	v_dual_mov_b32 v15, v3 :: v_dual_mov_b32 v16, v4
	;; [unrolled: 1-line block ×6, first 2 shown]
	v_mov_b32_e32 v25, v61
	v_mov_b32_e32 v26, v49
	v_dual_mov_b32 v1, v13 :: v_dual_mov_b32 v4, v16
	v_swap_b32 v61, v62
	v_swap_b32 v49, v50
	v_dual_mov_b32 v2, v14 :: v_dual_mov_b32 v3, v15
	v_dual_mov_b32 v5, v17 :: v_dual_mov_b32 v6, v18
	;; [unrolled: 1-line block ×5, first 2 shown]
	v_mov_b32_e32 v38, v37
.LBB110_107:
	s_or_b32 exec_lo, exec_lo, s2
	v_mov_b32_e32 v56, v122
	v_mov_b32_e32 v68, v121
	;; [unrolled: 1-line block ×3, first 2 shown]
	v_dual_mov_b32 v27, v51 :: v_dual_mov_b32 v84, v72
	v_mov_b32_e32 v81, v69
	v_dual_mov_b32 v83, v71 :: v_dual_mov_b32 v96, v60
	v_dual_mov_b32 v91, v55 :: v_dual_mov_b32 v120, v72
	;; [unrolled: 1-line block ×31, first 2 shown]
	v_mov_b32_e32 v24, v60
	s_mov_b32 s2, exec_lo
	v_dual_mov_b32 v118, v70 :: v_dual_mov_b32 v115, v67
	v_dual_mov_b32 v116, v68 :: v_dual_mov_b32 v113, v65
	;; [unrolled: 1-line block ×3, first 2 shown]
	v_cmpx_lt_f32_e32 v38, v3
	s_cbranch_execz .LBB110_109
; %bb.108:
	v_dual_mov_b32 v13, v49 :: v_dual_mov_b32 v14, v50
	v_dual_mov_b32 v23, v59 :: v_dual_mov_b32 v24, v60
	;; [unrolled: 1-line block ×30, first 2 shown]
	v_mov_b32_e32 v112, v64
	v_dual_mov_b32 v34, v94 :: v_dual_mov_b32 v35, v95
	v_dual_mov_b32 v35, v59 :: v_dual_mov_b32 v34, v58
	;; [unrolled: 1-line block ×15, first 2 shown]
	v_mov_b32_e32 v81, v69
	v_dual_mov_b32 v80, v121 :: v_dual_mov_b32 v83, v71
	v_mov_b32_e32 v82, v70
	v_dual_mov_b32 v84, v72 :: v_dual_mov_b32 v37, v38
	v_mov_b32_e32 v63, v62
	v_mov_b32_e32 v51, v50
.LBB110_109:
	s_or_b32 exec_lo, exec_lo, s2
	v_mov_b32_e32 v38, v4
	s_mov_b32 s2, exec_lo
	v_cmpx_lt_f32_e32 v37, v4
	s_cbranch_execz .LBB110_111
; %bb.110:
	v_mov_b32_e32 v15, v52
	v_mov_b32_e32 v96, v24
	;; [unrolled: 1-line block ×3, first 2 shown]
	v_dual_mov_b32 v88, v51 :: v_dual_mov_b32 v99, v64
	v_dual_mov_b32 v94, v22 :: v_dual_mov_b32 v85, v13
	v_dual_mov_b32 v120, v108 :: v_dual_mov_b32 v109, v97
	v_mov_b32_e32 v95, v23
	v_dual_mov_b32 v93, v21 :: v_dual_mov_b32 v92, v20
	v_dual_mov_b32 v91, v19 :: v_dual_mov_b32 v90, v18
	;; [unrolled: 1-line block ×7, first 2 shown]
	v_mov_b32_e32 v87, v15
	v_dual_mov_b32 v111, v99 :: v_dual_mov_b32 v110, v98
	v_dual_mov_b32 v112, v63 :: v_dual_mov_b32 v25, v85
	;; [unrolled: 1-line block ×3, first 2 shown]
	s_delay_alu instid0(VALU_DEP_3)
	v_dual_mov_b32 v74, v110 :: v_dual_mov_b32 v29, v89
	v_dual_mov_b32 v30, v90 :: v_dual_mov_b32 v31, v91
	;; [unrolled: 1-line block ×8, first 2 shown]
	v_mov_b32_e32 v84, v120
	v_dual_mov_b32 v3, v4 :: v_dual_mov_b32 v4, v37
	v_dual_mov_b32 v27, v87 :: v_dual_mov_b32 v28, v88
	v_dual_mov_b32 v29, v53 :: v_dual_mov_b32 v30, v54
	v_dual_mov_b32 v31, v55 :: v_dual_mov_b32 v32, v122
	v_dual_mov_b32 v33, v57 :: v_dual_mov_b32 v34, v58
	v_dual_mov_b32 v35, v59 :: v_dual_mov_b32 v36, v60
	v_dual_mov_b32 v75, v111 :: v_dual_mov_b32 v76, v112
	v_dual_mov_b32 v77, v65 :: v_dual_mov_b32 v78, v66
	v_dual_mov_b32 v79, v67 :: v_dual_mov_b32 v80, v121
	v_dual_mov_b32 v81, v69 :: v_dual_mov_b32 v82, v70
	v_dual_mov_b32 v83, v71 :: v_dual_mov_b32 v84, v72
	v_mov_b32_e32 v38, v37
	v_mov_b32_e32 v64, v63
	;; [unrolled: 1-line block ×3, first 2 shown]
.LBB110_111:
	s_or_b32 exec_lo, exec_lo, s2
	v_mov_b32_e32 v16, v5
	s_mov_b32 s2, exec_lo
	v_cmpx_lt_f32_e32 v38, v5
	s_cbranch_execz .LBB110_113
; %bb.112:
	v_mov_b32_e32 v100, v65
	v_mov_b32_e32 v16, v53
	v_dual_mov_b32 v4, v5 :: v_dual_mov_b32 v5, v38
	v_dual_mov_b32 v36, v24 :: v_dual_mov_b32 v33, v21
	;; [unrolled: 1-line block ×3, first 2 shown]
	v_mov_b32_e32 v31, v19
	v_dual_mov_b32 v35, v59 :: v_dual_mov_b32 v34, v58
	v_dual_mov_b32 v73, v97 :: v_dual_mov_b32 v32, v20
	;; [unrolled: 1-line block ×8, first 2 shown]
	v_mov_b32_e32 v77, v64
	v_dual_mov_b32 v84, v108 :: v_dual_mov_b32 v79, v67
	v_dual_mov_b32 v120, v108 :: v_dual_mov_b32 v115, v103
	v_dual_mov_b32 v96, v24 :: v_dual_mov_b32 v91, v19
	v_dual_mov_b32 v28, v16 :: v_dual_mov_b32 v25, v13
	v_dual_mov_b32 v26, v14 :: v_dual_mov_b32 v29, v52
	v_dual_mov_b32 v30, v54 :: v_dual_mov_b32 v31, v55
	v_dual_mov_b32 v32, v122 :: v_dual_mov_b32 v33, v57
	v_dual_mov_b32 v36, v60 :: v_dual_mov_b32 v75, v99
	v_dual_mov_b32 v78, v66 :: v_dual_mov_b32 v81, v69
	v_dual_mov_b32 v80, v121 :: v_dual_mov_b32 v83, v71
	v_dual_mov_b32 v82, v70 :: v_dual_mov_b32 v119, v107
	v_dual_mov_b32 v84, v72 :: v_dual_mov_b32 v117, v105
	v_dual_mov_b32 v116, v104 :: v_dual_mov_b32 v111, v99
	v_dual_mov_b32 v114, v102 :: v_dual_mov_b32 v109, v97
	v_dual_mov_b32 v112, v100 :: v_dual_mov_b32 v95, v23
	v_dual_mov_b32 v110, v98 :: v_dual_mov_b32 v93, v21
	v_dual_mov_b32 v94, v22 :: v_dual_mov_b32 v89, v17
	v_dual_mov_b32 v92, v20 :: v_dual_mov_b32 v87, v15
	v_dual_mov_b32 v90, v18 :: v_dual_mov_b32 v85, v13
	v_mov_b32_e32 v88, v16
	v_dual_mov_b32 v86, v14 :: v_dual_mov_b32 v65, v64
	v_dual_mov_b32 v16, v38 :: v_dual_mov_b32 v53, v52
	;; [unrolled: 1-line block ×3, first 2 shown]
.LBB110_113:
	s_or_b32 exec_lo, exec_lo, s2
	v_mov_b32_e32 v13, v6
	s_mov_b32 s2, exec_lo
	v_cmpx_lt_f32_e32 v16, v6
	s_cbranch_execz .LBB110_115
; %bb.114:
	v_dual_mov_b32 v89, v54 :: v_dual_mov_b32 v90, v53
	v_dual_mov_b32 v91, v55 :: v_dual_mov_b32 v92, v122
	;; [unrolled: 1-line block ×21, first 2 shown]
	v_mov_b32_e32 v13, v16
.LBB110_115:
	s_or_b32 exec_lo, exec_lo, s2
	s_delay_alu instid0(VALU_DEP_1)
	v_cmp_lt_f32_e32 vcc_lo, v13, v7
	v_dual_mov_b32 v14, v2 :: v_dual_mov_b32 v17, v5
	v_dual_mov_b32 v16, v4 :: v_dual_mov_b32 v21, v9
	v_dual_cndmask_b32 v37, v79, v78 :: v_dual_cndmask_b32 v78, v78, v79
	v_cndmask_b32_e32 v38, v31, v30, vcc_lo
	v_dual_cndmask_b32 v30, v30, v31 :: v_dual_cndmask_b32 v19, v7, v13
	v_dual_cndmask_b32 v18, v6, v7 :: v_dual_mov_b32 v15, v3
	v_dual_mov_b32 v13, v1 :: v_dual_mov_b32 v20, v8
	v_dual_mov_b32 v23, v11 :: v_dual_mov_b32 v22, v10
	v_mov_b32_e32 v24, v12
	s_mov_b32 s2, exec_lo
	v_cmpx_lt_f32_e32 v1, v2
	s_cbranch_execz .LBB110_117
; %bb.116:
	v_dual_mov_b32 v2, v14 :: v_dual_mov_b32 v3, v13
	v_dual_mov_b32 v12, v23 :: v_dual_mov_b32 v13, v24
	;; [unrolled: 1-line block ×6, first 2 shown]
	v_mov_b32_e32 v24, v13
	v_mov_b32_e32 v31, v73
	v_dual_mov_b32 v39, v25 :: v_dual_mov_b32 v18, v7
	v_swap_b32 v73, v74
	v_swap_b32 v25, v26
	v_dual_mov_b32 v23, v12 :: v_dual_mov_b32 v20, v9
	v_dual_mov_b32 v22, v11 :: v_dual_mov_b32 v21, v10
	;; [unrolled: 1-line block ×4, first 2 shown]
	v_mov_b32_e32 v15, v4
	v_dual_mov_b32 v13, v2 :: v_dual_mov_b32 v2, v1
.LBB110_117:
	s_or_b32 exec_lo, exec_lo, s2
	v_mov_b32_e32 v31, v38
	v_dual_mov_b32 v79, v37 :: v_dual_mov_b32 v50, v36
	v_dual_mov_b32 v51, v73 :: v_dual_mov_b32 v52, v74
	;; [unrolled: 1-line block ×24, first 2 shown]
	v_mov_b32_e32 v85, v25
	v_mov_b32_e32 v1, v15
	s_mov_b32 s2, exec_lo
	v_cmpx_lt_f32_e32 v2, v15
	s_cbranch_execz .LBB110_119
; %bb.118:
	v_dual_mov_b32 v96, v36 :: v_dual_mov_b32 v95, v35
	v_dual_mov_b32 v86, v26 :: v_dual_mov_b32 v85, v25
	;; [unrolled: 1-line block ×8, first 2 shown]
	v_mov_b32_e32 v105, v81
	v_dual_mov_b32 v43, v89 :: v_dual_mov_b32 v44, v90
	v_dual_mov_b32 v100, v76 :: v_dual_mov_b32 v97, v73
	;; [unrolled: 1-line block ×6, first 2 shown]
	v_mov_b32_e32 v98, v74
	v_dual_mov_b32 v98, v75 :: v_dual_mov_b32 v99, v74
	v_dual_mov_b32 v49, v95 :: v_dual_mov_b32 v50, v96
	;; [unrolled: 1-line block ×12, first 2 shown]
	v_mov_b32_e32 v40, v86
	v_dual_mov_b32 v42, v28 :: v_dual_mov_b32 v43, v29
	v_dual_mov_b32 v45, v38 :: v_dual_mov_b32 v46, v32
	;; [unrolled: 1-line block ×9, first 2 shown]
	v_mov_b32_e32 v75, v74
	v_mov_b32_e32 v27, v26
.LBB110_119:
	s_or_b32 exec_lo, exec_lo, s2
	v_mov_b32_e32 v2, v16
	s_mov_b32 s2, exec_lo
	v_cmpx_lt_f32_e32 v1, v16
	s_cbranch_execz .LBB110_121
; %bb.120:
	v_mov_b32_e32 v87, v28
	v_mov_b32_e32 v99, v76
	v_dual_mov_b32 v15, v16 :: v_dual_mov_b32 v16, v1
	v_dual_mov_b32 v39, v85 :: v_dual_mov_b32 v42, v88
	;; [unrolled: 1-line block ×13, first 2 shown]
	v_mov_b32_e32 v56, v78
	v_mov_b32_e32 v40, v86
	v_dual_mov_b32 v42, v27 :: v_dual_mov_b32 v43, v29
	v_dual_mov_b32 v45, v38 :: v_dual_mov_b32 v46, v32
	;; [unrolled: 1-line block ×8, first 2 shown]
	v_mov_b32_e32 v2, v1
	v_mov_b32_e32 v76, v75
	;; [unrolled: 1-line block ×3, first 2 shown]
.LBB110_121:
	s_or_b32 exec_lo, exec_lo, s2
	v_mov_b32_e32 v1, v17
	s_mov_b32 s2, exec_lo
	v_cmpx_lt_f32_e32 v2, v17
	s_cbranch_execz .LBB110_123
; %bb.122:
	v_dual_mov_b32 v106, v82 :: v_dual_mov_b32 v107, v83
	v_dual_mov_b32 v88, v29 :: v_dual_mov_b32 v89, v28
	;; [unrolled: 1-line block ×8, first 2 shown]
	v_mov_b32_e32 v108, v84
	v_dual_mov_b32 v16, v17 :: v_dual_mov_b32 v17, v2
	v_dual_mov_b32 v96, v36 :: v_dual_mov_b32 v51, v97
	;; [unrolled: 1-line block ×14, first 2 shown]
.LBB110_123:
	s_or_b32 exec_lo, exec_lo, s2
	s_delay_alu instid0(VALU_DEP_1)
	v_cmp_lt_f32_e32 vcc_lo, v1, v18
	v_dual_mov_b32 v27, v13 :: v_dual_mov_b32 v34, v20
	v_dual_mov_b32 v29, v15 :: v_dual_mov_b32 v36, v22
	v_dual_cndmask_b32 v63, v56, v55 :: v_dual_cndmask_b32 v32, v18, v1
	v_dual_cndmask_b32 v55, v55, v56 :: v_dual_cndmask_b32 v64, v44, v43
	v_dual_cndmask_b32 v43, v43, v44 :: v_dual_mov_b32 v28, v14
	v_dual_cndmask_b32 v31, v17, v18 :: v_dual_mov_b32 v30, v16
	v_dual_mov_b32 v33, v19 :: v_dual_mov_b32 v38, v24
	v_mov_b32_e32 v35, v21
	v_mov_b32_e32 v37, v23
	s_mov_b32 s2, exec_lo
	v_cmpx_lt_f32_e32 v13, v14
	s_cbranch_execz .LBB110_125
; %bb.124:
	s_delay_alu instid0(VALU_DEP_2)
	v_dual_mov_b32 v11, v37 :: v_dual_mov_b32 v12, v38
	v_dual_mov_b32 v1, v28 :: v_dual_mov_b32 v2, v27
	;; [unrolled: 1-line block ×7, first 2 shown]
	s_delay_alu instid0(VALU_DEP_2)
	v_dual_mov_b32 v16, v39 :: v_dual_mov_b32 v35, v9
	v_swap_b32 v51, v52
	v_swap_b32 v39, v40
	v_dual_mov_b32 v37, v11 :: v_dual_mov_b32 v36, v10
	v_dual_mov_b32 v34, v8 :: v_dual_mov_b32 v33, v7
	;; [unrolled: 1-line block ×5, first 2 shown]
	v_mov_b32_e32 v14, v13
.LBB110_125:
	s_or_b32 exec_lo, exec_lo, s2
	v_mov_b32_e32 v44, v64
	v_mov_b32_e32 v56, v63
	;; [unrolled: 1-line block ×4, first 2 shown]
	v_dual_mov_b32 v15, v51 :: v_dual_mov_b32 v2, v40
	v_dual_mov_b32 v16, v52 :: v_dual_mov_b32 v17, v53
	;; [unrolled: 1-line block ×11, first 2 shown]
	v_mov_b32_e32 v12, v50
	s_mov_b32 s2, exec_lo
	v_cmpx_lt_f32_e32 v14, v29
	s_cbranch_execz .LBB110_127
; %bb.126:
	v_dual_mov_b32 v1, v39 :: v_dual_mov_b32 v2, v40
	v_dual_mov_b32 v11, v49 :: v_dual_mov_b32 v12, v50
	;; [unrolled: 1-line block ×25, first 2 shown]
	v_mov_b32_e32 v41, v40
.LBB110_127:
	s_or_b32 exec_lo, exec_lo, s2
	v_mov_b32_e32 v39, v30
	s_mov_b32 s2, exec_lo
	v_cmpx_lt_f32_e32 v13, v30
	s_cbranch_execz .LBB110_129
; %bb.128:
	v_dual_mov_b32 v29, v30 :: v_dual_mov_b32 v30, v13
	v_dual_mov_b32 v3, v42 :: v_dual_mov_b32 v4, v41
	;; [unrolled: 1-line block ×11, first 2 shown]
	v_mov_b32_e32 v39, v13
.LBB110_129:
	s_or_b32 exec_lo, exec_lo, s2
	s_delay_alu instid0(VALU_DEP_1)
	v_cmp_lt_f32_e32 vcc_lo, v39, v31
	v_dual_mov_b32 v40, v28 :: v_dual_mov_b32 v45, v33
	v_dual_mov_b32 v44, v32 :: v_dual_mov_b32 v47, v35
	v_dual_cndmask_b32 v13, v19, v18 :: v_dual_cndmask_b32 v18, v18, v19
	v_dual_cndmask_b32 v14, v5, v4 :: v_dual_cndmask_b32 v43, v31, v39
	v_dual_cndmask_b32 v4, v4, v5 :: v_dual_mov_b32 v39, v27
	v_dual_cndmask_b32 v42, v30, v31 :: v_dual_mov_b32 v41, v29
	v_dual_mov_b32 v46, v34 :: v_dual_mov_b32 v49, v37
	v_mov_b32_e32 v48, v36
	v_mov_b32_e32 v50, v38
	s_mov_b32 s2, exec_lo
	v_cmpx_lt_f32_e32 v27, v28
	s_cbranch_execz .LBB110_131
; %bb.130:
	v_dual_mov_b32 v28, v40 :: v_dual_mov_b32 v29, v39
	v_dual_mov_b32 v38, v49 :: v_dual_mov_b32 v39, v50
	;; [unrolled: 1-line block ×7, first 2 shown]
	v_mov_b32_e32 v5, v15
	v_swap_b32 v15, v16
	s_delay_alu instid0(VALU_DEP_4)
	v_mov_b32_e32 v48, v37
	v_swap_b32 v1, v2
	v_dual_mov_b32 v49, v38 :: v_dual_mov_b32 v46, v35
	v_dual_mov_b32 v47, v36 :: v_dual_mov_b32 v44, v33
	;; [unrolled: 1-line block ×4, first 2 shown]
	v_mov_b32_e32 v41, v30
	v_dual_mov_b32 v39, v28 :: v_dual_mov_b32 v28, v27
.LBB110_131:
	s_or_b32 exec_lo, exec_lo, s2
	v_mov_b32_e32 v5, v14
	v_mov_b32_e32 v19, v13
	;; [unrolled: 1-line block ×3, first 2 shown]
	s_mov_b32 s2, exec_lo
	v_cmpx_lt_f32_e32 v28, v41
	s_cbranch_execz .LBB110_133
; %bb.132:
	v_dual_mov_b32 v74, v26 :: v_dual_mov_b32 v73, v25
	v_dual_mov_b32 v62, v12 :: v_dual_mov_b32 v61, v11
	;; [unrolled: 1-line block ×22, first 2 shown]
	v_mov_b32_e32 v74, v26
	v_dual_mov_b32 v40, v41 :: v_dual_mov_b32 v41, v28
	v_dual_mov_b32 v62, v12 :: v_dual_mov_b32 v15, v63
	;; [unrolled: 1-line block ×14, first 2 shown]
.LBB110_133:
	s_or_b32 exec_lo, exec_lo, s2
	s_delay_alu instid0(VALU_DEP_1)
	v_cmp_lt_f32_e32 vcc_lo, v27, v42
	v_dual_mov_b32 v28, v23 :: v_dual_mov_b32 v29, v24
	v_dual_mov_b32 v30, v25 :: v_dual_mov_b32 v31, v26
	v_dual_cndmask_b32 v13, v18, v17 :: v_dual_cndmask_b32 v14, v4, v3
	v_dual_cndmask_b32 v51, v17, v18 :: v_dual_cndmask_b32 v56, v3, v4
	;; [unrolled: 1-line block ×3, first 2 shown]
	v_cmp_lt_f32_e32 vcc_lo, v39, v40
	v_dual_mov_b32 v4, v19 :: v_dual_mov_b32 v17, v20
	v_dual_mov_b32 v18, v21 :: v_dual_mov_b32 v27, v22
	;; [unrolled: 1-line block ×10, first 2 shown]
	v_mov_b32_e32 v59, v50
	s_and_saveexec_b32 s2, vcc_lo
	s_cbranch_execz .LBB110_135
; %bb.134:
	v_dual_mov_b32 v42, v40 :: v_dual_mov_b32 v27, v22
	v_dual_mov_b32 v4, v15 :: v_dual_mov_b32 v17, v20
	;; [unrolled: 1-line block ×3, first 2 shown]
	v_swap_b32 v15, v16
	v_swap_b32 v1, v2
	v_dual_mov_b32 v40, v39 :: v_dual_mov_b32 v29, v24
	v_dual_mov_b32 v4, v19 :: v_dual_mov_b32 v31, v26
	;; [unrolled: 1-line block ×11, first 2 shown]
	v_mov_b32_e32 v54, v46
	v_mov_b32_e32 v58, v49
.LBB110_135:
	s_or_b32 exec_lo, exec_lo, s2
	s_clause 0x1
	s_load_b32 s8, s[0:1], 0x28
	s_load_b128 s[4:7], s[0:1], 0x10
	s_waitcnt lgkmcnt(0)
	s_cmp_lt_i32 s8, 1
	s_cbranch_scc1 .LBB110_141
; %bb.136:
	v_cmp_lt_f32_e32 vcc_lo, v40, v60
	v_dual_mov_b32 v7, 0 :: v_dual_mov_b32 v6, 0
	s_mov_b32 s9, 0x76543210
	s_mov_b32 s10, s8
	v_dual_cndmask_b32 v5, v56, v2 :: v_dual_cndmask_b32 v12, v61, v60
	v_dual_cndmask_b32 v10, v2, v56 :: v_dual_cndmask_b32 v19, v16, v51
	v_cndmask_b32_e32 v2, v60, v40, vcc_lo
	v_cndmask_b32_e32 v8, v51, v16, vcc_lo
	s_delay_alu instid0(VALU_DEP_4) | instskip(NEXT) | instid1(VALU_DEP_1)
	v_cmp_lt_f32_e64 s2, v39, v12
	v_cndmask_b32_e64 v9, v10, v1, s2
	v_cndmask_b32_e64 v10, v1, v10, s2
	;; [unrolled: 1-line block ×6, first 2 shown]
	v_mov_b32_e32 v19, v0
	v_mov_b32_e32 v1, 0
.LBB110_137:                            ; =>This Inner Loop Header: Depth=1
	v_cmp_eq_u32_e32 vcc_lo, 1, v7
	v_cmp_eq_u32_e64 s2, 2, v7
	v_cmp_gt_u32_e64 s3, 12, v7
	v_dual_cndmask_b32 v20, v12, v11 :: v_dual_cndmask_b32 v21, v10, v9
	s_delay_alu instid0(VALU_DEP_1) | instskip(NEXT) | instid1(VALU_DEP_2)
	v_cndmask_b32_e64 v20, v20, v2, s2
	v_cndmask_b32_e64 v21, v21, v5, s2
	v_cndmask_b32_e32 v22, v15, v16, vcc_lo
	v_cmp_eq_u32_e32 vcc_lo, 3, v7
	s_delay_alu instid0(VALU_DEP_3) | instskip(NEXT) | instid1(VALU_DEP_3)
	v_cndmask_b32_e32 v21, v21, v14, vcc_lo
	v_cndmask_b32_e64 v22, v22, v8, s2
	v_cmp_eq_u32_e64 s2, 4, v7
	s_delay_alu instid0(VALU_DEP_2) | instskip(NEXT) | instid1(VALU_DEP_2)
	v_cndmask_b32_e32 v22, v22, v13, vcc_lo
	v_cndmask_b32_e64 v21, v21, v32, s2
	v_cndmask_b32_e32 v20, v20, v3, vcc_lo
	v_cmp_eq_u32_e32 vcc_lo, 5, v7
	s_delay_alu instid0(VALU_DEP_4) | instskip(NEXT) | instid1(VALU_DEP_4)
	v_cndmask_b32_e64 v22, v22, v4, s2
	v_cndmask_b32_e32 v21, v21, v33, vcc_lo
	s_delay_alu instid0(VALU_DEP_4) | instskip(SKIP_1) | instid1(VALU_DEP_4)
	v_cndmask_b32_e64 v20, v20, v42, s2
	v_cmp_eq_u32_e64 s2, 6, v7
	v_cndmask_b32_e32 v22, v22, v17, vcc_lo
	s_delay_alu instid0(VALU_DEP_3) | instskip(SKIP_1) | instid1(VALU_DEP_4)
	v_cndmask_b32_e32 v20, v20, v52, vcc_lo
	v_cmp_eq_u32_e32 vcc_lo, 7, v7
	v_cndmask_b32_e64 v21, v21, v34, s2
	s_delay_alu instid0(VALU_DEP_4) | instskip(NEXT) | instid1(VALU_DEP_4)
	v_cndmask_b32_e64 v22, v22, v18, s2
	v_cndmask_b32_e64 v20, v20, v53, s2
	v_cmp_eq_u32_e64 s2, 8, v7
	s_delay_alu instid0(VALU_DEP_4) | instskip(NEXT) | instid1(VALU_DEP_4)
	v_cndmask_b32_e32 v21, v21, v35, vcc_lo
	v_cndmask_b32_e32 v22, v22, v27, vcc_lo
	s_delay_alu instid0(VALU_DEP_4) | instskip(SKIP_1) | instid1(VALU_DEP_4)
	v_cndmask_b32_e32 v20, v20, v54, vcc_lo
	v_cmp_eq_u32_e32 vcc_lo, 9, v7
	v_cndmask_b32_e64 v21, v21, v36, s2
	s_delay_alu instid0(VALU_DEP_4) | instskip(NEXT) | instid1(VALU_DEP_4)
	v_cndmask_b32_e64 v22, v22, v28, s2
	v_cndmask_b32_e64 v20, v20, v55, s2
	v_cmp_eq_u32_e64 s2, 10, v7
	s_delay_alu instid0(VALU_DEP_4) | instskip(NEXT) | instid1(VALU_DEP_4)
	v_cndmask_b32_e32 v21, v21, v37, vcc_lo
	v_cndmask_b32_e32 v22, v22, v29, vcc_lo
	s_delay_alu instid0(VALU_DEP_4) | instskip(SKIP_1) | instid1(VALU_DEP_4)
	v_cndmask_b32_e32 v20, v20, v57, vcc_lo
	v_cmp_eq_u32_e32 vcc_lo, 11, v7
	v_cndmask_b32_e64 v21, v21, v38, s2
	s_delay_alu instid0(VALU_DEP_3) | instskip(NEXT) | instid1(VALU_DEP_1)
	v_cndmask_b32_e64 v20, v20, v58, s2
	v_dual_cndmask_b32 v21, v21, v41 :: v_dual_cndmask_b32 v20, v20, v59
	s_delay_alu instid0(VALU_DEP_1)
	v_cndmask_b32_e64 v20, 0xff800000, v20, s3
	;;#ASMSTART
	v_max_f32 v23, v20, v20 quad_perm:[1,0,3,2] row_mask:0xf bank_mask:0xf bound_ctrl:1
	;;#ASMEND
	;;#ASMSTART
	v_max_f32 v24, v23, v23 quad_perm:[2,3,0,1] row_mask:0xf bank_mask:0xf bound_ctrl:1
	;;#ASMEND
	;;#ASMSTART
	v_max_f32 v23, v24, v24 row_half_mirror row_mask:0xf bank_mask:0xf bound_ctrl:1
	;;#ASMEND
	;;#ASMSTART
	v_max_f32 v24, v23, v23 row_mirror row_mask:0xf bank_mask:0xf bound_ctrl:1
	;;#ASMEND
	v_permlanex16_b32 v23, v24, s9, 0xfedcba98 op_sel:[1,1]
	s_delay_alu instid0(VALU_DEP_1) | instskip(NEXT) | instid1(VALU_DEP_1)
	v_dual_max_f32 v24, v24, v24 :: v_dual_max_f32 v23, v23, v23
	v_max_f32_e32 v23, v24, v23
	v_cndmask_b32_e64 v22, v22, v30, s2
	s_delay_alu instid0(VALU_DEP_2) | instskip(SKIP_1) | instid1(VALU_DEP_2)
	v_cmp_eq_f32_e64 s2, v20, v23
	v_cndmask_b32_e64 v20, 0, v21, s3
	s_ctz_i32_b32 s11, s2
	s_cmp_lg_u32 s2, 0
	s_cselect_b32 s2, s11, 0
	s_add_i32 s10, s10, -1
	v_readlane_b32 s11, v20, s2
	v_cndmask_b32_e32 v20, v22, v31, vcc_lo
	s_delay_alu instid0(VALU_DEP_2)
	v_cmp_eq_u32_e32 vcc_lo, s11, v21
	s_and_b32 s2, s11, 31
	s_and_b32 vcc_lo, s3, vcc_lo
	s_cmp_eq_u32 s10, 0
	v_cndmask_b32_e32 v20, 0, v20, vcc_lo
	v_add_co_ci_u32_e32 v7, vcc_lo, 0, v7, vcc_lo
	s_delay_alu instid0(VALU_DEP_2) | instskip(SKIP_2) | instid1(VALU_DEP_2)
	v_readlane_b32 s3, v20, s2
	v_cmp_eq_u32_e64 s2, 0, v19
	v_add_nc_u32_e32 v19, -1, v19
	v_cndmask_b32_e64 v6, v6, s3, s2
	v_cndmask_b32_e64 v1, v1, s11, s2
	s_cbranch_scc0 .LBB110_137
; %bb.138:
	s_mov_b32 s2, exec_lo
	v_cmpx_gt_i32_e64 s8, v0
	s_cbranch_execz .LBB110_140
.LBB110_139:
	s_clause 0x1
	s_load_b64 s[2:3], s[0:1], 0x20
	s_load_b32 s8, s[0:1], 0x30
	s_ashr_i32 s0, s15, 31
	s_waitcnt lgkmcnt(0)
	s_mul_i32 s1, s15, s3
	s_mul_hi_u32 s3, s15, s2
	s_mul_i32 s0, s0, s2
	s_add_i32 s1, s3, s1
	v_mul_f32_e32 v0, s8, v6
	s_add_i32 s1, s1, s0
	s_mul_i32 s0, s15, s2
	s_delay_alu instid0(SALU_CYCLE_1) | instskip(NEXT) | instid1(SALU_CYCLE_1)
	s_lshl_b64 s[0:1], s[0:1], 2
	s_add_u32 s2, s4, s0
	s_addc_u32 s3, s5, s1
	s_add_u32 s0, s6, s0
	s_addc_u32 s1, s7, s1
	s_clause 0x1
	global_store_b32 v183, v0, s[2:3]
	global_store_b32 v183, v1, s[0:1]
.LBB110_140:
	s_endpgm
.LBB110_141:
	v_dual_mov_b32 v1, 0 :: v_dual_mov_b32 v6, 0
	s_mov_b32 s2, exec_lo
	v_cmpx_gt_i32_e64 s8, v0
	s_cbranch_execnz .LBB110_139
	s_branch .LBB110_140
	.section	.rodata,"a",@progbits
	.p2align	6, 0x0
	.amdhsa_kernel _ZN5aiter24topk_softplus_kernel_optI6__halffLi384ELb0ELi1EEEvPKT_PKT0_PfPimiif
		.amdhsa_group_segment_fixed_size 0
		.amdhsa_private_segment_fixed_size 196
		.amdhsa_kernarg_size 52
		.amdhsa_user_sgpr_count 15
		.amdhsa_user_sgpr_dispatch_ptr 0
		.amdhsa_user_sgpr_queue_ptr 0
		.amdhsa_user_sgpr_kernarg_segment_ptr 1
		.amdhsa_user_sgpr_dispatch_id 0
		.amdhsa_user_sgpr_private_segment_size 0
		.amdhsa_wavefront_size32 1
		.amdhsa_uses_dynamic_stack 0
		.amdhsa_enable_private_segment 1
		.amdhsa_system_sgpr_workgroup_id_x 1
		.amdhsa_system_sgpr_workgroup_id_y 0
		.amdhsa_system_sgpr_workgroup_id_z 0
		.amdhsa_system_sgpr_workgroup_info 0
		.amdhsa_system_vgpr_workitem_id 0
		.amdhsa_next_free_vgpr 184
		.amdhsa_next_free_sgpr 16
		.amdhsa_reserve_vcc 1
		.amdhsa_float_round_mode_32 0
		.amdhsa_float_round_mode_16_64 0
		.amdhsa_float_denorm_mode_32 3
		.amdhsa_float_denorm_mode_16_64 3
		.amdhsa_dx10_clamp 1
		.amdhsa_ieee_mode 1
		.amdhsa_fp16_overflow 0
		.amdhsa_workgroup_processor_mode 1
		.amdhsa_memory_ordered 1
		.amdhsa_forward_progress 0
		.amdhsa_shared_vgpr_count 0
		.amdhsa_exception_fp_ieee_invalid_op 0
		.amdhsa_exception_fp_denorm_src 0
		.amdhsa_exception_fp_ieee_div_zero 0
		.amdhsa_exception_fp_ieee_overflow 0
		.amdhsa_exception_fp_ieee_underflow 0
		.amdhsa_exception_fp_ieee_inexact 0
		.amdhsa_exception_int_div_zero 0
	.end_amdhsa_kernel
	.section	.text._ZN5aiter24topk_softplus_kernel_optI6__halffLi384ELb0ELi1EEEvPKT_PKT0_PfPimiif,"axG",@progbits,_ZN5aiter24topk_softplus_kernel_optI6__halffLi384ELb0ELi1EEEvPKT_PKT0_PfPimiif,comdat
.Lfunc_end110:
	.size	_ZN5aiter24topk_softplus_kernel_optI6__halffLi384ELb0ELi1EEEvPKT_PKT0_PfPimiif, .Lfunc_end110-_ZN5aiter24topk_softplus_kernel_optI6__halffLi384ELb0ELi1EEEvPKT_PKT0_PfPimiif
                                        ; -- End function
	.section	.AMDGPU.csdata,"",@progbits
; Kernel info:
; codeLenInByte = 27924
; NumSgprs: 18
; NumVgprs: 184
; ScratchSize: 196
; MemoryBound: 0
; FloatMode: 240
; IeeeMode: 1
; LDSByteSize: 0 bytes/workgroup (compile time only)
; SGPRBlocks: 2
; VGPRBlocks: 22
; NumSGPRsForWavesPerEU: 18
; NumVGPRsForWavesPerEU: 184
; Occupancy: 8
; WaveLimiterHint : 0
; COMPUTE_PGM_RSRC2:SCRATCH_EN: 1
; COMPUTE_PGM_RSRC2:USER_SGPR: 15
; COMPUTE_PGM_RSRC2:TRAP_HANDLER: 0
; COMPUTE_PGM_RSRC2:TGID_X_EN: 1
; COMPUTE_PGM_RSRC2:TGID_Y_EN: 0
; COMPUTE_PGM_RSRC2:TGID_Z_EN: 0
; COMPUTE_PGM_RSRC2:TIDIG_COMP_CNT: 0
	.section	.text._ZN5aiter20topk_softplus_kernelI6__halffDv4_fLb1ELi1EEEvPKT_PKT0_PfPimiiif,"axG",@progbits,_ZN5aiter20topk_softplus_kernelI6__halffDv4_fLb1ELi1EEEvPKT_PKT0_PfPimiiif,comdat
	.protected	_ZN5aiter20topk_softplus_kernelI6__halffDv4_fLb1ELi1EEEvPKT_PKT0_PfPimiiif ; -- Begin function _ZN5aiter20topk_softplus_kernelI6__halffDv4_fLb1ELi1EEEvPKT_PKT0_PfPimiiif
	.globl	_ZN5aiter20topk_softplus_kernelI6__halffDv4_fLb1ELi1EEEvPKT_PKT0_PfPimiiif
	.p2align	8
	.type	_ZN5aiter20topk_softplus_kernelI6__halffDv4_fLb1ELi1EEEvPKT_PKT0_PfPimiiif,@function
_ZN5aiter20topk_softplus_kernelI6__halffDv4_fLb1ELi1EEEvPKT_PKT0_PfPimiiif: ; @_ZN5aiter20topk_softplus_kernelI6__halffDv4_fLb1ELi1EEEvPKT_PKT0_PfPimiiif
; %bb.0:
	s_clause 0x1
	s_load_b64 s[12:13], s[0:1], 0x28
	s_load_b256 s[4:11], s[0:1], 0x0
	v_lshlrev_b32_e32 v11, 2, v0
	v_lshl_add_u32 v12, v0, 4, 0
	s_waitcnt lgkmcnt(0)
	s_ashr_i32 s2, s12, 31
	s_mul_i32 s16, s15, s12
	s_lshr_b32 s2, s2, 30
	s_ashr_i32 s17, s16, 31
	s_add_i32 s2, s12, s2
	s_delay_alu instid0(SALU_CYCLE_1) | instskip(NEXT) | instid1(SALU_CYCLE_1)
	s_ashr_i32 s14, s2, 2
	v_cmp_gt_i32_e64 s2, s14, v0
	s_delay_alu instid0(VALU_DEP_1)
	s_and_saveexec_b32 s18, s2
	s_cbranch_execz .LBB111_11
; %bb.1:
	s_load_b32 s3, s[0:1], 0x44
	s_cmp_lg_u64 s[6:7], 0
	v_dual_mov_b32 v6, 0 :: v_dual_lshlrev_b32 v1, 3, v0
	s_cselect_b32 s20, -1, 0
	v_dual_mov_b32 v14, v0 :: v_dual_lshlrev_b32 v5, 2, v0
	v_lshl_add_u32 v13, v0, 4, 0
	s_mov_b32 s19, 0
	s_mov_b32 s31, 0xbfb8aa3b
	s_waitcnt lgkmcnt(0)
	s_and_b32 s21, s3, 0xffff
	s_add_u32 s22, s6, 4
	s_addc_u32 s23, s7, 0
	s_add_u32 s24, s6, 8
	s_addc_u32 s25, s7, 0
	;; [unrolled: 2-line block ×3, first 2 shown]
	s_lshl_b64 s[28:29], s[16:17], 1
	s_delay_alu instid0(SALU_CYCLE_1) | instskip(SKIP_2) | instid1(VALU_DEP_1)
	s_add_u32 s3, s4, s28
	s_addc_u32 s29, s5, s29
	v_add_co_u32 v7, s3, s3, v1
	v_add_co_ci_u32_e64 v8, null, s29, 0, s3
	s_lshl_b32 s28, s21, 3
	s_lshl_b32 s29, s21, 2
	;; [unrolled: 1-line block ×3, first 2 shown]
	s_branch .LBB111_3
.LBB111_2:                              ;   in Loop: Header=BB111_3 Depth=1
	v_add_nc_u32_e32 v14, s21, v14
	v_add_co_u32 v7, s3, v7, s28
	ds_store_b128 v13, v[1:4]
	v_add_co_ci_u32_e64 v8, s3, 0, v8, s3
	v_cmp_le_i32_e32 vcc_lo, s14, v14
	v_add_nc_u32_e32 v5, s29, v5
	v_add_nc_u32_e32 v13, s30, v13
	s_or_b32 s19, vcc_lo, s19
	s_delay_alu instid0(SALU_CYCLE_1)
	s_and_not1_b32 exec_lo, exec_lo, s19
	s_cbranch_execz .LBB111_11
.LBB111_3:                              ; =>This Inner Loop Header: Depth=1
	global_load_b64 v[3:4], v[7:8], off
	v_lshlrev_b64 v[9:10], 2, v[5:6]
	s_waitcnt vmcnt(0)
	v_cvt_f32_f16_e32 v1, v3
	s_delay_alu instid0(VALU_DEP_1) | instskip(NEXT) | instid1(VALU_DEP_1)
	v_mul_f32_e32 v1, 0xbfb8aa3b, v1
	v_cmp_gt_f32_e32 vcc_lo, 0xc2fc0000, v1
	v_cndmask_b32_e64 v2, 0, 0x42800000, vcc_lo
	v_cndmask_b32_e64 v1, 1.0, 0x1f800000, vcc_lo
	s_and_not1_b32 vcc_lo, exec_lo, s20
	s_delay_alu instid0(VALU_DEP_2) | instskip(NEXT) | instid1(VALU_DEP_1)
	v_fma_mix_f32 v2, v3, s31, v2 op_sel_hi:[1,0,0]
	v_exp_f32_e32 v2, v2
	s_waitcnt_depctr 0xfff
	v_fma_f32 v1, v2, v1, 1.0
	s_delay_alu instid0(VALU_DEP_1)
	v_rcp_f32_e32 v1, v1
	s_cbranch_vccnz .LBB111_5
; %bb.4:                                ;   in Loop: Header=BB111_3 Depth=1
	v_add_co_u32 v15, vcc_lo, s6, v9
	v_add_co_ci_u32_e32 v16, vcc_lo, s7, v10, vcc_lo
	global_load_b32 v2, v[15:16], off
	s_waitcnt vmcnt(0)
	v_add_f32_e32 v1, v1, v2
.LBB111_5:                              ;   in Loop: Header=BB111_3 Depth=1
	v_lshrrev_b32_e32 v2, 16, v3
	s_delay_alu instid0(VALU_DEP_1) | instskip(NEXT) | instid1(VALU_DEP_1)
	v_cvt_f32_f16_e32 v2, v2
	v_mul_f32_e32 v2, 0xbfb8aa3b, v2
	s_delay_alu instid0(VALU_DEP_1) | instskip(SKIP_3) | instid1(VALU_DEP_2)
	v_cmp_gt_f32_e32 vcc_lo, 0xc2fc0000, v2
	v_cndmask_b32_e64 v15, 0, 0x42800000, vcc_lo
	v_cndmask_b32_e64 v2, 1.0, 0x1f800000, vcc_lo
	s_and_not1_b32 vcc_lo, exec_lo, s20
	v_fma_mix_f32 v3, v3, s31, v15 op_sel:[1,0,0] op_sel_hi:[1,0,0]
	s_delay_alu instid0(VALU_DEP_1) | instskip(SKIP_2) | instid1(VALU_DEP_1)
	v_exp_f32_e32 v3, v3
	s_waitcnt_depctr 0xfff
	v_fma_f32 v2, v3, v2, 1.0
	v_rcp_f32_e32 v2, v2
	s_cbranch_vccnz .LBB111_7
; %bb.6:                                ;   in Loop: Header=BB111_3 Depth=1
	v_add_co_u32 v15, vcc_lo, s22, v9
	v_add_co_ci_u32_e32 v16, vcc_lo, s23, v10, vcc_lo
	global_load_b32 v3, v[15:16], off
	s_waitcnt vmcnt(0)
	v_add_f32_e32 v2, v2, v3
.LBB111_7:                              ;   in Loop: Header=BB111_3 Depth=1
	v_cvt_f32_f16_e32 v3, v4
	s_delay_alu instid0(VALU_DEP_1) | instskip(NEXT) | instid1(VALU_DEP_1)
	v_mul_f32_e32 v3, 0xbfb8aa3b, v3
	v_cmp_gt_f32_e32 vcc_lo, 0xc2fc0000, v3
	v_cndmask_b32_e64 v15, 0, 0x42800000, vcc_lo
	v_cndmask_b32_e64 v3, 1.0, 0x1f800000, vcc_lo
	s_and_not1_b32 vcc_lo, exec_lo, s20
	s_delay_alu instid0(VALU_DEP_2) | instskip(NEXT) | instid1(VALU_DEP_1)
	v_fma_mix_f32 v15, v4, s31, v15 op_sel_hi:[1,0,0]
	v_exp_f32_e32 v15, v15
	s_waitcnt_depctr 0xfff
	v_fma_f32 v3, v15, v3, 1.0
	s_delay_alu instid0(VALU_DEP_1)
	v_rcp_f32_e32 v3, v3
	s_cbranch_vccnz .LBB111_9
; %bb.8:                                ;   in Loop: Header=BB111_3 Depth=1
	v_add_co_u32 v15, vcc_lo, s24, v9
	v_add_co_ci_u32_e32 v16, vcc_lo, s25, v10, vcc_lo
	global_load_b32 v15, v[15:16], off
	s_waitcnt vmcnt(0)
	v_add_f32_e32 v3, v3, v15
.LBB111_9:                              ;   in Loop: Header=BB111_3 Depth=1
	v_lshrrev_b32_e32 v15, 16, v4
	s_delay_alu instid0(VALU_DEP_1) | instskip(NEXT) | instid1(VALU_DEP_1)
	v_cvt_f32_f16_e32 v15, v15
	v_mul_f32_e32 v15, 0xbfb8aa3b, v15
	s_delay_alu instid0(VALU_DEP_1) | instskip(SKIP_3) | instid1(VALU_DEP_2)
	v_cmp_gt_f32_e32 vcc_lo, 0xc2fc0000, v15
	v_cndmask_b32_e64 v16, 0, 0x42800000, vcc_lo
	v_cndmask_b32_e64 v15, 1.0, 0x1f800000, vcc_lo
	s_and_not1_b32 vcc_lo, exec_lo, s20
	v_fma_mix_f32 v4, v4, s31, v16 op_sel:[1,0,0] op_sel_hi:[1,0,0]
	s_delay_alu instid0(VALU_DEP_1) | instskip(SKIP_2) | instid1(VALU_DEP_1)
	v_exp_f32_e32 v4, v4
	s_waitcnt_depctr 0xfff
	v_fma_f32 v4, v4, v15, 1.0
	v_rcp_f32_e32 v4, v4
	s_cbranch_vccnz .LBB111_2
; %bb.10:                               ;   in Loop: Header=BB111_3 Depth=1
	v_add_co_u32 v9, vcc_lo, s26, v9
	v_add_co_ci_u32_e32 v10, vcc_lo, s27, v10, vcc_lo
	global_load_b32 v9, v[9:10], off
	s_waitcnt vmcnt(0)
	v_add_f32_e32 v4, v4, v9
	s_branch .LBB111_2
.LBB111_11:
	s_or_b32 exec_lo, exec_lo, s18
	v_lshl_add_u32 v1, s14, 2, v0
	s_mov_b32 s3, exec_lo
	s_delay_alu instid0(VALU_DEP_1)
	v_cmpx_gt_i32_e64 s12, v1
	s_cbranch_execz .LBB111_16
; %bb.12:
	s_load_b32 s18, s[0:1], 0x44
	s_lshl_b64 s[16:17], s[16:17], 1
	v_lshlrev_b32_e32 v2, 2, v0
	s_add_u32 s4, s4, s16
	s_addc_u32 s5, s5, s17
	s_cmp_lg_u64 s[6:7], 0
	s_mov_b32 s20, 0xbfb8aa3b
	s_cselect_b32 s16, -1, 0
	s_lshl_b32 s17, s14, 4
	s_delay_alu instid0(SALU_CYCLE_1)
	v_add3_u32 v3, 0, s17, v2
	s_waitcnt lgkmcnt(0)
	s_and_b32 s17, s18, 0xffff
	s_mov_b32 s18, 0
	s_lshl_b32 s19, s17, 2
	s_set_inst_prefetch_distance 0x1
	s_branch .LBB111_14
	.p2align	6
.LBB111_13:                             ;   in Loop: Header=BB111_14 Depth=1
	v_add_nc_u32_e32 v1, s17, v1
	v_add_nc_u32_e32 v3, s19, v3
	s_delay_alu instid0(VALU_DEP_2) | instskip(SKIP_1) | instid1(SALU_CYCLE_1)
	v_cmp_le_i32_e32 vcc_lo, s12, v1
	s_or_b32 s18, vcc_lo, s18
	s_and_not1_b32 exec_lo, exec_lo, s18
	s_cbranch_execz .LBB111_16
.LBB111_14:                             ; =>This Inner Loop Header: Depth=1
	v_ashrrev_i32_e32 v2, 31, v1
	s_delay_alu instid0(VALU_DEP_1) | instskip(NEXT) | instid1(VALU_DEP_1)
	v_lshlrev_b64 v[4:5], 1, v[1:2]
	v_add_co_u32 v4, vcc_lo, s4, v4
	s_delay_alu instid0(VALU_DEP_2) | instskip(SKIP_3) | instid1(VALU_DEP_1)
	v_add_co_ci_u32_e32 v5, vcc_lo, s5, v5, vcc_lo
	global_load_u16 v4, v[4:5], off
	s_waitcnt vmcnt(0)
	v_cvt_f32_f16_e32 v5, v4
	v_mul_f32_e32 v5, 0xbfb8aa3b, v5
	s_delay_alu instid0(VALU_DEP_1) | instskip(SKIP_1) | instid1(VALU_DEP_1)
	v_cmp_gt_f32_e32 vcc_lo, 0xc2fc0000, v5
	v_cndmask_b32_e64 v5, 0, 0x42800000, vcc_lo
	v_fma_mix_f32 v4, v4, s20, v5 op_sel_hi:[1,0,0]
	v_cndmask_b32_e64 v5, 1.0, 0x1f800000, vcc_lo
	s_and_not1_b32 vcc_lo, exec_lo, s16
	s_delay_alu instid0(VALU_DEP_2) | instskip(SKIP_2) | instid1(VALU_DEP_1)
	v_exp_f32_e32 v4, v4
	s_waitcnt_depctr 0xfff
	v_fma_f32 v4, v4, v5, 1.0
	v_rcp_f32_e32 v4, v4
	ds_store_b32 v3, v4
	s_cbranch_vccnz .LBB111_13
; %bb.15:                               ;   in Loop: Header=BB111_14 Depth=1
	v_lshlrev_b64 v[5:6], 2, v[1:2]
	s_delay_alu instid0(VALU_DEP_1) | instskip(NEXT) | instid1(VALU_DEP_2)
	v_add_co_u32 v5, vcc_lo, s6, v5
	v_add_co_ci_u32_e32 v6, vcc_lo, s7, v6, vcc_lo
	global_load_b32 v2, v[5:6], off
	s_waitcnt vmcnt(0)
	v_add_f32_e32 v2, v4, v2
	ds_store_b32 v3, v2
	s_branch .LBB111_13
.LBB111_16:
	s_set_inst_prefetch_distance 0x2
	s_or_b32 exec_lo, exec_lo, s3
	v_mov_b32_e32 v2, 0
	s_cmp_lt_i32 s13, 1
	s_waitcnt lgkmcnt(0)
	s_barrier
	buffer_gl0_inv
	s_cbranch_scc1 .LBB111_25
; %bb.17:
	s_add_u32 s4, s0, 56
	s_addc_u32 s5, s1, 0
	v_dual_mov_b32 v2, 0 :: v_dual_mov_b32 v1, 0
	v_dual_mov_b32 v4, 0xff800000 :: v_dual_mov_b32 v3, 0
	s_cmp_lg_u64 s[6:7], 0
	s_mov_b32 s18, 0
	s_cselect_b32 s12, -1, 0
	s_mov_b32 s19, 0x76543210
	s_branch .LBB111_19
.LBB111_18:                             ;   in Loop: Header=BB111_19 Depth=1
	v_cmp_eq_u32_e32 vcc_lo, s18, v0
	s_delay_alu instid0(VALU_DEP_2) | instskip(NEXT) | instid1(VALU_DEP_2)
	s_lshl_b32 s3, s16, 2
	v_add_f32_e32 v3, v3, v7
	s_add_i32 s3, s3, 0
	s_add_i32 s18, s18, 1
	v_cndmask_b32_e64 v1, v1, s16, vcc_lo
	v_dual_mov_b32 v5, s3 :: v_dual_cndmask_b32 v2, v2, v7
	s_cmp_eq_u32 s18, s13
	ds_store_b32 v5, v4
	s_cbranch_scc1 .LBB111_26
.LBB111_19:                             ; =>This Loop Header: Depth=1
                                        ;     Child Loop BB111_21 Depth 2
	v_dual_mov_b32 v5, s18 :: v_dual_mov_b32 v6, 0xff800000
	s_and_saveexec_b32 s16, s2
	s_cbranch_execz .LBB111_23
; %bb.20:                               ;   in Loop: Header=BB111_19 Depth=1
	s_load_b32 s3, s[4:5], 0xc
	v_dual_mov_b32 v5, s18 :: v_dual_mov_b32 v6, 0xff800000
	v_dual_mov_b32 v7, v12 :: v_dual_mov_b32 v8, v11
	v_mov_b32_e32 v9, v0
	s_mov_b32 s21, 0
	s_waitcnt lgkmcnt(0)
	s_and_b32 s17, s3, 0xffff
	s_delay_alu instid0(SALU_CYCLE_1)
	s_lshl_b32 s20, s17, 2
	s_lshl_b32 s22, s17, 4
	.p2align	6
.LBB111_21:                             ;   Parent Loop BB111_19 Depth=1
                                        ; =>  This Inner Loop Header: Depth=2
	ds_load_b128 v[13:16], v7
	v_add_nc_u32_e32 v7, s22, v7
	s_waitcnt lgkmcnt(0)
	v_cmp_gt_f32_e32 vcc_lo, v13, v6
	v_dual_cndmask_b32 v6, v6, v13 :: v_dual_cndmask_b32 v5, v5, v8
	v_add_nc_u32_e32 v13, 2, v8
	v_add_nc_u32_e32 v10, 1, v8
	s_delay_alu instid0(VALU_DEP_3) | instskip(SKIP_1) | instid1(VALU_DEP_3)
	v_cmp_gt_f32_e32 vcc_lo, v14, v6
	v_cndmask_b32_e32 v6, v6, v14, vcc_lo
	v_dual_cndmask_b32 v5, v5, v10 :: v_dual_add_nc_u32 v10, 3, v8
	s_delay_alu instid0(VALU_DEP_2) | instskip(NEXT) | instid1(VALU_DEP_2)
	v_cmp_gt_f32_e32 vcc_lo, v15, v6
	v_dual_cndmask_b32 v6, v6, v15 :: v_dual_cndmask_b32 v5, v5, v13
	s_delay_alu instid0(VALU_DEP_1) | instskip(SKIP_1) | instid1(VALU_DEP_3)
	v_cmp_gt_f32_e32 vcc_lo, v16, v6
	v_add_nc_u32_e32 v9, s17, v9
	v_dual_cndmask_b32 v5, v5, v10 :: v_dual_add_nc_u32 v8, s20, v8
	v_cndmask_b32_e32 v6, v6, v16, vcc_lo
	s_delay_alu instid0(VALU_DEP_3) | instskip(NEXT) | instid1(VALU_DEP_1)
	v_cmp_le_i32_e64 s3, s14, v9
	s_or_b32 s21, s3, s21
	s_delay_alu instid0(SALU_CYCLE_1)
	s_and_not1_b32 exec_lo, exec_lo, s21
	s_cbranch_execnz .LBB111_21
; %bb.22:                               ;   in Loop: Header=BB111_19 Depth=1
	s_or_b32 exec_lo, exec_lo, s21
.LBB111_23:                             ;   in Loop: Header=BB111_19 Depth=1
	s_delay_alu instid0(SALU_CYCLE_1)
	s_or_b32 exec_lo, exec_lo, s16
	;;#ASMSTART
	v_max_f32 v7, v6, v6 quad_perm:[1,0,3,2] row_mask:0xf bank_mask:0xf bound_ctrl:1
	;;#ASMEND
	;;#ASMSTART
	v_max_f32 v8, v7, v7 quad_perm:[2,3,0,1] row_mask:0xf bank_mask:0xf bound_ctrl:1
	;;#ASMEND
	;;#ASMSTART
	v_max_f32 v7, v8, v8 row_half_mirror row_mask:0xf bank_mask:0xf bound_ctrl:1
	;;#ASMEND
	;;#ASMSTART
	v_max_f32 v8, v7, v7 row_mirror row_mask:0xf bank_mask:0xf bound_ctrl:1
	;;#ASMEND
	v_permlanex16_b32 v7, v8, s19, 0xfedcba98 op_sel:[1,1]
	s_delay_alu instid0(VALU_DEP_1) | instskip(NEXT) | instid1(VALU_DEP_1)
	v_dual_max_f32 v8, v8, v8 :: v_dual_max_f32 v7, v7, v7
	v_max_f32_e32 v7, v8, v7
	s_delay_alu instid0(VALU_DEP_1)
	v_cmp_eq_f32_e32 vcc_lo, v6, v7
	s_ctz_i32_b32 s3, vcc_lo
	s_cmp_lg_u32 vcc_lo, 0
	s_cselect_b32 s3, s3, 0
	s_and_b32 vcc_lo, exec_lo, s12
	v_readlane_b32 s16, v5, s3
	s_cbranch_vccz .LBB111_18
; %bb.24:                               ;   in Loop: Header=BB111_19 Depth=1
	s_delay_alu instid0(VALU_DEP_1) | instskip(NEXT) | instid1(SALU_CYCLE_1)
	s_ashr_i32 s17, s16, 31
	s_lshl_b64 s[20:21], s[16:17], 2
	s_delay_alu instid0(SALU_CYCLE_1)
	s_add_u32 s20, s6, s20
	s_addc_u32 s21, s7, s21
	s_load_b32 s3, s[20:21], 0x0
	s_waitcnt lgkmcnt(0)
	v_subrev_f32_e32 v7, s3, v7
	s_branch .LBB111_18
.LBB111_25:
	v_mov_b32_e32 v1, 0
	v_mov_b32_e32 v3, 0
.LBB111_26:
	s_mov_b32 s2, exec_lo
	v_cmpx_gt_i32_e64 s13, v0
	s_cbranch_execz .LBB111_29
; %bb.27:
	s_clause 0x1
	s_load_b32 s2, s[0:1], 0x34
	s_load_b32 s3, s[0:1], 0x44
	v_max_f32_e32 v3, v3, v3
	s_load_b64 s[0:1], s[0:1], 0x20
	s_ashr_i32 s4, s15, 31
	s_delay_alu instid0(VALU_DEP_1) | instskip(SKIP_1) | instid1(VALU_DEP_1)
	v_max_f32_e32 v3, 0x1e3ce508, v3
	s_waitcnt lgkmcnt(0)
	v_div_scale_f32 v4, null, v3, v3, s2
	v_div_scale_f32 v7, vcc_lo, s2, v3, s2
	s_mul_i32 s1, s15, s1
	s_delay_alu instid0(VALU_DEP_2) | instskip(SKIP_4) | instid1(VALU_DEP_1)
	v_rcp_f32_e32 v5, v4
	s_mul_i32 s4, s4, s0
	s_and_b32 s3, s3, 0xffff
	s_waitcnt_depctr 0xfff
	v_fma_f32 v6, -v4, v5, 1.0
	v_fmac_f32_e32 v5, v6, v5
	s_delay_alu instid0(VALU_DEP_1) | instskip(NEXT) | instid1(VALU_DEP_1)
	v_mul_f32_e32 v6, v7, v5
	v_fma_f32 v8, -v4, v6, v7
	s_delay_alu instid0(VALU_DEP_1) | instskip(NEXT) | instid1(VALU_DEP_1)
	v_fmac_f32_e32 v6, v8, v5
	v_fma_f32 v4, -v4, v6, v7
	s_delay_alu instid0(VALU_DEP_1) | instskip(NEXT) | instid1(VALU_DEP_1)
	v_div_fmas_f32 v4, v4, v5, v6
	v_div_fixup_f32 v3, v4, v3, s2
	s_mul_hi_u32 s2, s15, s0
	s_delay_alu instid0(SALU_CYCLE_1) | instskip(SKIP_1) | instid1(VALU_DEP_1)
	s_add_i32 s1, s2, s1
	s_mul_i32 s2, s15, s0
	v_mul_f32_e32 v2, v2, v3
	s_add_i32 s1, s1, s4
	s_mov_b32 s4, 0
	.p2align	6
.LBB111_28:                             ; =>This Inner Loop Header: Depth=1
	v_ashrrev_i32_e32 v4, 31, v0
	v_add_co_u32 v3, vcc_lo, s2, v0
	v_add_nc_u32_e32 v0, s3, v0
	s_delay_alu instid0(VALU_DEP_3) | instskip(NEXT) | instid1(VALU_DEP_2)
	v_add_co_ci_u32_e32 v4, vcc_lo, s1, v4, vcc_lo
	v_cmp_le_i32_e32 vcc_lo, s13, v0
	s_delay_alu instid0(VALU_DEP_2) | instskip(SKIP_1) | instid1(VALU_DEP_1)
	v_lshlrev_b64 v[3:4], 2, v[3:4]
	s_or_b32 s4, vcc_lo, s4
	v_add_co_u32 v5, s0, s8, v3
	s_delay_alu instid0(VALU_DEP_1) | instskip(SKIP_1) | instid1(VALU_DEP_1)
	v_add_co_ci_u32_e64 v6, s0, s9, v4, s0
	v_add_co_u32 v3, s0, s10, v3
	v_add_co_ci_u32_e64 v4, s0, s11, v4, s0
	global_store_b32 v[5:6], v2, off
	global_store_b32 v[3:4], v1, off
	s_and_not1_b32 exec_lo, exec_lo, s4
	s_cbranch_execnz .LBB111_28
.LBB111_29:
	s_nop 0
	s_sendmsg sendmsg(MSG_DEALLOC_VGPRS)
	s_endpgm
	.section	.rodata,"a",@progbits
	.p2align	6, 0x0
	.amdhsa_kernel _ZN5aiter20topk_softplus_kernelI6__halffDv4_fLb1ELi1EEEvPKT_PKT0_PfPimiiif
		.amdhsa_group_segment_fixed_size 0
		.amdhsa_private_segment_fixed_size 0
		.amdhsa_kernarg_size 312
		.amdhsa_user_sgpr_count 15
		.amdhsa_user_sgpr_dispatch_ptr 0
		.amdhsa_user_sgpr_queue_ptr 0
		.amdhsa_user_sgpr_kernarg_segment_ptr 1
		.amdhsa_user_sgpr_dispatch_id 0
		.amdhsa_user_sgpr_private_segment_size 0
		.amdhsa_wavefront_size32 1
		.amdhsa_uses_dynamic_stack 0
		.amdhsa_enable_private_segment 0
		.amdhsa_system_sgpr_workgroup_id_x 1
		.amdhsa_system_sgpr_workgroup_id_y 0
		.amdhsa_system_sgpr_workgroup_id_z 0
		.amdhsa_system_sgpr_workgroup_info 0
		.amdhsa_system_vgpr_workitem_id 0
		.amdhsa_next_free_vgpr 17
		.amdhsa_next_free_sgpr 32
		.amdhsa_reserve_vcc 1
		.amdhsa_float_round_mode_32 0
		.amdhsa_float_round_mode_16_64 0
		.amdhsa_float_denorm_mode_32 3
		.amdhsa_float_denorm_mode_16_64 3
		.amdhsa_dx10_clamp 1
		.amdhsa_ieee_mode 1
		.amdhsa_fp16_overflow 0
		.amdhsa_workgroup_processor_mode 1
		.amdhsa_memory_ordered 1
		.amdhsa_forward_progress 0
		.amdhsa_shared_vgpr_count 0
		.amdhsa_exception_fp_ieee_invalid_op 0
		.amdhsa_exception_fp_denorm_src 0
		.amdhsa_exception_fp_ieee_div_zero 0
		.amdhsa_exception_fp_ieee_overflow 0
		.amdhsa_exception_fp_ieee_underflow 0
		.amdhsa_exception_fp_ieee_inexact 0
		.amdhsa_exception_int_div_zero 0
	.end_amdhsa_kernel
	.section	.text._ZN5aiter20topk_softplus_kernelI6__halffDv4_fLb1ELi1EEEvPKT_PKT0_PfPimiiif,"axG",@progbits,_ZN5aiter20topk_softplus_kernelI6__halffDv4_fLb1ELi1EEEvPKT_PKT0_PfPimiiif,comdat
.Lfunc_end111:
	.size	_ZN5aiter20topk_softplus_kernelI6__halffDv4_fLb1ELi1EEEvPKT_PKT0_PfPimiiif, .Lfunc_end111-_ZN5aiter20topk_softplus_kernelI6__halffDv4_fLb1ELi1EEEvPKT_PKT0_PfPimiiif
                                        ; -- End function
	.section	.AMDGPU.csdata,"",@progbits
; Kernel info:
; codeLenInByte = 2000
; NumSgprs: 34
; NumVgprs: 17
; ScratchSize: 0
; MemoryBound: 0
; FloatMode: 240
; IeeeMode: 1
; LDSByteSize: 0 bytes/workgroup (compile time only)
; SGPRBlocks: 4
; VGPRBlocks: 2
; NumSGPRsForWavesPerEU: 34
; NumVGPRsForWavesPerEU: 17
; Occupancy: 16
; WaveLimiterHint : 0
; COMPUTE_PGM_RSRC2:SCRATCH_EN: 0
; COMPUTE_PGM_RSRC2:USER_SGPR: 15
; COMPUTE_PGM_RSRC2:TRAP_HANDLER: 0
; COMPUTE_PGM_RSRC2:TGID_X_EN: 1
; COMPUTE_PGM_RSRC2:TGID_Y_EN: 0
; COMPUTE_PGM_RSRC2:TGID_Z_EN: 0
; COMPUTE_PGM_RSRC2:TIDIG_COMP_CNT: 0
	.section	.text._ZN5aiter20topk_softplus_kernelI6__halffDv4_fLb0ELi1EEEvPKT_PKT0_PfPimiiif,"axG",@progbits,_ZN5aiter20topk_softplus_kernelI6__halffDv4_fLb0ELi1EEEvPKT_PKT0_PfPimiiif,comdat
	.protected	_ZN5aiter20topk_softplus_kernelI6__halffDv4_fLb0ELi1EEEvPKT_PKT0_PfPimiiif ; -- Begin function _ZN5aiter20topk_softplus_kernelI6__halffDv4_fLb0ELi1EEEvPKT_PKT0_PfPimiiif
	.globl	_ZN5aiter20topk_softplus_kernelI6__halffDv4_fLb0ELi1EEEvPKT_PKT0_PfPimiiif
	.p2align	8
	.type	_ZN5aiter20topk_softplus_kernelI6__halffDv4_fLb0ELi1EEEvPKT_PKT0_PfPimiiif,@function
_ZN5aiter20topk_softplus_kernelI6__halffDv4_fLb0ELi1EEEvPKT_PKT0_PfPimiiif: ; @_ZN5aiter20topk_softplus_kernelI6__halffDv4_fLb0ELi1EEEvPKT_PKT0_PfPimiiif
; %bb.0:
	s_clause 0x1
	s_load_b64 s[12:13], s[0:1], 0x28
	s_load_b256 s[4:11], s[0:1], 0x0
	v_lshlrev_b32_e32 v11, 2, v0
	v_lshl_add_u32 v12, v0, 4, 0
	s_waitcnt lgkmcnt(0)
	s_ashr_i32 s2, s12, 31
	s_mul_i32 s16, s15, s12
	s_lshr_b32 s2, s2, 30
	s_ashr_i32 s17, s16, 31
	s_add_i32 s2, s12, s2
	s_delay_alu instid0(SALU_CYCLE_1) | instskip(NEXT) | instid1(SALU_CYCLE_1)
	s_ashr_i32 s14, s2, 2
	v_cmp_gt_i32_e64 s2, s14, v0
	s_delay_alu instid0(VALU_DEP_1)
	s_and_saveexec_b32 s18, s2
	s_cbranch_execz .LBB112_11
; %bb.1:
	s_load_b32 s3, s[0:1], 0x44
	s_cmp_lg_u64 s[6:7], 0
	v_dual_mov_b32 v6, 0 :: v_dual_lshlrev_b32 v1, 3, v0
	s_cselect_b32 s20, -1, 0
	v_dual_mov_b32 v14, v0 :: v_dual_lshlrev_b32 v5, 2, v0
	v_lshl_add_u32 v13, v0, 4, 0
	s_mov_b32 s19, 0
	s_mov_b32 s31, 0xbfb8aa3b
	s_waitcnt lgkmcnt(0)
	s_and_b32 s21, s3, 0xffff
	s_add_u32 s22, s6, 4
	s_addc_u32 s23, s7, 0
	s_add_u32 s24, s6, 8
	s_addc_u32 s25, s7, 0
	;; [unrolled: 2-line block ×3, first 2 shown]
	s_lshl_b64 s[28:29], s[16:17], 1
	s_delay_alu instid0(SALU_CYCLE_1) | instskip(SKIP_2) | instid1(VALU_DEP_1)
	s_add_u32 s3, s4, s28
	s_addc_u32 s29, s5, s29
	v_add_co_u32 v7, s3, s3, v1
	v_add_co_ci_u32_e64 v8, null, s29, 0, s3
	s_lshl_b32 s28, s21, 3
	s_lshl_b32 s29, s21, 2
	;; [unrolled: 1-line block ×3, first 2 shown]
	s_branch .LBB112_3
.LBB112_2:                              ;   in Loop: Header=BB112_3 Depth=1
	v_add_nc_u32_e32 v14, s21, v14
	v_add_co_u32 v7, s3, v7, s28
	ds_store_b128 v13, v[1:4]
	v_add_co_ci_u32_e64 v8, s3, 0, v8, s3
	v_cmp_le_i32_e32 vcc_lo, s14, v14
	v_add_nc_u32_e32 v5, s29, v5
	v_add_nc_u32_e32 v13, s30, v13
	s_or_b32 s19, vcc_lo, s19
	s_delay_alu instid0(SALU_CYCLE_1)
	s_and_not1_b32 exec_lo, exec_lo, s19
	s_cbranch_execz .LBB112_11
.LBB112_3:                              ; =>This Inner Loop Header: Depth=1
	global_load_b64 v[3:4], v[7:8], off
	v_lshlrev_b64 v[9:10], 2, v[5:6]
	s_waitcnt vmcnt(0)
	v_cvt_f32_f16_e32 v1, v3
	s_delay_alu instid0(VALU_DEP_1) | instskip(NEXT) | instid1(VALU_DEP_1)
	v_mul_f32_e32 v1, 0xbfb8aa3b, v1
	v_cmp_gt_f32_e32 vcc_lo, 0xc2fc0000, v1
	v_cndmask_b32_e64 v2, 0, 0x42800000, vcc_lo
	v_cndmask_b32_e64 v1, 1.0, 0x1f800000, vcc_lo
	s_and_not1_b32 vcc_lo, exec_lo, s20
	s_delay_alu instid0(VALU_DEP_2) | instskip(NEXT) | instid1(VALU_DEP_1)
	v_fma_mix_f32 v2, v3, s31, v2 op_sel_hi:[1,0,0]
	v_exp_f32_e32 v2, v2
	s_waitcnt_depctr 0xfff
	v_fma_f32 v1, v2, v1, 1.0
	s_delay_alu instid0(VALU_DEP_1)
	v_rcp_f32_e32 v1, v1
	s_cbranch_vccnz .LBB112_5
; %bb.4:                                ;   in Loop: Header=BB112_3 Depth=1
	v_add_co_u32 v15, vcc_lo, s6, v9
	v_add_co_ci_u32_e32 v16, vcc_lo, s7, v10, vcc_lo
	global_load_b32 v2, v[15:16], off
	s_waitcnt vmcnt(0)
	v_add_f32_e32 v1, v1, v2
.LBB112_5:                              ;   in Loop: Header=BB112_3 Depth=1
	v_lshrrev_b32_e32 v2, 16, v3
	s_delay_alu instid0(VALU_DEP_1) | instskip(NEXT) | instid1(VALU_DEP_1)
	v_cvt_f32_f16_e32 v2, v2
	v_mul_f32_e32 v2, 0xbfb8aa3b, v2
	s_delay_alu instid0(VALU_DEP_1) | instskip(SKIP_3) | instid1(VALU_DEP_2)
	v_cmp_gt_f32_e32 vcc_lo, 0xc2fc0000, v2
	v_cndmask_b32_e64 v15, 0, 0x42800000, vcc_lo
	v_cndmask_b32_e64 v2, 1.0, 0x1f800000, vcc_lo
	s_and_not1_b32 vcc_lo, exec_lo, s20
	v_fma_mix_f32 v3, v3, s31, v15 op_sel:[1,0,0] op_sel_hi:[1,0,0]
	s_delay_alu instid0(VALU_DEP_1) | instskip(SKIP_2) | instid1(VALU_DEP_1)
	v_exp_f32_e32 v3, v3
	s_waitcnt_depctr 0xfff
	v_fma_f32 v2, v3, v2, 1.0
	v_rcp_f32_e32 v2, v2
	s_cbranch_vccnz .LBB112_7
; %bb.6:                                ;   in Loop: Header=BB112_3 Depth=1
	v_add_co_u32 v15, vcc_lo, s22, v9
	v_add_co_ci_u32_e32 v16, vcc_lo, s23, v10, vcc_lo
	global_load_b32 v3, v[15:16], off
	s_waitcnt vmcnt(0)
	v_add_f32_e32 v2, v2, v3
.LBB112_7:                              ;   in Loop: Header=BB112_3 Depth=1
	v_cvt_f32_f16_e32 v3, v4
	s_delay_alu instid0(VALU_DEP_1) | instskip(NEXT) | instid1(VALU_DEP_1)
	v_mul_f32_e32 v3, 0xbfb8aa3b, v3
	v_cmp_gt_f32_e32 vcc_lo, 0xc2fc0000, v3
	v_cndmask_b32_e64 v15, 0, 0x42800000, vcc_lo
	v_cndmask_b32_e64 v3, 1.0, 0x1f800000, vcc_lo
	s_and_not1_b32 vcc_lo, exec_lo, s20
	s_delay_alu instid0(VALU_DEP_2) | instskip(NEXT) | instid1(VALU_DEP_1)
	v_fma_mix_f32 v15, v4, s31, v15 op_sel_hi:[1,0,0]
	v_exp_f32_e32 v15, v15
	s_waitcnt_depctr 0xfff
	v_fma_f32 v3, v15, v3, 1.0
	s_delay_alu instid0(VALU_DEP_1)
	v_rcp_f32_e32 v3, v3
	s_cbranch_vccnz .LBB112_9
; %bb.8:                                ;   in Loop: Header=BB112_3 Depth=1
	v_add_co_u32 v15, vcc_lo, s24, v9
	v_add_co_ci_u32_e32 v16, vcc_lo, s25, v10, vcc_lo
	global_load_b32 v15, v[15:16], off
	s_waitcnt vmcnt(0)
	v_add_f32_e32 v3, v3, v15
.LBB112_9:                              ;   in Loop: Header=BB112_3 Depth=1
	v_lshrrev_b32_e32 v15, 16, v4
	s_delay_alu instid0(VALU_DEP_1) | instskip(NEXT) | instid1(VALU_DEP_1)
	v_cvt_f32_f16_e32 v15, v15
	v_mul_f32_e32 v15, 0xbfb8aa3b, v15
	s_delay_alu instid0(VALU_DEP_1) | instskip(SKIP_3) | instid1(VALU_DEP_2)
	v_cmp_gt_f32_e32 vcc_lo, 0xc2fc0000, v15
	v_cndmask_b32_e64 v16, 0, 0x42800000, vcc_lo
	v_cndmask_b32_e64 v15, 1.0, 0x1f800000, vcc_lo
	s_and_not1_b32 vcc_lo, exec_lo, s20
	v_fma_mix_f32 v4, v4, s31, v16 op_sel:[1,0,0] op_sel_hi:[1,0,0]
	s_delay_alu instid0(VALU_DEP_1) | instskip(SKIP_2) | instid1(VALU_DEP_1)
	v_exp_f32_e32 v4, v4
	s_waitcnt_depctr 0xfff
	v_fma_f32 v4, v4, v15, 1.0
	v_rcp_f32_e32 v4, v4
	s_cbranch_vccnz .LBB112_2
; %bb.10:                               ;   in Loop: Header=BB112_3 Depth=1
	v_add_co_u32 v9, vcc_lo, s26, v9
	v_add_co_ci_u32_e32 v10, vcc_lo, s27, v10, vcc_lo
	global_load_b32 v9, v[9:10], off
	s_waitcnt vmcnt(0)
	v_add_f32_e32 v4, v4, v9
	s_branch .LBB112_2
.LBB112_11:
	s_or_b32 exec_lo, exec_lo, s18
	v_lshl_add_u32 v1, s14, 2, v0
	s_mov_b32 s3, exec_lo
	s_delay_alu instid0(VALU_DEP_1)
	v_cmpx_gt_i32_e64 s12, v1
	s_cbranch_execz .LBB112_16
; %bb.12:
	s_load_b32 s18, s[0:1], 0x44
	s_lshl_b64 s[16:17], s[16:17], 1
	v_lshlrev_b32_e32 v2, 2, v0
	s_add_u32 s4, s4, s16
	s_addc_u32 s5, s5, s17
	s_cmp_lg_u64 s[6:7], 0
	s_mov_b32 s20, 0xbfb8aa3b
	s_cselect_b32 s16, -1, 0
	s_lshl_b32 s17, s14, 4
	s_delay_alu instid0(SALU_CYCLE_1)
	v_add3_u32 v3, 0, s17, v2
	s_waitcnt lgkmcnt(0)
	s_and_b32 s17, s18, 0xffff
	s_mov_b32 s18, 0
	s_lshl_b32 s19, s17, 2
	s_set_inst_prefetch_distance 0x1
	s_branch .LBB112_14
	.p2align	6
.LBB112_13:                             ;   in Loop: Header=BB112_14 Depth=1
	v_add_nc_u32_e32 v1, s17, v1
	v_add_nc_u32_e32 v3, s19, v3
	s_delay_alu instid0(VALU_DEP_2) | instskip(SKIP_1) | instid1(SALU_CYCLE_1)
	v_cmp_le_i32_e32 vcc_lo, s12, v1
	s_or_b32 s18, vcc_lo, s18
	s_and_not1_b32 exec_lo, exec_lo, s18
	s_cbranch_execz .LBB112_16
.LBB112_14:                             ; =>This Inner Loop Header: Depth=1
	v_ashrrev_i32_e32 v2, 31, v1
	s_delay_alu instid0(VALU_DEP_1) | instskip(NEXT) | instid1(VALU_DEP_1)
	v_lshlrev_b64 v[4:5], 1, v[1:2]
	v_add_co_u32 v4, vcc_lo, s4, v4
	s_delay_alu instid0(VALU_DEP_2) | instskip(SKIP_3) | instid1(VALU_DEP_1)
	v_add_co_ci_u32_e32 v5, vcc_lo, s5, v5, vcc_lo
	global_load_u16 v4, v[4:5], off
	s_waitcnt vmcnt(0)
	v_cvt_f32_f16_e32 v5, v4
	v_mul_f32_e32 v5, 0xbfb8aa3b, v5
	s_delay_alu instid0(VALU_DEP_1) | instskip(SKIP_1) | instid1(VALU_DEP_1)
	v_cmp_gt_f32_e32 vcc_lo, 0xc2fc0000, v5
	v_cndmask_b32_e64 v5, 0, 0x42800000, vcc_lo
	v_fma_mix_f32 v4, v4, s20, v5 op_sel_hi:[1,0,0]
	v_cndmask_b32_e64 v5, 1.0, 0x1f800000, vcc_lo
	s_and_not1_b32 vcc_lo, exec_lo, s16
	s_delay_alu instid0(VALU_DEP_2) | instskip(SKIP_2) | instid1(VALU_DEP_1)
	v_exp_f32_e32 v4, v4
	s_waitcnt_depctr 0xfff
	v_fma_f32 v4, v4, v5, 1.0
	v_rcp_f32_e32 v4, v4
	ds_store_b32 v3, v4
	s_cbranch_vccnz .LBB112_13
; %bb.15:                               ;   in Loop: Header=BB112_14 Depth=1
	v_lshlrev_b64 v[5:6], 2, v[1:2]
	s_delay_alu instid0(VALU_DEP_1) | instskip(NEXT) | instid1(VALU_DEP_2)
	v_add_co_u32 v5, vcc_lo, s6, v5
	v_add_co_ci_u32_e32 v6, vcc_lo, s7, v6, vcc_lo
	global_load_b32 v2, v[5:6], off
	s_waitcnt vmcnt(0)
	v_add_f32_e32 v2, v4, v2
	ds_store_b32 v3, v2
	s_branch .LBB112_13
.LBB112_16:
	s_set_inst_prefetch_distance 0x2
	s_or_b32 exec_lo, exec_lo, s3
	s_cmp_lt_i32 s13, 1
	s_waitcnt lgkmcnt(0)
	s_barrier
	buffer_gl0_inv
	s_cbranch_scc1 .LBB112_25
; %bb.17:
	s_add_u32 s4, s0, 56
	s_addc_u32 s5, s1, 0
	v_dual_mov_b32 v2, 0 :: v_dual_mov_b32 v1, 0
	v_mov_b32_e32 v3, 0xff800000
	s_cmp_lg_u64 s[6:7], 0
	s_mov_b32 s18, 0
	s_cselect_b32 s12, -1, 0
	s_mov_b32 s19, 0x76543210
	s_branch .LBB112_19
.LBB112_18:                             ;   in Loop: Header=BB112_19 Depth=1
	v_cmp_eq_u32_e32 vcc_lo, s18, v0
	s_delay_alu instid0(VALU_DEP_2)
	s_lshl_b32 s3, s16, 2
	s_add_i32 s18, s18, 1
	s_add_i32 s3, s3, 0
	s_cmp_eq_u32 s18, s13
	v_cndmask_b32_e64 v1, v1, s16, vcc_lo
	v_mov_b32_e32 v4, s3
	v_cndmask_b32_e32 v2, v2, v6, vcc_lo
	ds_store_b32 v4, v3
	s_cbranch_scc1 .LBB112_26
.LBB112_19:                             ; =>This Loop Header: Depth=1
                                        ;     Child Loop BB112_21 Depth 2
	v_dual_mov_b32 v4, s18 :: v_dual_mov_b32 v5, 0xff800000
	s_and_saveexec_b32 s16, s2
	s_cbranch_execz .LBB112_23
; %bb.20:                               ;   in Loop: Header=BB112_19 Depth=1
	s_load_b32 s3, s[4:5], 0xc
	v_dual_mov_b32 v4, s18 :: v_dual_mov_b32 v5, 0xff800000
	v_dual_mov_b32 v6, v12 :: v_dual_mov_b32 v7, v11
	v_mov_b32_e32 v8, v0
	s_mov_b32 s21, 0
	s_waitcnt lgkmcnt(0)
	s_and_b32 s17, s3, 0xffff
	s_delay_alu instid0(SALU_CYCLE_1)
	s_lshl_b32 s20, s17, 2
	s_lshl_b32 s22, s17, 4
	.p2align	6
.LBB112_21:                             ;   Parent Loop BB112_19 Depth=1
                                        ; =>  This Inner Loop Header: Depth=2
	ds_load_b128 v[13:16], v6
	v_add_nc_u32_e32 v8, s17, v8
	v_add_nc_u32_e32 v10, 2, v7
	;; [unrolled: 1-line block ×3, first 2 shown]
	s_delay_alu instid0(VALU_DEP_3) | instskip(NEXT) | instid1(VALU_DEP_1)
	v_cmp_le_i32_e64 s3, s14, v8
	s_or_b32 s21, s3, s21
	s_waitcnt lgkmcnt(0)
	v_cmp_gt_f32_e32 vcc_lo, v13, v5
	v_dual_cndmask_b32 v5, v5, v13 :: v_dual_cndmask_b32 v4, v4, v7
	s_delay_alu instid0(VALU_DEP_1) | instskip(NEXT) | instid1(VALU_DEP_2)
	v_cmp_gt_f32_e32 vcc_lo, v14, v5
	v_dual_cndmask_b32 v5, v5, v14 :: v_dual_cndmask_b32 v4, v4, v9
	v_add_nc_u32_e32 v9, 3, v7
	s_delay_alu instid0(VALU_DEP_2) | instskip(NEXT) | instid1(VALU_DEP_3)
	v_cmp_gt_f32_e32 vcc_lo, v15, v5
	v_dual_cndmask_b32 v5, v5, v15 :: v_dual_cndmask_b32 v4, v4, v10
	s_delay_alu instid0(VALU_DEP_1) | instskip(SKIP_1) | instid1(VALU_DEP_3)
	v_cmp_gt_f32_e32 vcc_lo, v16, v5
	v_add_nc_u32_e32 v6, s22, v6
	v_dual_cndmask_b32 v4, v4, v9 :: v_dual_add_nc_u32 v7, s20, v7
	v_cndmask_b32_e32 v5, v5, v16, vcc_lo
	s_and_not1_b32 exec_lo, exec_lo, s21
	s_cbranch_execnz .LBB112_21
; %bb.22:                               ;   in Loop: Header=BB112_19 Depth=1
	s_or_b32 exec_lo, exec_lo, s21
.LBB112_23:                             ;   in Loop: Header=BB112_19 Depth=1
	s_delay_alu instid0(SALU_CYCLE_1)
	s_or_b32 exec_lo, exec_lo, s16
	;;#ASMSTART
	v_max_f32 v6, v5, v5 quad_perm:[1,0,3,2] row_mask:0xf bank_mask:0xf bound_ctrl:1
	;;#ASMEND
	;;#ASMSTART
	v_max_f32 v7, v6, v6 quad_perm:[2,3,0,1] row_mask:0xf bank_mask:0xf bound_ctrl:1
	;;#ASMEND
	;;#ASMSTART
	v_max_f32 v6, v7, v7 row_half_mirror row_mask:0xf bank_mask:0xf bound_ctrl:1
	;;#ASMEND
	;;#ASMSTART
	v_max_f32 v7, v6, v6 row_mirror row_mask:0xf bank_mask:0xf bound_ctrl:1
	;;#ASMEND
	v_permlanex16_b32 v6, v7, s19, 0xfedcba98 op_sel:[1,1]
	s_delay_alu instid0(VALU_DEP_1) | instskip(NEXT) | instid1(VALU_DEP_1)
	v_dual_max_f32 v7, v7, v7 :: v_dual_max_f32 v6, v6, v6
	v_max_f32_e32 v6, v7, v6
	s_delay_alu instid0(VALU_DEP_1)
	v_cmp_eq_f32_e32 vcc_lo, v5, v6
	s_ctz_i32_b32 s3, vcc_lo
	s_cmp_lg_u32 vcc_lo, 0
	s_cselect_b32 s3, s3, 0
	s_and_b32 vcc_lo, exec_lo, s12
	v_readlane_b32 s16, v4, s3
	s_cbranch_vccz .LBB112_18
; %bb.24:                               ;   in Loop: Header=BB112_19 Depth=1
	s_delay_alu instid0(VALU_DEP_1) | instskip(NEXT) | instid1(SALU_CYCLE_1)
	s_ashr_i32 s17, s16, 31
	s_lshl_b64 s[20:21], s[16:17], 2
	s_delay_alu instid0(SALU_CYCLE_1)
	s_add_u32 s20, s6, s20
	s_addc_u32 s21, s7, s21
	s_load_b32 s3, s[20:21], 0x0
	s_waitcnt lgkmcnt(0)
	v_subrev_f32_e32 v6, s3, v6
	s_branch .LBB112_18
.LBB112_25:
	v_dual_mov_b32 v2, 0 :: v_dual_mov_b32 v1, 0
.LBB112_26:
	s_mov_b32 s2, exec_lo
	v_cmpx_gt_i32_e64 s13, v0
	s_cbranch_execz .LBB112_29
; %bb.27:
	s_clause 0x2
	s_load_b32 s4, s[0:1], 0x34
	s_load_b64 s[2:3], s[0:1], 0x20
	s_load_b32 s0, s[0:1], 0x44
	s_ashr_i32 s1, s15, 31
	s_waitcnt lgkmcnt(0)
	v_mul_f32_e32 v2, s4, v2
	s_mul_i32 s3, s15, s3
	s_mul_hi_u32 s4, s15, s2
	s_mul_i32 s5, s1, s2
	s_add_i32 s3, s4, s3
	s_mul_i32 s1, s15, s2
	s_and_b32 s2, s0, 0xffff
	s_add_i32 s3, s3, s5
	s_mov_b32 s4, 0
	.p2align	6
.LBB112_28:                             ; =>This Inner Loop Header: Depth=1
	v_ashrrev_i32_e32 v4, 31, v0
	v_add_co_u32 v3, vcc_lo, s1, v0
	v_add_nc_u32_e32 v0, s2, v0
	s_delay_alu instid0(VALU_DEP_3) | instskip(NEXT) | instid1(VALU_DEP_2)
	v_add_co_ci_u32_e32 v4, vcc_lo, s3, v4, vcc_lo
	v_cmp_le_i32_e32 vcc_lo, s13, v0
	s_delay_alu instid0(VALU_DEP_2) | instskip(SKIP_1) | instid1(VALU_DEP_1)
	v_lshlrev_b64 v[3:4], 2, v[3:4]
	s_or_b32 s4, vcc_lo, s4
	v_add_co_u32 v5, s0, s8, v3
	s_delay_alu instid0(VALU_DEP_1) | instskip(SKIP_1) | instid1(VALU_DEP_1)
	v_add_co_ci_u32_e64 v6, s0, s9, v4, s0
	v_add_co_u32 v3, s0, s10, v3
	v_add_co_ci_u32_e64 v4, s0, s11, v4, s0
	global_store_b32 v[5:6], v2, off
	global_store_b32 v[3:4], v1, off
	s_and_not1_b32 exec_lo, exec_lo, s4
	s_cbranch_execnz .LBB112_28
.LBB112_29:
	s_nop 0
	s_sendmsg sendmsg(MSG_DEALLOC_VGPRS)
	s_endpgm
	.section	.rodata,"a",@progbits
	.p2align	6, 0x0
	.amdhsa_kernel _ZN5aiter20topk_softplus_kernelI6__halffDv4_fLb0ELi1EEEvPKT_PKT0_PfPimiiif
		.amdhsa_group_segment_fixed_size 0
		.amdhsa_private_segment_fixed_size 0
		.amdhsa_kernarg_size 312
		.amdhsa_user_sgpr_count 15
		.amdhsa_user_sgpr_dispatch_ptr 0
		.amdhsa_user_sgpr_queue_ptr 0
		.amdhsa_user_sgpr_kernarg_segment_ptr 1
		.amdhsa_user_sgpr_dispatch_id 0
		.amdhsa_user_sgpr_private_segment_size 0
		.amdhsa_wavefront_size32 1
		.amdhsa_uses_dynamic_stack 0
		.amdhsa_enable_private_segment 0
		.amdhsa_system_sgpr_workgroup_id_x 1
		.amdhsa_system_sgpr_workgroup_id_y 0
		.amdhsa_system_sgpr_workgroup_id_z 0
		.amdhsa_system_sgpr_workgroup_info 0
		.amdhsa_system_vgpr_workitem_id 0
		.amdhsa_next_free_vgpr 17
		.amdhsa_next_free_sgpr 32
		.amdhsa_reserve_vcc 1
		.amdhsa_float_round_mode_32 0
		.amdhsa_float_round_mode_16_64 0
		.amdhsa_float_denorm_mode_32 3
		.amdhsa_float_denorm_mode_16_64 3
		.amdhsa_dx10_clamp 1
		.amdhsa_ieee_mode 1
		.amdhsa_fp16_overflow 0
		.amdhsa_workgroup_processor_mode 1
		.amdhsa_memory_ordered 1
		.amdhsa_forward_progress 0
		.amdhsa_shared_vgpr_count 0
		.amdhsa_exception_fp_ieee_invalid_op 0
		.amdhsa_exception_fp_denorm_src 0
		.amdhsa_exception_fp_ieee_div_zero 0
		.amdhsa_exception_fp_ieee_overflow 0
		.amdhsa_exception_fp_ieee_underflow 0
		.amdhsa_exception_fp_ieee_inexact 0
		.amdhsa_exception_int_div_zero 0
	.end_amdhsa_kernel
	.section	.text._ZN5aiter20topk_softplus_kernelI6__halffDv4_fLb0ELi1EEEvPKT_PKT0_PfPimiiif,"axG",@progbits,_ZN5aiter20topk_softplus_kernelI6__halffDv4_fLb0ELi1EEEvPKT_PKT0_PfPimiiif,comdat
.Lfunc_end112:
	.size	_ZN5aiter20topk_softplus_kernelI6__halffDv4_fLb0ELi1EEEvPKT_PKT0_PfPimiiif, .Lfunc_end112-_ZN5aiter20topk_softplus_kernelI6__halffDv4_fLb0ELi1EEEvPKT_PKT0_PfPimiiif
                                        ; -- End function
	.section	.AMDGPU.csdata,"",@progbits
; Kernel info:
; codeLenInByte = 1872
; NumSgprs: 34
; NumVgprs: 17
; ScratchSize: 0
; MemoryBound: 0
; FloatMode: 240
; IeeeMode: 1
; LDSByteSize: 0 bytes/workgroup (compile time only)
; SGPRBlocks: 4
; VGPRBlocks: 2
; NumSGPRsForWavesPerEU: 34
; NumVGPRsForWavesPerEU: 17
; Occupancy: 16
; WaveLimiterHint : 0
; COMPUTE_PGM_RSRC2:SCRATCH_EN: 0
; COMPUTE_PGM_RSRC2:USER_SGPR: 15
; COMPUTE_PGM_RSRC2:TRAP_HANDLER: 0
; COMPUTE_PGM_RSRC2:TGID_X_EN: 1
; COMPUTE_PGM_RSRC2:TGID_Y_EN: 0
; COMPUTE_PGM_RSRC2:TGID_Z_EN: 0
; COMPUTE_PGM_RSRC2:TIDIG_COMP_CNT: 0
	.section	.text._ZN5aiter20topk_softplus_kernelI6__halffDv2_fLb1ELi1EEEvPKT_PKT0_PfPimiiif,"axG",@progbits,_ZN5aiter20topk_softplus_kernelI6__halffDv2_fLb1ELi1EEEvPKT_PKT0_PfPimiiif,comdat
	.protected	_ZN5aiter20topk_softplus_kernelI6__halffDv2_fLb1ELi1EEEvPKT_PKT0_PfPimiiif ; -- Begin function _ZN5aiter20topk_softplus_kernelI6__halffDv2_fLb1ELi1EEEvPKT_PKT0_PfPimiiif
	.globl	_ZN5aiter20topk_softplus_kernelI6__halffDv2_fLb1ELi1EEEvPKT_PKT0_PfPimiiif
	.p2align	8
	.type	_ZN5aiter20topk_softplus_kernelI6__halffDv2_fLb1ELi1EEEvPKT_PKT0_PfPimiiif,@function
_ZN5aiter20topk_softplus_kernelI6__halffDv2_fLb1ELi1EEEvPKT_PKT0_PfPimiiif: ; @_ZN5aiter20topk_softplus_kernelI6__halffDv2_fLb1ELi1EEEvPKT_PKT0_PfPimiiif
; %bb.0:
	s_clause 0x1
	s_load_b64 s[12:13], s[0:1], 0x28
	s_load_b256 s[4:11], s[0:1], 0x0
	s_waitcnt lgkmcnt(0)
	s_lshr_b32 s2, s12, 31
	s_mul_i32 s16, s15, s12
	s_add_i32 s2, s12, s2
	s_ashr_i32 s17, s16, 31
	s_ashr_i32 s14, s2, 1
	s_delay_alu instid0(SALU_CYCLE_1) | instskip(NEXT) | instid1(VALU_DEP_1)
	v_cmp_gt_i32_e64 s2, s14, v0
	s_and_saveexec_b32 s18, s2
	s_cbranch_execz .LBB113_7
; %bb.1:
	s_load_b32 s3, s[0:1], 0x44
	v_lshlrev_b32_e32 v1, 3, v0
	s_cmp_lg_u64 s[6:7], 0
	v_dual_mov_b32 v8, v0 :: v_dual_lshlrev_b32 v3, 2, v0
	s_cselect_b32 s20, -1, 0
	s_delay_alu instid0(VALU_DEP_2) | instskip(SKIP_3) | instid1(VALU_DEP_3)
	v_add_co_u32 v2, s21, v1, s6
	s_lshl_b64 s[22:23], s[16:17], 1
	v_add_co_ci_u32_e64 v4, null, 0, s7, s21
	v_add_nc_u32_e32 v7, 0, v1
	v_add_co_u32 v1, vcc_lo, v2, 4
	s_delay_alu instid0(VALU_DEP_3)
	v_add_co_ci_u32_e32 v2, vcc_lo, 0, v4, vcc_lo
	s_mov_b32 s19, 0
	s_mov_b32 s24, 0xbfb8aa3b
	s_waitcnt lgkmcnt(0)
	s_and_b32 s21, s3, 0xffff
	s_add_u32 s3, s4, s22
	s_addc_u32 s22, s5, s23
	v_add_co_u32 v3, s3, s3, v3
	s_delay_alu instid0(VALU_DEP_1)
	v_add_co_ci_u32_e64 v4, null, s22, 0, s3
	s_lshl_b32 s22, s21, 2
	s_lshl_b32 s23, s21, 3
	s_branch .LBB113_3
.LBB113_2:                              ;   in Loop: Header=BB113_3 Depth=1
	v_add_nc_u32_e32 v8, s21, v8
	v_add_co_u32 v3, vcc_lo, v3, s22
	v_add_co_ci_u32_e32 v4, vcc_lo, 0, v4, vcc_lo
	s_delay_alu instid0(VALU_DEP_3)
	v_cmp_le_i32_e32 vcc_lo, s14, v8
	v_add_co_u32 v1, s3, v1, s23
	ds_store_b64 v7, v[5:6]
	v_add_co_ci_u32_e64 v2, s3, 0, v2, s3
	v_add_nc_u32_e32 v7, s23, v7
	s_or_b32 s19, vcc_lo, s19
	s_delay_alu instid0(SALU_CYCLE_1)
	s_and_not1_b32 exec_lo, exec_lo, s19
	s_cbranch_execz .LBB113_7
.LBB113_3:                              ; =>This Inner Loop Header: Depth=1
	global_load_b32 v6, v[3:4], off
	s_waitcnt vmcnt(0)
	v_cvt_f32_f16_e32 v5, v6
	s_delay_alu instid0(VALU_DEP_1) | instskip(NEXT) | instid1(VALU_DEP_1)
	v_mul_f32_e32 v5, 0xbfb8aa3b, v5
	v_cmp_gt_f32_e32 vcc_lo, 0xc2fc0000, v5
	v_cndmask_b32_e64 v9, 0, 0x42800000, vcc_lo
	v_cndmask_b32_e64 v5, 1.0, 0x1f800000, vcc_lo
	s_and_not1_b32 vcc_lo, exec_lo, s20
	s_delay_alu instid0(VALU_DEP_2) | instskip(NEXT) | instid1(VALU_DEP_1)
	v_fma_mix_f32 v9, v6, s24, v9 op_sel_hi:[1,0,0]
	v_exp_f32_e32 v9, v9
	s_waitcnt_depctr 0xfff
	v_fma_f32 v5, v9, v5, 1.0
	s_delay_alu instid0(VALU_DEP_1)
	v_rcp_f32_e32 v5, v5
	s_cbranch_vccnz .LBB113_5
; %bb.4:                                ;   in Loop: Header=BB113_3 Depth=1
	global_load_b32 v9, v[1:2], off offset:-4
	s_waitcnt vmcnt(0)
	v_add_f32_e32 v5, v5, v9
.LBB113_5:                              ;   in Loop: Header=BB113_3 Depth=1
	v_lshrrev_b32_e32 v9, 16, v6
	s_delay_alu instid0(VALU_DEP_1) | instskip(NEXT) | instid1(VALU_DEP_1)
	v_cvt_f32_f16_e32 v9, v9
	v_mul_f32_e32 v9, 0xbfb8aa3b, v9
	s_delay_alu instid0(VALU_DEP_1) | instskip(SKIP_3) | instid1(VALU_DEP_2)
	v_cmp_gt_f32_e32 vcc_lo, 0xc2fc0000, v9
	v_cndmask_b32_e64 v10, 0, 0x42800000, vcc_lo
	v_cndmask_b32_e64 v9, 1.0, 0x1f800000, vcc_lo
	s_and_not1_b32 vcc_lo, exec_lo, s20
	v_fma_mix_f32 v6, v6, s24, v10 op_sel:[1,0,0] op_sel_hi:[1,0,0]
	s_delay_alu instid0(VALU_DEP_1) | instskip(SKIP_2) | instid1(VALU_DEP_1)
	v_exp_f32_e32 v6, v6
	s_waitcnt_depctr 0xfff
	v_fma_f32 v6, v6, v9, 1.0
	v_rcp_f32_e32 v6, v6
	s_cbranch_vccnz .LBB113_2
; %bb.6:                                ;   in Loop: Header=BB113_3 Depth=1
	global_load_b32 v9, v[1:2], off
	s_waitcnt vmcnt(0)
	v_add_f32_e32 v6, v6, v9
	s_branch .LBB113_2
.LBB113_7:
	s_or_b32 exec_lo, exec_lo, s18
	v_lshl_add_u32 v1, s14, 1, v0
	s_mov_b32 s3, exec_lo
	s_delay_alu instid0(VALU_DEP_1)
	v_cmpx_gt_i32_e64 s12, v1
	s_cbranch_execz .LBB113_12
; %bb.8:
	s_load_b32 s18, s[0:1], 0x44
	s_lshl_b64 s[16:17], s[16:17], 1
	v_lshlrev_b32_e32 v2, 2, v0
	s_add_u32 s4, s4, s16
	s_addc_u32 s5, s5, s17
	s_cmp_lg_u64 s[6:7], 0
	s_mov_b32 s20, 0xbfb8aa3b
	s_cselect_b32 s16, -1, 0
	s_lshl_b32 s17, s14, 3
	s_delay_alu instid0(SALU_CYCLE_1)
	v_add3_u32 v3, 0, s17, v2
	s_waitcnt lgkmcnt(0)
	s_and_b32 s17, s18, 0xffff
	s_mov_b32 s18, 0
	s_lshl_b32 s19, s17, 2
	s_set_inst_prefetch_distance 0x1
	s_branch .LBB113_10
	.p2align	6
.LBB113_9:                              ;   in Loop: Header=BB113_10 Depth=1
	v_add_nc_u32_e32 v1, s17, v1
	v_add_nc_u32_e32 v3, s19, v3
	s_delay_alu instid0(VALU_DEP_2) | instskip(SKIP_1) | instid1(SALU_CYCLE_1)
	v_cmp_le_i32_e32 vcc_lo, s12, v1
	s_or_b32 s18, vcc_lo, s18
	s_and_not1_b32 exec_lo, exec_lo, s18
	s_cbranch_execz .LBB113_12
.LBB113_10:                             ; =>This Inner Loop Header: Depth=1
	v_ashrrev_i32_e32 v2, 31, v1
	s_delay_alu instid0(VALU_DEP_1) | instskip(NEXT) | instid1(VALU_DEP_1)
	v_lshlrev_b64 v[4:5], 1, v[1:2]
	v_add_co_u32 v4, vcc_lo, s4, v4
	s_delay_alu instid0(VALU_DEP_2) | instskip(SKIP_3) | instid1(VALU_DEP_1)
	v_add_co_ci_u32_e32 v5, vcc_lo, s5, v5, vcc_lo
	global_load_u16 v4, v[4:5], off
	s_waitcnt vmcnt(0)
	v_cvt_f32_f16_e32 v5, v4
	v_mul_f32_e32 v5, 0xbfb8aa3b, v5
	s_delay_alu instid0(VALU_DEP_1) | instskip(SKIP_1) | instid1(VALU_DEP_1)
	v_cmp_gt_f32_e32 vcc_lo, 0xc2fc0000, v5
	v_cndmask_b32_e64 v5, 0, 0x42800000, vcc_lo
	v_fma_mix_f32 v4, v4, s20, v5 op_sel_hi:[1,0,0]
	v_cndmask_b32_e64 v5, 1.0, 0x1f800000, vcc_lo
	s_and_not1_b32 vcc_lo, exec_lo, s16
	s_delay_alu instid0(VALU_DEP_2) | instskip(SKIP_2) | instid1(VALU_DEP_1)
	v_exp_f32_e32 v4, v4
	s_waitcnt_depctr 0xfff
	v_fma_f32 v4, v4, v5, 1.0
	v_rcp_f32_e32 v4, v4
	ds_store_b32 v3, v4
	s_cbranch_vccnz .LBB113_9
; %bb.11:                               ;   in Loop: Header=BB113_10 Depth=1
	v_lshlrev_b64 v[5:6], 2, v[1:2]
	s_delay_alu instid0(VALU_DEP_1) | instskip(NEXT) | instid1(VALU_DEP_2)
	v_add_co_u32 v5, vcc_lo, s6, v5
	v_add_co_ci_u32_e32 v6, vcc_lo, s7, v6, vcc_lo
	global_load_b32 v2, v[5:6], off
	s_waitcnt vmcnt(0)
	v_add_f32_e32 v2, v4, v2
	ds_store_b32 v3, v2
	s_branch .LBB113_9
.LBB113_12:
	s_set_inst_prefetch_distance 0x2
	s_or_b32 exec_lo, exec_lo, s3
	v_mov_b32_e32 v2, 0
	s_cmp_lt_i32 s13, 1
	s_waitcnt lgkmcnt(0)
	s_barrier
	buffer_gl0_inv
	s_cbranch_scc1 .LBB113_21
; %bb.13:
	s_add_u32 s4, s0, 56
	s_addc_u32 s5, s1, 0
	v_dual_mov_b32 v1, 0 :: v_dual_lshlrev_b32 v4, 1, v0
	v_lshl_add_u32 v5, v0, 3, 0
	v_dual_mov_b32 v2, 0 :: v_dual_mov_b32 v3, 0
	v_mov_b32_e32 v6, 0xff800000
	s_cmp_lg_u64 s[6:7], 0
	s_mov_b32 s18, 0
	s_cselect_b32 s12, -1, 0
	s_mov_b32 s19, 0x76543210
	s_branch .LBB113_15
.LBB113_14:                             ;   in Loop: Header=BB113_15 Depth=1
	v_cmp_eq_u32_e32 vcc_lo, s18, v0
	s_delay_alu instid0(VALU_DEP_2) | instskip(NEXT) | instid1(VALU_DEP_2)
	s_lshl_b32 s3, s16, 2
	v_add_f32_e32 v3, v3, v9
	s_add_i32 s3, s3, 0
	s_add_i32 s18, s18, 1
	v_cndmask_b32_e64 v1, v1, s16, vcc_lo
	v_dual_mov_b32 v7, s3 :: v_dual_cndmask_b32 v2, v2, v9
	s_cmp_eq_u32 s18, s13
	ds_store_b32 v7, v6
	s_cbranch_scc1 .LBB113_22
.LBB113_15:                             ; =>This Loop Header: Depth=1
                                        ;     Child Loop BB113_17 Depth 2
	v_dual_mov_b32 v7, s18 :: v_dual_mov_b32 v8, 0xff800000
	s_and_saveexec_b32 s16, s2
	s_cbranch_execz .LBB113_19
; %bb.16:                               ;   in Loop: Header=BB113_15 Depth=1
	s_load_b32 s3, s[4:5], 0xc
	v_dual_mov_b32 v7, s18 :: v_dual_mov_b32 v8, 0xff800000
	v_dual_mov_b32 v9, v5 :: v_dual_mov_b32 v10, v4
	v_mov_b32_e32 v11, v0
	s_mov_b32 s21, 0
	s_waitcnt lgkmcnt(0)
	s_and_b32 s17, s3, 0xffff
	s_delay_alu instid0(SALU_CYCLE_1)
	s_lshl_b32 s20, s17, 1
	s_lshl_b32 s22, s17, 3
	.p2align	6
.LBB113_17:                             ;   Parent Loop BB113_15 Depth=1
                                        ; =>  This Inner Loop Header: Depth=2
	ds_load_b64 v[12:13], v9
	v_add_nc_u32_e32 v9, s22, v9
	v_add_nc_u32_e32 v11, s17, v11
	s_delay_alu instid0(VALU_DEP_1) | instskip(NEXT) | instid1(VALU_DEP_1)
	v_cmp_le_i32_e64 s3, s14, v11
	s_or_b32 s21, s3, s21
	s_waitcnt lgkmcnt(0)
	v_cmp_gt_f32_e32 vcc_lo, v12, v8
	v_cndmask_b32_e32 v8, v8, v12, vcc_lo
	v_add_nc_u32_e32 v12, 1, v10
	v_cndmask_b32_e32 v7, v7, v10, vcc_lo
	s_delay_alu instid0(VALU_DEP_3) | instskip(SKIP_1) | instid1(VALU_DEP_3)
	v_cmp_gt_f32_e32 vcc_lo, v13, v8
	v_cndmask_b32_e32 v8, v8, v13, vcc_lo
	v_dual_cndmask_b32 v7, v7, v12 :: v_dual_add_nc_u32 v10, s20, v10
	s_and_not1_b32 exec_lo, exec_lo, s21
	s_cbranch_execnz .LBB113_17
; %bb.18:                               ;   in Loop: Header=BB113_15 Depth=1
	s_or_b32 exec_lo, exec_lo, s21
.LBB113_19:                             ;   in Loop: Header=BB113_15 Depth=1
	s_delay_alu instid0(SALU_CYCLE_1)
	s_or_b32 exec_lo, exec_lo, s16
	;;#ASMSTART
	v_max_f32 v9, v8, v8 quad_perm:[1,0,3,2] row_mask:0xf bank_mask:0xf bound_ctrl:1
	;;#ASMEND
	;;#ASMSTART
	v_max_f32 v10, v9, v9 quad_perm:[2,3,0,1] row_mask:0xf bank_mask:0xf bound_ctrl:1
	;;#ASMEND
	;;#ASMSTART
	v_max_f32 v9, v10, v10 row_half_mirror row_mask:0xf bank_mask:0xf bound_ctrl:1
	;;#ASMEND
	;;#ASMSTART
	v_max_f32 v10, v9, v9 row_mirror row_mask:0xf bank_mask:0xf bound_ctrl:1
	;;#ASMEND
	v_permlanex16_b32 v9, v10, s19, 0xfedcba98 op_sel:[1,1]
	s_delay_alu instid0(VALU_DEP_1) | instskip(NEXT) | instid1(VALU_DEP_1)
	v_dual_max_f32 v10, v10, v10 :: v_dual_max_f32 v9, v9, v9
	v_max_f32_e32 v9, v10, v9
	s_delay_alu instid0(VALU_DEP_1)
	v_cmp_eq_f32_e32 vcc_lo, v8, v9
	s_ctz_i32_b32 s3, vcc_lo
	s_cmp_lg_u32 vcc_lo, 0
	s_cselect_b32 s3, s3, 0
	s_and_b32 vcc_lo, exec_lo, s12
	v_readlane_b32 s16, v7, s3
	s_cbranch_vccz .LBB113_14
; %bb.20:                               ;   in Loop: Header=BB113_15 Depth=1
	s_delay_alu instid0(VALU_DEP_1) | instskip(NEXT) | instid1(SALU_CYCLE_1)
	s_ashr_i32 s17, s16, 31
	s_lshl_b64 s[20:21], s[16:17], 2
	s_delay_alu instid0(SALU_CYCLE_1)
	s_add_u32 s20, s6, s20
	s_addc_u32 s21, s7, s21
	s_load_b32 s3, s[20:21], 0x0
	s_waitcnt lgkmcnt(0)
	v_subrev_f32_e32 v9, s3, v9
	s_branch .LBB113_14
.LBB113_21:
	v_mov_b32_e32 v1, 0
	v_mov_b32_e32 v3, 0
.LBB113_22:
	s_mov_b32 s2, exec_lo
	v_cmpx_gt_i32_e64 s13, v0
	s_cbranch_execz .LBB113_25
; %bb.23:
	s_clause 0x1
	s_load_b32 s2, s[0:1], 0x34
	s_load_b32 s3, s[0:1], 0x44
	v_max_f32_e32 v3, v3, v3
	s_load_b64 s[0:1], s[0:1], 0x20
	s_ashr_i32 s4, s15, 31
	s_delay_alu instid0(VALU_DEP_1) | instskip(SKIP_1) | instid1(VALU_DEP_1)
	v_max_f32_e32 v3, 0x1e3ce508, v3
	s_waitcnt lgkmcnt(0)
	v_div_scale_f32 v4, null, v3, v3, s2
	v_div_scale_f32 v7, vcc_lo, s2, v3, s2
	s_mul_i32 s1, s15, s1
	s_delay_alu instid0(VALU_DEP_2) | instskip(SKIP_4) | instid1(VALU_DEP_1)
	v_rcp_f32_e32 v5, v4
	s_mul_i32 s4, s4, s0
	s_and_b32 s3, s3, 0xffff
	s_waitcnt_depctr 0xfff
	v_fma_f32 v6, -v4, v5, 1.0
	v_fmac_f32_e32 v5, v6, v5
	s_delay_alu instid0(VALU_DEP_1) | instskip(NEXT) | instid1(VALU_DEP_1)
	v_mul_f32_e32 v6, v7, v5
	v_fma_f32 v8, -v4, v6, v7
	s_delay_alu instid0(VALU_DEP_1) | instskip(NEXT) | instid1(VALU_DEP_1)
	v_fmac_f32_e32 v6, v8, v5
	v_fma_f32 v4, -v4, v6, v7
	s_delay_alu instid0(VALU_DEP_1) | instskip(NEXT) | instid1(VALU_DEP_1)
	v_div_fmas_f32 v4, v4, v5, v6
	v_div_fixup_f32 v3, v4, v3, s2
	s_mul_hi_u32 s2, s15, s0
	s_delay_alu instid0(SALU_CYCLE_1) | instskip(SKIP_1) | instid1(VALU_DEP_1)
	s_add_i32 s1, s2, s1
	s_mul_i32 s2, s15, s0
	v_mul_f32_e32 v2, v2, v3
	s_add_i32 s1, s1, s4
	s_mov_b32 s4, 0
	.p2align	6
.LBB113_24:                             ; =>This Inner Loop Header: Depth=1
	v_ashrrev_i32_e32 v4, 31, v0
	v_add_co_u32 v3, vcc_lo, s2, v0
	v_add_nc_u32_e32 v0, s3, v0
	s_delay_alu instid0(VALU_DEP_3) | instskip(NEXT) | instid1(VALU_DEP_2)
	v_add_co_ci_u32_e32 v4, vcc_lo, s1, v4, vcc_lo
	v_cmp_le_i32_e32 vcc_lo, s13, v0
	s_delay_alu instid0(VALU_DEP_2) | instskip(SKIP_1) | instid1(VALU_DEP_1)
	v_lshlrev_b64 v[3:4], 2, v[3:4]
	s_or_b32 s4, vcc_lo, s4
	v_add_co_u32 v5, s0, s8, v3
	s_delay_alu instid0(VALU_DEP_1) | instskip(SKIP_1) | instid1(VALU_DEP_1)
	v_add_co_ci_u32_e64 v6, s0, s9, v4, s0
	v_add_co_u32 v3, s0, s10, v3
	v_add_co_ci_u32_e64 v4, s0, s11, v4, s0
	global_store_b32 v[5:6], v2, off
	global_store_b32 v[3:4], v1, off
	s_and_not1_b32 exec_lo, exec_lo, s4
	s_cbranch_execnz .LBB113_24
.LBB113_25:
	s_nop 0
	s_sendmsg sendmsg(MSG_DEALLOC_VGPRS)
	s_endpgm
	.section	.rodata,"a",@progbits
	.p2align	6, 0x0
	.amdhsa_kernel _ZN5aiter20topk_softplus_kernelI6__halffDv2_fLb1ELi1EEEvPKT_PKT0_PfPimiiif
		.amdhsa_group_segment_fixed_size 0
		.amdhsa_private_segment_fixed_size 0
		.amdhsa_kernarg_size 312
		.amdhsa_user_sgpr_count 15
		.amdhsa_user_sgpr_dispatch_ptr 0
		.amdhsa_user_sgpr_queue_ptr 0
		.amdhsa_user_sgpr_kernarg_segment_ptr 1
		.amdhsa_user_sgpr_dispatch_id 0
		.amdhsa_user_sgpr_private_segment_size 0
		.amdhsa_wavefront_size32 1
		.amdhsa_uses_dynamic_stack 0
		.amdhsa_enable_private_segment 0
		.amdhsa_system_sgpr_workgroup_id_x 1
		.amdhsa_system_sgpr_workgroup_id_y 0
		.amdhsa_system_sgpr_workgroup_id_z 0
		.amdhsa_system_sgpr_workgroup_info 0
		.amdhsa_system_vgpr_workitem_id 0
		.amdhsa_next_free_vgpr 14
		.amdhsa_next_free_sgpr 25
		.amdhsa_reserve_vcc 1
		.amdhsa_float_round_mode_32 0
		.amdhsa_float_round_mode_16_64 0
		.amdhsa_float_denorm_mode_32 3
		.amdhsa_float_denorm_mode_16_64 3
		.amdhsa_dx10_clamp 1
		.amdhsa_ieee_mode 1
		.amdhsa_fp16_overflow 0
		.amdhsa_workgroup_processor_mode 1
		.amdhsa_memory_ordered 1
		.amdhsa_forward_progress 0
		.amdhsa_shared_vgpr_count 0
		.amdhsa_exception_fp_ieee_invalid_op 0
		.amdhsa_exception_fp_denorm_src 0
		.amdhsa_exception_fp_ieee_div_zero 0
		.amdhsa_exception_fp_ieee_overflow 0
		.amdhsa_exception_fp_ieee_underflow 0
		.amdhsa_exception_fp_ieee_inexact 0
		.amdhsa_exception_int_div_zero 0
	.end_amdhsa_kernel
	.section	.text._ZN5aiter20topk_softplus_kernelI6__halffDv2_fLb1ELi1EEEvPKT_PKT0_PfPimiiif,"axG",@progbits,_ZN5aiter20topk_softplus_kernelI6__halffDv2_fLb1ELi1EEEvPKT_PKT0_PfPimiiif,comdat
.Lfunc_end113:
	.size	_ZN5aiter20topk_softplus_kernelI6__halffDv2_fLb1ELi1EEEvPKT_PKT0_PfPimiiif, .Lfunc_end113-_ZN5aiter20topk_softplus_kernelI6__halffDv2_fLb1ELi1EEEvPKT_PKT0_PfPimiiif
                                        ; -- End function
	.section	.AMDGPU.csdata,"",@progbits
; Kernel info:
; codeLenInByte = 1684
; NumSgprs: 27
; NumVgprs: 14
; ScratchSize: 0
; MemoryBound: 0
; FloatMode: 240
; IeeeMode: 1
; LDSByteSize: 0 bytes/workgroup (compile time only)
; SGPRBlocks: 3
; VGPRBlocks: 1
; NumSGPRsForWavesPerEU: 27
; NumVGPRsForWavesPerEU: 14
; Occupancy: 16
; WaveLimiterHint : 0
; COMPUTE_PGM_RSRC2:SCRATCH_EN: 0
; COMPUTE_PGM_RSRC2:USER_SGPR: 15
; COMPUTE_PGM_RSRC2:TRAP_HANDLER: 0
; COMPUTE_PGM_RSRC2:TGID_X_EN: 1
; COMPUTE_PGM_RSRC2:TGID_Y_EN: 0
; COMPUTE_PGM_RSRC2:TGID_Z_EN: 0
; COMPUTE_PGM_RSRC2:TIDIG_COMP_CNT: 0
	.section	.text._ZN5aiter20topk_softplus_kernelI6__halffDv2_fLb0ELi1EEEvPKT_PKT0_PfPimiiif,"axG",@progbits,_ZN5aiter20topk_softplus_kernelI6__halffDv2_fLb0ELi1EEEvPKT_PKT0_PfPimiiif,comdat
	.protected	_ZN5aiter20topk_softplus_kernelI6__halffDv2_fLb0ELi1EEEvPKT_PKT0_PfPimiiif ; -- Begin function _ZN5aiter20topk_softplus_kernelI6__halffDv2_fLb0ELi1EEEvPKT_PKT0_PfPimiiif
	.globl	_ZN5aiter20topk_softplus_kernelI6__halffDv2_fLb0ELi1EEEvPKT_PKT0_PfPimiiif
	.p2align	8
	.type	_ZN5aiter20topk_softplus_kernelI6__halffDv2_fLb0ELi1EEEvPKT_PKT0_PfPimiiif,@function
_ZN5aiter20topk_softplus_kernelI6__halffDv2_fLb0ELi1EEEvPKT_PKT0_PfPimiiif: ; @_ZN5aiter20topk_softplus_kernelI6__halffDv2_fLb0ELi1EEEvPKT_PKT0_PfPimiiif
; %bb.0:
	s_clause 0x1
	s_load_b64 s[12:13], s[0:1], 0x28
	s_load_b256 s[4:11], s[0:1], 0x0
	s_waitcnt lgkmcnt(0)
	s_lshr_b32 s2, s12, 31
	s_mul_i32 s16, s15, s12
	s_add_i32 s2, s12, s2
	s_ashr_i32 s17, s16, 31
	s_ashr_i32 s14, s2, 1
	s_delay_alu instid0(SALU_CYCLE_1) | instskip(NEXT) | instid1(VALU_DEP_1)
	v_cmp_gt_i32_e64 s2, s14, v0
	s_and_saveexec_b32 s18, s2
	s_cbranch_execz .LBB114_7
; %bb.1:
	s_load_b32 s3, s[0:1], 0x44
	v_lshlrev_b32_e32 v1, 3, v0
	s_cmp_lg_u64 s[6:7], 0
	v_dual_mov_b32 v8, v0 :: v_dual_lshlrev_b32 v3, 2, v0
	s_cselect_b32 s20, -1, 0
	s_delay_alu instid0(VALU_DEP_2) | instskip(SKIP_3) | instid1(VALU_DEP_3)
	v_add_co_u32 v2, s21, v1, s6
	s_lshl_b64 s[22:23], s[16:17], 1
	v_add_co_ci_u32_e64 v4, null, 0, s7, s21
	v_add_nc_u32_e32 v7, 0, v1
	v_add_co_u32 v1, vcc_lo, v2, 4
	s_delay_alu instid0(VALU_DEP_3)
	v_add_co_ci_u32_e32 v2, vcc_lo, 0, v4, vcc_lo
	s_mov_b32 s19, 0
	s_mov_b32 s24, 0xbfb8aa3b
	s_waitcnt lgkmcnt(0)
	s_and_b32 s21, s3, 0xffff
	s_add_u32 s3, s4, s22
	s_addc_u32 s22, s5, s23
	v_add_co_u32 v3, s3, s3, v3
	s_delay_alu instid0(VALU_DEP_1)
	v_add_co_ci_u32_e64 v4, null, s22, 0, s3
	s_lshl_b32 s22, s21, 2
	s_lshl_b32 s23, s21, 3
	s_branch .LBB114_3
.LBB114_2:                              ;   in Loop: Header=BB114_3 Depth=1
	v_add_nc_u32_e32 v8, s21, v8
	v_add_co_u32 v3, vcc_lo, v3, s22
	v_add_co_ci_u32_e32 v4, vcc_lo, 0, v4, vcc_lo
	s_delay_alu instid0(VALU_DEP_3)
	v_cmp_le_i32_e32 vcc_lo, s14, v8
	v_add_co_u32 v1, s3, v1, s23
	ds_store_b64 v7, v[5:6]
	v_add_co_ci_u32_e64 v2, s3, 0, v2, s3
	v_add_nc_u32_e32 v7, s23, v7
	s_or_b32 s19, vcc_lo, s19
	s_delay_alu instid0(SALU_CYCLE_1)
	s_and_not1_b32 exec_lo, exec_lo, s19
	s_cbranch_execz .LBB114_7
.LBB114_3:                              ; =>This Inner Loop Header: Depth=1
	global_load_b32 v6, v[3:4], off
	s_waitcnt vmcnt(0)
	v_cvt_f32_f16_e32 v5, v6
	s_delay_alu instid0(VALU_DEP_1) | instskip(NEXT) | instid1(VALU_DEP_1)
	v_mul_f32_e32 v5, 0xbfb8aa3b, v5
	v_cmp_gt_f32_e32 vcc_lo, 0xc2fc0000, v5
	v_cndmask_b32_e64 v9, 0, 0x42800000, vcc_lo
	v_cndmask_b32_e64 v5, 1.0, 0x1f800000, vcc_lo
	s_and_not1_b32 vcc_lo, exec_lo, s20
	s_delay_alu instid0(VALU_DEP_2) | instskip(NEXT) | instid1(VALU_DEP_1)
	v_fma_mix_f32 v9, v6, s24, v9 op_sel_hi:[1,0,0]
	v_exp_f32_e32 v9, v9
	s_waitcnt_depctr 0xfff
	v_fma_f32 v5, v9, v5, 1.0
	s_delay_alu instid0(VALU_DEP_1)
	v_rcp_f32_e32 v5, v5
	s_cbranch_vccnz .LBB114_5
; %bb.4:                                ;   in Loop: Header=BB114_3 Depth=1
	global_load_b32 v9, v[1:2], off offset:-4
	s_waitcnt vmcnt(0)
	v_add_f32_e32 v5, v5, v9
.LBB114_5:                              ;   in Loop: Header=BB114_3 Depth=1
	v_lshrrev_b32_e32 v9, 16, v6
	s_delay_alu instid0(VALU_DEP_1) | instskip(NEXT) | instid1(VALU_DEP_1)
	v_cvt_f32_f16_e32 v9, v9
	v_mul_f32_e32 v9, 0xbfb8aa3b, v9
	s_delay_alu instid0(VALU_DEP_1) | instskip(SKIP_3) | instid1(VALU_DEP_2)
	v_cmp_gt_f32_e32 vcc_lo, 0xc2fc0000, v9
	v_cndmask_b32_e64 v10, 0, 0x42800000, vcc_lo
	v_cndmask_b32_e64 v9, 1.0, 0x1f800000, vcc_lo
	s_and_not1_b32 vcc_lo, exec_lo, s20
	v_fma_mix_f32 v6, v6, s24, v10 op_sel:[1,0,0] op_sel_hi:[1,0,0]
	s_delay_alu instid0(VALU_DEP_1) | instskip(SKIP_2) | instid1(VALU_DEP_1)
	v_exp_f32_e32 v6, v6
	s_waitcnt_depctr 0xfff
	v_fma_f32 v6, v6, v9, 1.0
	v_rcp_f32_e32 v6, v6
	s_cbranch_vccnz .LBB114_2
; %bb.6:                                ;   in Loop: Header=BB114_3 Depth=1
	global_load_b32 v9, v[1:2], off
	s_waitcnt vmcnt(0)
	v_add_f32_e32 v6, v6, v9
	s_branch .LBB114_2
.LBB114_7:
	s_or_b32 exec_lo, exec_lo, s18
	v_lshl_add_u32 v1, s14, 1, v0
	s_mov_b32 s3, exec_lo
	s_delay_alu instid0(VALU_DEP_1)
	v_cmpx_gt_i32_e64 s12, v1
	s_cbranch_execz .LBB114_12
; %bb.8:
	s_load_b32 s18, s[0:1], 0x44
	s_lshl_b64 s[16:17], s[16:17], 1
	v_lshlrev_b32_e32 v2, 2, v0
	s_add_u32 s4, s4, s16
	s_addc_u32 s5, s5, s17
	s_cmp_lg_u64 s[6:7], 0
	s_mov_b32 s20, 0xbfb8aa3b
	s_cselect_b32 s16, -1, 0
	s_lshl_b32 s17, s14, 3
	s_delay_alu instid0(SALU_CYCLE_1)
	v_add3_u32 v3, 0, s17, v2
	s_waitcnt lgkmcnt(0)
	s_and_b32 s17, s18, 0xffff
	s_mov_b32 s18, 0
	s_lshl_b32 s19, s17, 2
	s_set_inst_prefetch_distance 0x1
	s_branch .LBB114_10
	.p2align	6
.LBB114_9:                              ;   in Loop: Header=BB114_10 Depth=1
	v_add_nc_u32_e32 v1, s17, v1
	v_add_nc_u32_e32 v3, s19, v3
	s_delay_alu instid0(VALU_DEP_2) | instskip(SKIP_1) | instid1(SALU_CYCLE_1)
	v_cmp_le_i32_e32 vcc_lo, s12, v1
	s_or_b32 s18, vcc_lo, s18
	s_and_not1_b32 exec_lo, exec_lo, s18
	s_cbranch_execz .LBB114_12
.LBB114_10:                             ; =>This Inner Loop Header: Depth=1
	v_ashrrev_i32_e32 v2, 31, v1
	s_delay_alu instid0(VALU_DEP_1) | instskip(NEXT) | instid1(VALU_DEP_1)
	v_lshlrev_b64 v[4:5], 1, v[1:2]
	v_add_co_u32 v4, vcc_lo, s4, v4
	s_delay_alu instid0(VALU_DEP_2) | instskip(SKIP_3) | instid1(VALU_DEP_1)
	v_add_co_ci_u32_e32 v5, vcc_lo, s5, v5, vcc_lo
	global_load_u16 v4, v[4:5], off
	s_waitcnt vmcnt(0)
	v_cvt_f32_f16_e32 v5, v4
	v_mul_f32_e32 v5, 0xbfb8aa3b, v5
	s_delay_alu instid0(VALU_DEP_1) | instskip(SKIP_1) | instid1(VALU_DEP_1)
	v_cmp_gt_f32_e32 vcc_lo, 0xc2fc0000, v5
	v_cndmask_b32_e64 v5, 0, 0x42800000, vcc_lo
	v_fma_mix_f32 v4, v4, s20, v5 op_sel_hi:[1,0,0]
	v_cndmask_b32_e64 v5, 1.0, 0x1f800000, vcc_lo
	s_and_not1_b32 vcc_lo, exec_lo, s16
	s_delay_alu instid0(VALU_DEP_2) | instskip(SKIP_2) | instid1(VALU_DEP_1)
	v_exp_f32_e32 v4, v4
	s_waitcnt_depctr 0xfff
	v_fma_f32 v4, v4, v5, 1.0
	v_rcp_f32_e32 v4, v4
	ds_store_b32 v3, v4
	s_cbranch_vccnz .LBB114_9
; %bb.11:                               ;   in Loop: Header=BB114_10 Depth=1
	v_lshlrev_b64 v[5:6], 2, v[1:2]
	s_delay_alu instid0(VALU_DEP_1) | instskip(NEXT) | instid1(VALU_DEP_2)
	v_add_co_u32 v5, vcc_lo, s6, v5
	v_add_co_ci_u32_e32 v6, vcc_lo, s7, v6, vcc_lo
	global_load_b32 v2, v[5:6], off
	s_waitcnt vmcnt(0)
	v_add_f32_e32 v2, v4, v2
	ds_store_b32 v3, v2
	s_branch .LBB114_9
.LBB114_12:
	s_set_inst_prefetch_distance 0x2
	s_or_b32 exec_lo, exec_lo, s3
	s_cmp_lt_i32 s13, 1
	s_waitcnt lgkmcnt(0)
	s_barrier
	buffer_gl0_inv
	s_cbranch_scc1 .LBB114_21
; %bb.13:
	s_add_u32 s4, s0, 56
	s_addc_u32 s5, s1, 0
	v_dual_mov_b32 v2, 0 :: v_dual_lshlrev_b32 v3, 1, v0
	v_lshl_add_u32 v4, v0, 3, 0
	v_mov_b32_e32 v1, 0
	v_mov_b32_e32 v5, 0xff800000
	s_cmp_lg_u64 s[6:7], 0
	s_mov_b32 s18, 0
	s_cselect_b32 s12, -1, 0
	s_mov_b32 s19, 0x76543210
	s_branch .LBB114_15
.LBB114_14:                             ;   in Loop: Header=BB114_15 Depth=1
	v_cmp_eq_u32_e32 vcc_lo, s18, v0
	s_delay_alu instid0(VALU_DEP_2)
	s_lshl_b32 s3, s16, 2
	s_add_i32 s18, s18, 1
	s_add_i32 s3, s3, 0
	s_cmp_eq_u32 s18, s13
	v_cndmask_b32_e64 v1, v1, s16, vcc_lo
	v_mov_b32_e32 v6, s3
	v_cndmask_b32_e32 v2, v2, v8, vcc_lo
	ds_store_b32 v6, v5
	s_cbranch_scc1 .LBB114_22
.LBB114_15:                             ; =>This Loop Header: Depth=1
                                        ;     Child Loop BB114_17 Depth 2
	v_dual_mov_b32 v6, s18 :: v_dual_mov_b32 v7, 0xff800000
	s_and_saveexec_b32 s16, s2
	s_cbranch_execz .LBB114_19
; %bb.16:                               ;   in Loop: Header=BB114_15 Depth=1
	s_load_b32 s3, s[4:5], 0xc
	v_dual_mov_b32 v6, s18 :: v_dual_mov_b32 v7, 0xff800000
	v_dual_mov_b32 v8, v4 :: v_dual_mov_b32 v9, v3
	v_mov_b32_e32 v10, v0
	s_mov_b32 s21, 0
	s_waitcnt lgkmcnt(0)
	s_and_b32 s17, s3, 0xffff
	s_delay_alu instid0(SALU_CYCLE_1)
	s_lshl_b32 s20, s17, 1
	s_lshl_b32 s22, s17, 3
	.p2align	6
.LBB114_17:                             ;   Parent Loop BB114_15 Depth=1
                                        ; =>  This Inner Loop Header: Depth=2
	ds_load_b64 v[11:12], v8
	v_add_nc_u32_e32 v8, s22, v8
	v_add_nc_u32_e32 v10, s17, v10
	s_delay_alu instid0(VALU_DEP_1) | instskip(NEXT) | instid1(VALU_DEP_1)
	v_cmp_le_i32_e64 s3, s14, v10
	s_or_b32 s21, s3, s21
	s_waitcnt lgkmcnt(0)
	v_cmp_gt_f32_e32 vcc_lo, v11, v7
	v_cndmask_b32_e32 v7, v7, v11, vcc_lo
	v_add_nc_u32_e32 v11, 1, v9
	v_cndmask_b32_e32 v6, v6, v9, vcc_lo
	s_delay_alu instid0(VALU_DEP_3) | instskip(SKIP_1) | instid1(VALU_DEP_3)
	v_cmp_gt_f32_e32 vcc_lo, v12, v7
	v_cndmask_b32_e32 v7, v7, v12, vcc_lo
	v_dual_cndmask_b32 v6, v6, v11 :: v_dual_add_nc_u32 v9, s20, v9
	s_and_not1_b32 exec_lo, exec_lo, s21
	s_cbranch_execnz .LBB114_17
; %bb.18:                               ;   in Loop: Header=BB114_15 Depth=1
	s_or_b32 exec_lo, exec_lo, s21
.LBB114_19:                             ;   in Loop: Header=BB114_15 Depth=1
	s_delay_alu instid0(SALU_CYCLE_1)
	s_or_b32 exec_lo, exec_lo, s16
	;;#ASMSTART
	v_max_f32 v8, v7, v7 quad_perm:[1,0,3,2] row_mask:0xf bank_mask:0xf bound_ctrl:1
	;;#ASMEND
	;;#ASMSTART
	v_max_f32 v9, v8, v8 quad_perm:[2,3,0,1] row_mask:0xf bank_mask:0xf bound_ctrl:1
	;;#ASMEND
	;;#ASMSTART
	v_max_f32 v8, v9, v9 row_half_mirror row_mask:0xf bank_mask:0xf bound_ctrl:1
	;;#ASMEND
	;;#ASMSTART
	v_max_f32 v9, v8, v8 row_mirror row_mask:0xf bank_mask:0xf bound_ctrl:1
	;;#ASMEND
	v_permlanex16_b32 v8, v9, s19, 0xfedcba98 op_sel:[1,1]
	s_delay_alu instid0(VALU_DEP_1) | instskip(NEXT) | instid1(VALU_DEP_1)
	v_dual_max_f32 v9, v9, v9 :: v_dual_max_f32 v8, v8, v8
	v_max_f32_e32 v8, v9, v8
	s_delay_alu instid0(VALU_DEP_1)
	v_cmp_eq_f32_e32 vcc_lo, v7, v8
	s_ctz_i32_b32 s3, vcc_lo
	s_cmp_lg_u32 vcc_lo, 0
	s_cselect_b32 s3, s3, 0
	s_and_b32 vcc_lo, exec_lo, s12
	v_readlane_b32 s16, v6, s3
	s_cbranch_vccz .LBB114_14
; %bb.20:                               ;   in Loop: Header=BB114_15 Depth=1
	s_delay_alu instid0(VALU_DEP_1) | instskip(NEXT) | instid1(SALU_CYCLE_1)
	s_ashr_i32 s17, s16, 31
	s_lshl_b64 s[20:21], s[16:17], 2
	s_delay_alu instid0(SALU_CYCLE_1)
	s_add_u32 s20, s6, s20
	s_addc_u32 s21, s7, s21
	s_load_b32 s3, s[20:21], 0x0
	s_waitcnt lgkmcnt(0)
	v_subrev_f32_e32 v8, s3, v8
	s_branch .LBB114_14
.LBB114_21:
	v_dual_mov_b32 v2, 0 :: v_dual_mov_b32 v1, 0
.LBB114_22:
	s_mov_b32 s2, exec_lo
	v_cmpx_gt_i32_e64 s13, v0
	s_cbranch_execz .LBB114_25
; %bb.23:
	s_clause 0x2
	s_load_b32 s4, s[0:1], 0x34
	s_load_b64 s[2:3], s[0:1], 0x20
	s_load_b32 s0, s[0:1], 0x44
	s_ashr_i32 s1, s15, 31
	s_waitcnt lgkmcnt(0)
	v_mul_f32_e32 v2, s4, v2
	s_mul_i32 s3, s15, s3
	s_mul_hi_u32 s4, s15, s2
	s_mul_i32 s5, s1, s2
	s_add_i32 s3, s4, s3
	s_mul_i32 s1, s15, s2
	s_and_b32 s2, s0, 0xffff
	s_add_i32 s3, s3, s5
	s_mov_b32 s4, 0
	.p2align	6
.LBB114_24:                             ; =>This Inner Loop Header: Depth=1
	v_ashrrev_i32_e32 v4, 31, v0
	v_add_co_u32 v3, vcc_lo, s1, v0
	v_add_nc_u32_e32 v0, s2, v0
	s_delay_alu instid0(VALU_DEP_3) | instskip(NEXT) | instid1(VALU_DEP_2)
	v_add_co_ci_u32_e32 v4, vcc_lo, s3, v4, vcc_lo
	v_cmp_le_i32_e32 vcc_lo, s13, v0
	s_delay_alu instid0(VALU_DEP_2) | instskip(SKIP_1) | instid1(VALU_DEP_1)
	v_lshlrev_b64 v[3:4], 2, v[3:4]
	s_or_b32 s4, vcc_lo, s4
	v_add_co_u32 v5, s0, s8, v3
	s_delay_alu instid0(VALU_DEP_1) | instskip(SKIP_1) | instid1(VALU_DEP_1)
	v_add_co_ci_u32_e64 v6, s0, s9, v4, s0
	v_add_co_u32 v3, s0, s10, v3
	v_add_co_ci_u32_e64 v4, s0, s11, v4, s0
	global_store_b32 v[5:6], v2, off
	global_store_b32 v[3:4], v1, off
	s_and_not1_b32 exec_lo, exec_lo, s4
	s_cbranch_execnz .LBB114_24
.LBB114_25:
	s_nop 0
	s_sendmsg sendmsg(MSG_DEALLOC_VGPRS)
	s_endpgm
	.section	.rodata,"a",@progbits
	.p2align	6, 0x0
	.amdhsa_kernel _ZN5aiter20topk_softplus_kernelI6__halffDv2_fLb0ELi1EEEvPKT_PKT0_PfPimiiif
		.amdhsa_group_segment_fixed_size 0
		.amdhsa_private_segment_fixed_size 0
		.amdhsa_kernarg_size 312
		.amdhsa_user_sgpr_count 15
		.amdhsa_user_sgpr_dispatch_ptr 0
		.amdhsa_user_sgpr_queue_ptr 0
		.amdhsa_user_sgpr_kernarg_segment_ptr 1
		.amdhsa_user_sgpr_dispatch_id 0
		.amdhsa_user_sgpr_private_segment_size 0
		.amdhsa_wavefront_size32 1
		.amdhsa_uses_dynamic_stack 0
		.amdhsa_enable_private_segment 0
		.amdhsa_system_sgpr_workgroup_id_x 1
		.amdhsa_system_sgpr_workgroup_id_y 0
		.amdhsa_system_sgpr_workgroup_id_z 0
		.amdhsa_system_sgpr_workgroup_info 0
		.amdhsa_system_vgpr_workitem_id 0
		.amdhsa_next_free_vgpr 13
		.amdhsa_next_free_sgpr 25
		.amdhsa_reserve_vcc 1
		.amdhsa_float_round_mode_32 0
		.amdhsa_float_round_mode_16_64 0
		.amdhsa_float_denorm_mode_32 3
		.amdhsa_float_denorm_mode_16_64 3
		.amdhsa_dx10_clamp 1
		.amdhsa_ieee_mode 1
		.amdhsa_fp16_overflow 0
		.amdhsa_workgroup_processor_mode 1
		.amdhsa_memory_ordered 1
		.amdhsa_forward_progress 0
		.amdhsa_shared_vgpr_count 0
		.amdhsa_exception_fp_ieee_invalid_op 0
		.amdhsa_exception_fp_denorm_src 0
		.amdhsa_exception_fp_ieee_div_zero 0
		.amdhsa_exception_fp_ieee_overflow 0
		.amdhsa_exception_fp_ieee_underflow 0
		.amdhsa_exception_fp_ieee_inexact 0
		.amdhsa_exception_int_div_zero 0
	.end_amdhsa_kernel
	.section	.text._ZN5aiter20topk_softplus_kernelI6__halffDv2_fLb0ELi1EEEvPKT_PKT0_PfPimiiif,"axG",@progbits,_ZN5aiter20topk_softplus_kernelI6__halffDv2_fLb0ELi1EEEvPKT_PKT0_PfPimiiif,comdat
.Lfunc_end114:
	.size	_ZN5aiter20topk_softplus_kernelI6__halffDv2_fLb0ELi1EEEvPKT_PKT0_PfPimiiif, .Lfunc_end114-_ZN5aiter20topk_softplus_kernelI6__halffDv2_fLb0ELi1EEEvPKT_PKT0_PfPimiiif
                                        ; -- End function
	.section	.AMDGPU.csdata,"",@progbits
; Kernel info:
; codeLenInByte = 1560
; NumSgprs: 27
; NumVgprs: 13
; ScratchSize: 0
; MemoryBound: 0
; FloatMode: 240
; IeeeMode: 1
; LDSByteSize: 0 bytes/workgroup (compile time only)
; SGPRBlocks: 3
; VGPRBlocks: 1
; NumSGPRsForWavesPerEU: 27
; NumVGPRsForWavesPerEU: 13
; Occupancy: 16
; WaveLimiterHint : 0
; COMPUTE_PGM_RSRC2:SCRATCH_EN: 0
; COMPUTE_PGM_RSRC2:USER_SGPR: 15
; COMPUTE_PGM_RSRC2:TRAP_HANDLER: 0
; COMPUTE_PGM_RSRC2:TGID_X_EN: 1
; COMPUTE_PGM_RSRC2:TGID_Y_EN: 0
; COMPUTE_PGM_RSRC2:TGID_Z_EN: 0
; COMPUTE_PGM_RSRC2:TIDIG_COMP_CNT: 0
	.section	.text._ZN5aiter20topk_softplus_kernelI6__halffDv1_fLb1ELi1EEEvPKT_PKT0_PfPimiiif,"axG",@progbits,_ZN5aiter20topk_softplus_kernelI6__halffDv1_fLb1ELi1EEEvPKT_PKT0_PfPimiiif,comdat
	.protected	_ZN5aiter20topk_softplus_kernelI6__halffDv1_fLb1ELi1EEEvPKT_PKT0_PfPimiiif ; -- Begin function _ZN5aiter20topk_softplus_kernelI6__halffDv1_fLb1ELi1EEEvPKT_PKT0_PfPimiiif
	.globl	_ZN5aiter20topk_softplus_kernelI6__halffDv1_fLb1ELi1EEEvPKT_PKT0_PfPimiiif
	.p2align	8
	.type	_ZN5aiter20topk_softplus_kernelI6__halffDv1_fLb1ELi1EEEvPKT_PKT0_PfPimiiif,@function
_ZN5aiter20topk_softplus_kernelI6__halffDv1_fLb1ELi1EEEvPKT_PKT0_PfPimiiif: ; @_ZN5aiter20topk_softplus_kernelI6__halffDv1_fLb1ELi1EEEvPKT_PKT0_PfPimiiif
; %bb.0:
	s_clause 0x1
	s_load_b64 s[12:13], s[0:1], 0x28
	s_load_b256 s[4:11], s[0:1], 0x0
	v_lshl_add_u32 v3, v0, 2, 0
	s_waitcnt lgkmcnt(0)
	s_mul_i32 s16, s15, s12
	v_cmp_gt_i32_e64 s2, s12, v0
	s_ashr_i32 s17, s16, 31
	s_delay_alu instid0(SALU_CYCLE_1) | instskip(NEXT) | instid1(SALU_CYCLE_1)
	s_lshl_b64 s[16:17], s[16:17], 1
	s_add_u32 s3, s4, s16
	s_addc_u32 s4, s5, s17
	s_and_saveexec_b32 s5, s2
	s_cbranch_execz .LBB115_5
; %bb.1:
	s_load_b32 s16, s[0:1], 0x44
	s_cmp_lg_u64 s[6:7], 0
	v_lshl_add_u32 v4, v0, 2, 0
	v_mov_b32_e32 v1, v0
	s_cselect_b32 s14, -1, 0
	s_mov_b32 s17, 0
	s_mov_b32 s19, 0xbfb8aa3b
	s_waitcnt lgkmcnt(0)
	s_and_b32 s16, s16, 0xffff
	s_delay_alu instid0(SALU_CYCLE_1)
	s_lshl_b32 s18, s16, 2
	s_set_inst_prefetch_distance 0x1
	s_branch .LBB115_3
	.p2align	6
.LBB115_2:                              ;   in Loop: Header=BB115_3 Depth=1
	v_add_nc_u32_e32 v1, s16, v1
	ds_store_b32 v4, v5
	v_add_nc_u32_e32 v4, s18, v4
	v_cmp_le_i32_e32 vcc_lo, s12, v1
	s_or_b32 s17, vcc_lo, s17
	s_delay_alu instid0(SALU_CYCLE_1)
	s_and_not1_b32 exec_lo, exec_lo, s17
	s_cbranch_execz .LBB115_5
.LBB115_3:                              ; =>This Inner Loop Header: Depth=1
	v_ashrrev_i32_e32 v2, 31, v1
	s_delay_alu instid0(VALU_DEP_1) | instskip(NEXT) | instid1(VALU_DEP_1)
	v_lshlrev_b64 v[5:6], 1, v[1:2]
	v_add_co_u32 v5, vcc_lo, s3, v5
	s_delay_alu instid0(VALU_DEP_2) | instskip(SKIP_3) | instid1(VALU_DEP_1)
	v_add_co_ci_u32_e32 v6, vcc_lo, s4, v6, vcc_lo
	global_load_u16 v5, v[5:6], off
	s_waitcnt vmcnt(0)
	v_cvt_f32_f16_e32 v6, v5
	v_mul_f32_e32 v6, 0xbfb8aa3b, v6
	s_delay_alu instid0(VALU_DEP_1) | instskip(SKIP_1) | instid1(VALU_DEP_1)
	v_cmp_gt_f32_e32 vcc_lo, 0xc2fc0000, v6
	v_cndmask_b32_e64 v6, 0, 0x42800000, vcc_lo
	v_fma_mix_f32 v5, v5, s19, v6 op_sel_hi:[1,0,0]
	v_cndmask_b32_e64 v6, 1.0, 0x1f800000, vcc_lo
	s_and_not1_b32 vcc_lo, exec_lo, s14
	s_delay_alu instid0(VALU_DEP_2) | instskip(SKIP_2) | instid1(VALU_DEP_1)
	v_exp_f32_e32 v5, v5
	s_waitcnt_depctr 0xfff
	v_fma_f32 v5, v5, v6, 1.0
	v_rcp_f32_e32 v5, v5
	s_cbranch_vccnz .LBB115_2
; %bb.4:                                ;   in Loop: Header=BB115_3 Depth=1
	v_lshlrev_b64 v[6:7], 2, v[1:2]
	s_delay_alu instid0(VALU_DEP_1) | instskip(NEXT) | instid1(VALU_DEP_2)
	v_add_co_u32 v6, vcc_lo, s6, v6
	v_add_co_ci_u32_e32 v7, vcc_lo, s7, v7, vcc_lo
	global_load_b32 v2, v[6:7], off
	s_waitcnt vmcnt(0)
	v_add_f32_e32 v5, v5, v2
	s_branch .LBB115_2
.LBB115_5:
	s_set_inst_prefetch_distance 0x2
	s_or_b32 exec_lo, exec_lo, s5
	v_add_nc_u32_e32 v1, s12, v0
	s_mov_b32 s5, exec_lo
	s_delay_alu instid0(VALU_DEP_1)
	v_cmpx_gt_i32_e64 s12, v1
	s_cbranch_execz .LBB115_10
; %bb.6:
	s_load_b32 s16, s[0:1], 0x44
	s_cmp_lg_u64 s[6:7], 0
	v_lshl_add_u32 v4, v1, 2, 0
	s_cselect_b32 s14, -1, 0
	s_mov_b32 s17, 0
	s_mov_b32 s19, 0xbfb8aa3b
	s_waitcnt lgkmcnt(0)
	s_and_b32 s16, s16, 0xffff
	s_delay_alu instid0(SALU_CYCLE_1)
	s_lshl_b32 s18, s16, 2
	s_set_inst_prefetch_distance 0x1
	s_branch .LBB115_8
	.p2align	6
.LBB115_7:                              ;   in Loop: Header=BB115_8 Depth=1
	v_add_nc_u32_e32 v1, s16, v1
	v_add_nc_u32_e32 v4, s18, v4
	s_delay_alu instid0(VALU_DEP_2) | instskip(SKIP_1) | instid1(SALU_CYCLE_1)
	v_cmp_le_i32_e32 vcc_lo, s12, v1
	s_or_b32 s17, vcc_lo, s17
	s_and_not1_b32 exec_lo, exec_lo, s17
	s_cbranch_execz .LBB115_10
.LBB115_8:                              ; =>This Inner Loop Header: Depth=1
	v_ashrrev_i32_e32 v2, 31, v1
	s_delay_alu instid0(VALU_DEP_1) | instskip(NEXT) | instid1(VALU_DEP_1)
	v_lshlrev_b64 v[5:6], 1, v[1:2]
	v_add_co_u32 v5, vcc_lo, s3, v5
	s_delay_alu instid0(VALU_DEP_2) | instskip(SKIP_3) | instid1(VALU_DEP_1)
	v_add_co_ci_u32_e32 v6, vcc_lo, s4, v6, vcc_lo
	global_load_u16 v5, v[5:6], off
	s_waitcnt vmcnt(0)
	v_cvt_f32_f16_e32 v6, v5
	v_mul_f32_e32 v6, 0xbfb8aa3b, v6
	s_delay_alu instid0(VALU_DEP_1) | instskip(SKIP_1) | instid1(VALU_DEP_1)
	v_cmp_gt_f32_e32 vcc_lo, 0xc2fc0000, v6
	v_cndmask_b32_e64 v6, 0, 0x42800000, vcc_lo
	v_fma_mix_f32 v5, v5, s19, v6 op_sel_hi:[1,0,0]
	v_cndmask_b32_e64 v6, 1.0, 0x1f800000, vcc_lo
	s_and_not1_b32 vcc_lo, exec_lo, s14
	s_delay_alu instid0(VALU_DEP_2) | instskip(SKIP_2) | instid1(VALU_DEP_1)
	v_exp_f32_e32 v5, v5
	s_waitcnt_depctr 0xfff
	v_fma_f32 v5, v5, v6, 1.0
	v_rcp_f32_e32 v5, v5
	ds_store_b32 v4, v5
	s_cbranch_vccnz .LBB115_7
; %bb.9:                                ;   in Loop: Header=BB115_8 Depth=1
	v_lshlrev_b64 v[6:7], 2, v[1:2]
	s_delay_alu instid0(VALU_DEP_1) | instskip(NEXT) | instid1(VALU_DEP_2)
	v_add_co_u32 v6, vcc_lo, s6, v6
	v_add_co_ci_u32_e32 v7, vcc_lo, s7, v7, vcc_lo
	global_load_b32 v2, v[6:7], off
	s_waitcnt vmcnt(0)
	v_add_f32_e32 v2, v5, v2
	ds_store_b32 v4, v2
	s_branch .LBB115_7
.LBB115_10:
	s_set_inst_prefetch_distance 0x2
	s_or_b32 exec_lo, exec_lo, s5
	v_mov_b32_e32 v2, 0
	s_cmp_lt_i32 s13, 1
	s_waitcnt lgkmcnt(0)
	s_barrier
	buffer_gl0_inv
	s_cbranch_scc1 .LBB115_19
; %bb.11:
	s_add_u32 s4, s0, 56
	s_addc_u32 s5, s1, 0
	v_dual_mov_b32 v2, 0 :: v_dual_mov_b32 v5, 0xff800000
	v_dual_mov_b32 v1, 0 :: v_dual_mov_b32 v4, 0
	s_cmp_lg_u64 s[6:7], 0
	s_mov_b32 s14, 0
	s_cselect_b32 s3, -1, 0
	s_mov_b32 s18, 0x76543210
	s_branch .LBB115_13
.LBB115_12:                             ;   in Loop: Header=BB115_13 Depth=1
	v_cmp_eq_u32_e32 vcc_lo, s14, v0
	s_delay_alu instid0(VALU_DEP_2) | instskip(NEXT) | instid1(VALU_DEP_2)
	s_lshl_b32 s17, s16, 2
	v_add_f32_e32 v4, v4, v8
	s_add_i32 s17, s17, 0
	s_add_i32 s14, s14, 1
	v_cndmask_b32_e64 v1, v1, s16, vcc_lo
	v_mov_b32_e32 v6, s17
	v_cndmask_b32_e32 v2, v2, v8, vcc_lo
	s_cmp_eq_u32 s14, s13
	ds_store_b32 v6, v5
	s_cbranch_scc1 .LBB115_20
.LBB115_13:                             ; =>This Loop Header: Depth=1
                                        ;     Child Loop BB115_15 Depth 2
	v_dual_mov_b32 v6, s14 :: v_dual_mov_b32 v7, 0xff800000
	s_and_saveexec_b32 s16, s2
	s_cbranch_execz .LBB115_17
; %bb.14:                               ;   in Loop: Header=BB115_13 Depth=1
	s_load_b32 s17, s[4:5], 0xc
	v_dual_mov_b32 v6, s14 :: v_dual_mov_b32 v7, 0xff800000
	v_dual_mov_b32 v8, v3 :: v_dual_mov_b32 v9, v0
	s_mov_b32 s19, 0
	s_waitcnt lgkmcnt(0)
	s_and_b32 s17, s17, 0xffff
	s_delay_alu instid0(SALU_CYCLE_1)
	s_lshl_b32 s20, s17, 2
.LBB115_15:                             ;   Parent Loop BB115_13 Depth=1
                                        ; =>  This Inner Loop Header: Depth=2
	ds_load_b32 v10, v8
	v_add_nc_u32_e32 v8, s20, v8
	s_waitcnt lgkmcnt(0)
	v_cmp_gt_f32_e32 vcc_lo, v10, v7
	v_dual_cndmask_b32 v7, v7, v10 :: v_dual_cndmask_b32 v6, v6, v9
	v_add_nc_u32_e32 v9, s17, v9
	s_delay_alu instid0(VALU_DEP_1) | instskip(SKIP_1) | instid1(SALU_CYCLE_1)
	v_cmp_le_i32_e32 vcc_lo, s12, v9
	s_or_b32 s19, vcc_lo, s19
	s_and_not1_b32 exec_lo, exec_lo, s19
	s_cbranch_execnz .LBB115_15
; %bb.16:                               ;   in Loop: Header=BB115_13 Depth=1
	s_or_b32 exec_lo, exec_lo, s19
.LBB115_17:                             ;   in Loop: Header=BB115_13 Depth=1
	s_delay_alu instid0(SALU_CYCLE_1)
	s_or_b32 exec_lo, exec_lo, s16
	;;#ASMSTART
	v_max_f32 v8, v7, v7 quad_perm:[1,0,3,2] row_mask:0xf bank_mask:0xf bound_ctrl:1
	;;#ASMEND
	;;#ASMSTART
	v_max_f32 v9, v8, v8 quad_perm:[2,3,0,1] row_mask:0xf bank_mask:0xf bound_ctrl:1
	;;#ASMEND
	;;#ASMSTART
	v_max_f32 v8, v9, v9 row_half_mirror row_mask:0xf bank_mask:0xf bound_ctrl:1
	;;#ASMEND
	;;#ASMSTART
	v_max_f32 v9, v8, v8 row_mirror row_mask:0xf bank_mask:0xf bound_ctrl:1
	;;#ASMEND
	v_permlanex16_b32 v8, v9, s18, 0xfedcba98 op_sel:[1,1]
	s_delay_alu instid0(VALU_DEP_1) | instskip(NEXT) | instid1(VALU_DEP_1)
	v_dual_max_f32 v9, v9, v9 :: v_dual_max_f32 v8, v8, v8
	v_max_f32_e32 v8, v9, v8
	s_delay_alu instid0(VALU_DEP_1)
	v_cmp_eq_f32_e32 vcc_lo, v7, v8
	s_ctz_i32_b32 s16, vcc_lo
	s_cmp_lg_u32 vcc_lo, 0
	s_cselect_b32 s16, s16, 0
	s_and_b32 vcc_lo, exec_lo, s3
	v_readlane_b32 s16, v6, s16
	s_cbranch_vccz .LBB115_12
; %bb.18:                               ;   in Loop: Header=BB115_13 Depth=1
	s_delay_alu instid0(VALU_DEP_1) | instskip(NEXT) | instid1(SALU_CYCLE_1)
	s_ashr_i32 s17, s16, 31
	s_lshl_b64 s[20:21], s[16:17], 2
	s_delay_alu instid0(SALU_CYCLE_1)
	s_add_u32 s20, s6, s20
	s_addc_u32 s21, s7, s21
	s_load_b32 s17, s[20:21], 0x0
	s_waitcnt lgkmcnt(0)
	v_subrev_f32_e32 v8, s17, v8
	s_branch .LBB115_12
.LBB115_19:
	v_dual_mov_b32 v1, 0 :: v_dual_mov_b32 v4, 0
.LBB115_20:
	s_mov_b32 s2, exec_lo
	v_cmpx_gt_i32_e64 s13, v0
	s_cbranch_execz .LBB115_23
; %bb.21:
	s_clause 0x1
	s_load_b32 s2, s[0:1], 0x34
	s_load_b32 s3, s[0:1], 0x44
	v_max_f32_e32 v3, v4, v4
	s_load_b64 s[0:1], s[0:1], 0x20
	s_ashr_i32 s4, s15, 31
	s_delay_alu instid0(VALU_DEP_1) | instskip(SKIP_1) | instid1(VALU_DEP_1)
	v_max_f32_e32 v3, 0x1e3ce508, v3
	s_waitcnt lgkmcnt(0)
	v_div_scale_f32 v4, null, v3, v3, s2
	v_div_scale_f32 v7, vcc_lo, s2, v3, s2
	s_mul_i32 s1, s15, s1
	s_delay_alu instid0(VALU_DEP_2) | instskip(SKIP_4) | instid1(VALU_DEP_1)
	v_rcp_f32_e32 v5, v4
	s_mul_i32 s4, s4, s0
	s_and_b32 s3, s3, 0xffff
	s_waitcnt_depctr 0xfff
	v_fma_f32 v6, -v4, v5, 1.0
	v_fmac_f32_e32 v5, v6, v5
	s_delay_alu instid0(VALU_DEP_1) | instskip(NEXT) | instid1(VALU_DEP_1)
	v_mul_f32_e32 v6, v7, v5
	v_fma_f32 v8, -v4, v6, v7
	s_delay_alu instid0(VALU_DEP_1) | instskip(NEXT) | instid1(VALU_DEP_1)
	v_fmac_f32_e32 v6, v8, v5
	v_fma_f32 v4, -v4, v6, v7
	s_delay_alu instid0(VALU_DEP_1) | instskip(NEXT) | instid1(VALU_DEP_1)
	v_div_fmas_f32 v4, v4, v5, v6
	v_div_fixup_f32 v3, v4, v3, s2
	s_mul_hi_u32 s2, s15, s0
	s_delay_alu instid0(SALU_CYCLE_1) | instskip(SKIP_1) | instid1(VALU_DEP_1)
	s_add_i32 s1, s2, s1
	s_mul_i32 s2, s15, s0
	v_mul_f32_e32 v2, v2, v3
	s_add_i32 s1, s1, s4
	s_mov_b32 s4, 0
	.p2align	6
.LBB115_22:                             ; =>This Inner Loop Header: Depth=1
	v_ashrrev_i32_e32 v4, 31, v0
	v_add_co_u32 v3, vcc_lo, s2, v0
	v_add_nc_u32_e32 v0, s3, v0
	s_delay_alu instid0(VALU_DEP_3) | instskip(NEXT) | instid1(VALU_DEP_2)
	v_add_co_ci_u32_e32 v4, vcc_lo, s1, v4, vcc_lo
	v_cmp_le_i32_e32 vcc_lo, s13, v0
	s_delay_alu instid0(VALU_DEP_2) | instskip(SKIP_1) | instid1(VALU_DEP_1)
	v_lshlrev_b64 v[3:4], 2, v[3:4]
	s_or_b32 s4, vcc_lo, s4
	v_add_co_u32 v5, s0, s8, v3
	s_delay_alu instid0(VALU_DEP_1) | instskip(SKIP_1) | instid1(VALU_DEP_1)
	v_add_co_ci_u32_e64 v6, s0, s9, v4, s0
	v_add_co_u32 v3, s0, s10, v3
	v_add_co_ci_u32_e64 v4, s0, s11, v4, s0
	global_store_b32 v[5:6], v2, off
	global_store_b32 v[3:4], v1, off
	s_and_not1_b32 exec_lo, exec_lo, s4
	s_cbranch_execnz .LBB115_22
.LBB115_23:
	s_nop 0
	s_sendmsg sendmsg(MSG_DEALLOC_VGPRS)
	s_endpgm
	.section	.rodata,"a",@progbits
	.p2align	6, 0x0
	.amdhsa_kernel _ZN5aiter20topk_softplus_kernelI6__halffDv1_fLb1ELi1EEEvPKT_PKT0_PfPimiiif
		.amdhsa_group_segment_fixed_size 0
		.amdhsa_private_segment_fixed_size 0
		.amdhsa_kernarg_size 312
		.amdhsa_user_sgpr_count 15
		.amdhsa_user_sgpr_dispatch_ptr 0
		.amdhsa_user_sgpr_queue_ptr 0
		.amdhsa_user_sgpr_kernarg_segment_ptr 1
		.amdhsa_user_sgpr_dispatch_id 0
		.amdhsa_user_sgpr_private_segment_size 0
		.amdhsa_wavefront_size32 1
		.amdhsa_uses_dynamic_stack 0
		.amdhsa_enable_private_segment 0
		.amdhsa_system_sgpr_workgroup_id_x 1
		.amdhsa_system_sgpr_workgroup_id_y 0
		.amdhsa_system_sgpr_workgroup_id_z 0
		.amdhsa_system_sgpr_workgroup_info 0
		.amdhsa_system_vgpr_workitem_id 0
		.amdhsa_next_free_vgpr 11
		.amdhsa_next_free_sgpr 22
		.amdhsa_reserve_vcc 1
		.amdhsa_float_round_mode_32 0
		.amdhsa_float_round_mode_16_64 0
		.amdhsa_float_denorm_mode_32 3
		.amdhsa_float_denorm_mode_16_64 3
		.amdhsa_dx10_clamp 1
		.amdhsa_ieee_mode 1
		.amdhsa_fp16_overflow 0
		.amdhsa_workgroup_processor_mode 1
		.amdhsa_memory_ordered 1
		.amdhsa_forward_progress 0
		.amdhsa_shared_vgpr_count 0
		.amdhsa_exception_fp_ieee_invalid_op 0
		.amdhsa_exception_fp_denorm_src 0
		.amdhsa_exception_fp_ieee_div_zero 0
		.amdhsa_exception_fp_ieee_overflow 0
		.amdhsa_exception_fp_ieee_underflow 0
		.amdhsa_exception_fp_ieee_inexact 0
		.amdhsa_exception_int_div_zero 0
	.end_amdhsa_kernel
	.section	.text._ZN5aiter20topk_softplus_kernelI6__halffDv1_fLb1ELi1EEEvPKT_PKT0_PfPimiiif,"axG",@progbits,_ZN5aiter20topk_softplus_kernelI6__halffDv1_fLb1ELi1EEEvPKT_PKT0_PfPimiiif,comdat
.Lfunc_end115:
	.size	_ZN5aiter20topk_softplus_kernelI6__halffDv1_fLb1ELi1EEEvPKT_PKT0_PfPimiiif, .Lfunc_end115-_ZN5aiter20topk_softplus_kernelI6__halffDv1_fLb1ELi1EEEvPKT_PKT0_PfPimiiif
                                        ; -- End function
	.section	.AMDGPU.csdata,"",@progbits
; Kernel info:
; codeLenInByte = 1464
; NumSgprs: 24
; NumVgprs: 11
; ScratchSize: 0
; MemoryBound: 0
; FloatMode: 240
; IeeeMode: 1
; LDSByteSize: 0 bytes/workgroup (compile time only)
; SGPRBlocks: 2
; VGPRBlocks: 1
; NumSGPRsForWavesPerEU: 24
; NumVGPRsForWavesPerEU: 11
; Occupancy: 16
; WaveLimiterHint : 0
; COMPUTE_PGM_RSRC2:SCRATCH_EN: 0
; COMPUTE_PGM_RSRC2:USER_SGPR: 15
; COMPUTE_PGM_RSRC2:TRAP_HANDLER: 0
; COMPUTE_PGM_RSRC2:TGID_X_EN: 1
; COMPUTE_PGM_RSRC2:TGID_Y_EN: 0
; COMPUTE_PGM_RSRC2:TGID_Z_EN: 0
; COMPUTE_PGM_RSRC2:TIDIG_COMP_CNT: 0
	.section	.text._ZN5aiter20topk_softplus_kernelI6__halffDv1_fLb0ELi1EEEvPKT_PKT0_PfPimiiif,"axG",@progbits,_ZN5aiter20topk_softplus_kernelI6__halffDv1_fLb0ELi1EEEvPKT_PKT0_PfPimiiif,comdat
	.protected	_ZN5aiter20topk_softplus_kernelI6__halffDv1_fLb0ELi1EEEvPKT_PKT0_PfPimiiif ; -- Begin function _ZN5aiter20topk_softplus_kernelI6__halffDv1_fLb0ELi1EEEvPKT_PKT0_PfPimiiif
	.globl	_ZN5aiter20topk_softplus_kernelI6__halffDv1_fLb0ELi1EEEvPKT_PKT0_PfPimiiif
	.p2align	8
	.type	_ZN5aiter20topk_softplus_kernelI6__halffDv1_fLb0ELi1EEEvPKT_PKT0_PfPimiiif,@function
_ZN5aiter20topk_softplus_kernelI6__halffDv1_fLb0ELi1EEEvPKT_PKT0_PfPimiiif: ; @_ZN5aiter20topk_softplus_kernelI6__halffDv1_fLb0ELi1EEEvPKT_PKT0_PfPimiiif
; %bb.0:
	s_clause 0x1
	s_load_b64 s[12:13], s[0:1], 0x28
	s_load_b256 s[4:11], s[0:1], 0x0
	v_lshl_add_u32 v3, v0, 2, 0
	s_waitcnt lgkmcnt(0)
	s_mul_i32 s16, s15, s12
	v_cmp_gt_i32_e64 s2, s12, v0
	s_ashr_i32 s17, s16, 31
	s_delay_alu instid0(SALU_CYCLE_1) | instskip(NEXT) | instid1(SALU_CYCLE_1)
	s_lshl_b64 s[16:17], s[16:17], 1
	s_add_u32 s3, s4, s16
	s_addc_u32 s4, s5, s17
	s_and_saveexec_b32 s5, s2
	s_cbranch_execz .LBB116_5
; %bb.1:
	s_load_b32 s16, s[0:1], 0x44
	s_cmp_lg_u64 s[6:7], 0
	v_lshl_add_u32 v4, v0, 2, 0
	v_mov_b32_e32 v1, v0
	s_cselect_b32 s14, -1, 0
	s_mov_b32 s17, 0
	s_mov_b32 s19, 0xbfb8aa3b
	s_waitcnt lgkmcnt(0)
	s_and_b32 s16, s16, 0xffff
	s_delay_alu instid0(SALU_CYCLE_1)
	s_lshl_b32 s18, s16, 2
	s_set_inst_prefetch_distance 0x1
	s_branch .LBB116_3
	.p2align	6
.LBB116_2:                              ;   in Loop: Header=BB116_3 Depth=1
	v_add_nc_u32_e32 v1, s16, v1
	ds_store_b32 v4, v5
	v_add_nc_u32_e32 v4, s18, v4
	v_cmp_le_i32_e32 vcc_lo, s12, v1
	s_or_b32 s17, vcc_lo, s17
	s_delay_alu instid0(SALU_CYCLE_1)
	s_and_not1_b32 exec_lo, exec_lo, s17
	s_cbranch_execz .LBB116_5
.LBB116_3:                              ; =>This Inner Loop Header: Depth=1
	v_ashrrev_i32_e32 v2, 31, v1
	s_delay_alu instid0(VALU_DEP_1) | instskip(NEXT) | instid1(VALU_DEP_1)
	v_lshlrev_b64 v[5:6], 1, v[1:2]
	v_add_co_u32 v5, vcc_lo, s3, v5
	s_delay_alu instid0(VALU_DEP_2) | instskip(SKIP_3) | instid1(VALU_DEP_1)
	v_add_co_ci_u32_e32 v6, vcc_lo, s4, v6, vcc_lo
	global_load_u16 v5, v[5:6], off
	s_waitcnt vmcnt(0)
	v_cvt_f32_f16_e32 v6, v5
	v_mul_f32_e32 v6, 0xbfb8aa3b, v6
	s_delay_alu instid0(VALU_DEP_1) | instskip(SKIP_1) | instid1(VALU_DEP_1)
	v_cmp_gt_f32_e32 vcc_lo, 0xc2fc0000, v6
	v_cndmask_b32_e64 v6, 0, 0x42800000, vcc_lo
	v_fma_mix_f32 v5, v5, s19, v6 op_sel_hi:[1,0,0]
	v_cndmask_b32_e64 v6, 1.0, 0x1f800000, vcc_lo
	s_and_not1_b32 vcc_lo, exec_lo, s14
	s_delay_alu instid0(VALU_DEP_2) | instskip(SKIP_2) | instid1(VALU_DEP_1)
	v_exp_f32_e32 v5, v5
	s_waitcnt_depctr 0xfff
	v_fma_f32 v5, v5, v6, 1.0
	v_rcp_f32_e32 v5, v5
	s_cbranch_vccnz .LBB116_2
; %bb.4:                                ;   in Loop: Header=BB116_3 Depth=1
	v_lshlrev_b64 v[6:7], 2, v[1:2]
	s_delay_alu instid0(VALU_DEP_1) | instskip(NEXT) | instid1(VALU_DEP_2)
	v_add_co_u32 v6, vcc_lo, s6, v6
	v_add_co_ci_u32_e32 v7, vcc_lo, s7, v7, vcc_lo
	global_load_b32 v2, v[6:7], off
	s_waitcnt vmcnt(0)
	v_add_f32_e32 v5, v5, v2
	s_branch .LBB116_2
.LBB116_5:
	s_set_inst_prefetch_distance 0x2
	s_or_b32 exec_lo, exec_lo, s5
	v_add_nc_u32_e32 v1, s12, v0
	s_mov_b32 s5, exec_lo
	s_delay_alu instid0(VALU_DEP_1)
	v_cmpx_gt_i32_e64 s12, v1
	s_cbranch_execz .LBB116_10
; %bb.6:
	s_load_b32 s16, s[0:1], 0x44
	s_cmp_lg_u64 s[6:7], 0
	v_lshl_add_u32 v4, v1, 2, 0
	s_cselect_b32 s14, -1, 0
	s_mov_b32 s17, 0
	s_mov_b32 s19, 0xbfb8aa3b
	s_waitcnt lgkmcnt(0)
	s_and_b32 s16, s16, 0xffff
	s_delay_alu instid0(SALU_CYCLE_1)
	s_lshl_b32 s18, s16, 2
	s_set_inst_prefetch_distance 0x1
	s_branch .LBB116_8
	.p2align	6
.LBB116_7:                              ;   in Loop: Header=BB116_8 Depth=1
	v_add_nc_u32_e32 v1, s16, v1
	v_add_nc_u32_e32 v4, s18, v4
	s_delay_alu instid0(VALU_DEP_2) | instskip(SKIP_1) | instid1(SALU_CYCLE_1)
	v_cmp_le_i32_e32 vcc_lo, s12, v1
	s_or_b32 s17, vcc_lo, s17
	s_and_not1_b32 exec_lo, exec_lo, s17
	s_cbranch_execz .LBB116_10
.LBB116_8:                              ; =>This Inner Loop Header: Depth=1
	v_ashrrev_i32_e32 v2, 31, v1
	s_delay_alu instid0(VALU_DEP_1) | instskip(NEXT) | instid1(VALU_DEP_1)
	v_lshlrev_b64 v[5:6], 1, v[1:2]
	v_add_co_u32 v5, vcc_lo, s3, v5
	s_delay_alu instid0(VALU_DEP_2) | instskip(SKIP_3) | instid1(VALU_DEP_1)
	v_add_co_ci_u32_e32 v6, vcc_lo, s4, v6, vcc_lo
	global_load_u16 v5, v[5:6], off
	s_waitcnt vmcnt(0)
	v_cvt_f32_f16_e32 v6, v5
	v_mul_f32_e32 v6, 0xbfb8aa3b, v6
	s_delay_alu instid0(VALU_DEP_1) | instskip(SKIP_1) | instid1(VALU_DEP_1)
	v_cmp_gt_f32_e32 vcc_lo, 0xc2fc0000, v6
	v_cndmask_b32_e64 v6, 0, 0x42800000, vcc_lo
	v_fma_mix_f32 v5, v5, s19, v6 op_sel_hi:[1,0,0]
	v_cndmask_b32_e64 v6, 1.0, 0x1f800000, vcc_lo
	s_and_not1_b32 vcc_lo, exec_lo, s14
	s_delay_alu instid0(VALU_DEP_2) | instskip(SKIP_2) | instid1(VALU_DEP_1)
	v_exp_f32_e32 v5, v5
	s_waitcnt_depctr 0xfff
	v_fma_f32 v5, v5, v6, 1.0
	v_rcp_f32_e32 v5, v5
	ds_store_b32 v4, v5
	s_cbranch_vccnz .LBB116_7
; %bb.9:                                ;   in Loop: Header=BB116_8 Depth=1
	v_lshlrev_b64 v[6:7], 2, v[1:2]
	s_delay_alu instid0(VALU_DEP_1) | instskip(NEXT) | instid1(VALU_DEP_2)
	v_add_co_u32 v6, vcc_lo, s6, v6
	v_add_co_ci_u32_e32 v7, vcc_lo, s7, v7, vcc_lo
	global_load_b32 v2, v[6:7], off
	s_waitcnt vmcnt(0)
	v_add_f32_e32 v2, v5, v2
	ds_store_b32 v4, v2
	s_branch .LBB116_7
.LBB116_10:
	s_set_inst_prefetch_distance 0x2
	s_or_b32 exec_lo, exec_lo, s5
	s_cmp_lt_i32 s13, 1
	s_waitcnt lgkmcnt(0)
	s_barrier
	buffer_gl0_inv
	s_cbranch_scc1 .LBB116_19
; %bb.11:
	s_add_u32 s4, s0, 56
	s_addc_u32 s5, s1, 0
	v_dual_mov_b32 v2, 0 :: v_dual_mov_b32 v1, 0
	v_mov_b32_e32 v4, 0xff800000
	s_cmp_lg_u64 s[6:7], 0
	s_mov_b32 s14, 0
	s_cselect_b32 s3, -1, 0
	s_mov_b32 s18, 0x76543210
	s_branch .LBB116_13
.LBB116_12:                             ;   in Loop: Header=BB116_13 Depth=1
	v_cmp_eq_u32_e32 vcc_lo, s14, v0
	s_delay_alu instid0(VALU_DEP_2)
	s_lshl_b32 s17, s16, 2
	s_add_i32 s14, s14, 1
	s_add_i32 s17, s17, 0
	s_cmp_eq_u32 s14, s13
	v_cndmask_b32_e64 v1, v1, s16, vcc_lo
	v_dual_mov_b32 v5, s17 :: v_dual_cndmask_b32 v2, v2, v7
	ds_store_b32 v5, v4
	s_cbranch_scc1 .LBB116_20
.LBB116_13:                             ; =>This Loop Header: Depth=1
                                        ;     Child Loop BB116_15 Depth 2
	v_dual_mov_b32 v5, s14 :: v_dual_mov_b32 v6, 0xff800000
	s_and_saveexec_b32 s16, s2
	s_cbranch_execz .LBB116_17
; %bb.14:                               ;   in Loop: Header=BB116_13 Depth=1
	s_load_b32 s17, s[4:5], 0xc
	v_dual_mov_b32 v5, s14 :: v_dual_mov_b32 v6, 0xff800000
	v_dual_mov_b32 v7, v3 :: v_dual_mov_b32 v8, v0
	s_mov_b32 s19, 0
	s_waitcnt lgkmcnt(0)
	s_and_b32 s17, s17, 0xffff
	s_delay_alu instid0(SALU_CYCLE_1)
	s_lshl_b32 s20, s17, 2
.LBB116_15:                             ;   Parent Loop BB116_13 Depth=1
                                        ; =>  This Inner Loop Header: Depth=2
	ds_load_b32 v9, v7
	v_add_nc_u32_e32 v7, s20, v7
	s_waitcnt lgkmcnt(0)
	v_cmp_gt_f32_e32 vcc_lo, v9, v6
	v_dual_cndmask_b32 v6, v6, v9 :: v_dual_cndmask_b32 v5, v5, v8
	v_add_nc_u32_e32 v8, s17, v8
	s_delay_alu instid0(VALU_DEP_1) | instskip(SKIP_1) | instid1(SALU_CYCLE_1)
	v_cmp_le_i32_e32 vcc_lo, s12, v8
	s_or_b32 s19, vcc_lo, s19
	s_and_not1_b32 exec_lo, exec_lo, s19
	s_cbranch_execnz .LBB116_15
; %bb.16:                               ;   in Loop: Header=BB116_13 Depth=1
	s_or_b32 exec_lo, exec_lo, s19
.LBB116_17:                             ;   in Loop: Header=BB116_13 Depth=1
	s_delay_alu instid0(SALU_CYCLE_1)
	s_or_b32 exec_lo, exec_lo, s16
	;;#ASMSTART
	v_max_f32 v7, v6, v6 quad_perm:[1,0,3,2] row_mask:0xf bank_mask:0xf bound_ctrl:1
	;;#ASMEND
	;;#ASMSTART
	v_max_f32 v8, v7, v7 quad_perm:[2,3,0,1] row_mask:0xf bank_mask:0xf bound_ctrl:1
	;;#ASMEND
	;;#ASMSTART
	v_max_f32 v7, v8, v8 row_half_mirror row_mask:0xf bank_mask:0xf bound_ctrl:1
	;;#ASMEND
	;;#ASMSTART
	v_max_f32 v8, v7, v7 row_mirror row_mask:0xf bank_mask:0xf bound_ctrl:1
	;;#ASMEND
	v_permlanex16_b32 v7, v8, s18, 0xfedcba98 op_sel:[1,1]
	s_delay_alu instid0(VALU_DEP_1) | instskip(NEXT) | instid1(VALU_DEP_1)
	v_dual_max_f32 v8, v8, v8 :: v_dual_max_f32 v7, v7, v7
	v_max_f32_e32 v7, v8, v7
	s_delay_alu instid0(VALU_DEP_1)
	v_cmp_eq_f32_e32 vcc_lo, v6, v7
	s_ctz_i32_b32 s16, vcc_lo
	s_cmp_lg_u32 vcc_lo, 0
	s_cselect_b32 s16, s16, 0
	s_and_b32 vcc_lo, exec_lo, s3
	v_readlane_b32 s16, v5, s16
	s_cbranch_vccz .LBB116_12
; %bb.18:                               ;   in Loop: Header=BB116_13 Depth=1
	s_delay_alu instid0(VALU_DEP_1) | instskip(NEXT) | instid1(SALU_CYCLE_1)
	s_ashr_i32 s17, s16, 31
	s_lshl_b64 s[20:21], s[16:17], 2
	s_delay_alu instid0(SALU_CYCLE_1)
	s_add_u32 s20, s6, s20
	s_addc_u32 s21, s7, s21
	s_load_b32 s17, s[20:21], 0x0
	s_waitcnt lgkmcnt(0)
	v_subrev_f32_e32 v7, s17, v7
	s_branch .LBB116_12
.LBB116_19:
	v_dual_mov_b32 v2, 0 :: v_dual_mov_b32 v1, 0
.LBB116_20:
	s_mov_b32 s2, exec_lo
	v_cmpx_gt_i32_e64 s13, v0
	s_cbranch_execz .LBB116_23
; %bb.21:
	s_clause 0x2
	s_load_b32 s4, s[0:1], 0x34
	s_load_b64 s[2:3], s[0:1], 0x20
	s_load_b32 s0, s[0:1], 0x44
	s_ashr_i32 s1, s15, 31
	s_waitcnt lgkmcnt(0)
	v_mul_f32_e32 v2, s4, v2
	s_mul_i32 s3, s15, s3
	s_mul_hi_u32 s4, s15, s2
	s_mul_i32 s5, s1, s2
	s_add_i32 s3, s4, s3
	s_mul_i32 s1, s15, s2
	s_and_b32 s2, s0, 0xffff
	s_add_i32 s3, s3, s5
	s_mov_b32 s4, 0
	.p2align	6
.LBB116_22:                             ; =>This Inner Loop Header: Depth=1
	v_ashrrev_i32_e32 v4, 31, v0
	v_add_co_u32 v3, vcc_lo, s1, v0
	v_add_nc_u32_e32 v0, s2, v0
	s_delay_alu instid0(VALU_DEP_3) | instskip(NEXT) | instid1(VALU_DEP_2)
	v_add_co_ci_u32_e32 v4, vcc_lo, s3, v4, vcc_lo
	v_cmp_le_i32_e32 vcc_lo, s13, v0
	s_delay_alu instid0(VALU_DEP_2) | instskip(SKIP_1) | instid1(VALU_DEP_1)
	v_lshlrev_b64 v[3:4], 2, v[3:4]
	s_or_b32 s4, vcc_lo, s4
	v_add_co_u32 v5, s0, s8, v3
	s_delay_alu instid0(VALU_DEP_1) | instskip(SKIP_1) | instid1(VALU_DEP_1)
	v_add_co_ci_u32_e64 v6, s0, s9, v4, s0
	v_add_co_u32 v3, s0, s10, v3
	v_add_co_ci_u32_e64 v4, s0, s11, v4, s0
	global_store_b32 v[5:6], v2, off
	global_store_b32 v[3:4], v1, off
	s_and_not1_b32 exec_lo, exec_lo, s4
	s_cbranch_execnz .LBB116_22
.LBB116_23:
	s_nop 0
	s_sendmsg sendmsg(MSG_DEALLOC_VGPRS)
	s_endpgm
	.section	.rodata,"a",@progbits
	.p2align	6, 0x0
	.amdhsa_kernel _ZN5aiter20topk_softplus_kernelI6__halffDv1_fLb0ELi1EEEvPKT_PKT0_PfPimiiif
		.amdhsa_group_segment_fixed_size 0
		.amdhsa_private_segment_fixed_size 0
		.amdhsa_kernarg_size 312
		.amdhsa_user_sgpr_count 15
		.amdhsa_user_sgpr_dispatch_ptr 0
		.amdhsa_user_sgpr_queue_ptr 0
		.amdhsa_user_sgpr_kernarg_segment_ptr 1
		.amdhsa_user_sgpr_dispatch_id 0
		.amdhsa_user_sgpr_private_segment_size 0
		.amdhsa_wavefront_size32 1
		.amdhsa_uses_dynamic_stack 0
		.amdhsa_enable_private_segment 0
		.amdhsa_system_sgpr_workgroup_id_x 1
		.amdhsa_system_sgpr_workgroup_id_y 0
		.amdhsa_system_sgpr_workgroup_id_z 0
		.amdhsa_system_sgpr_workgroup_info 0
		.amdhsa_system_vgpr_workitem_id 0
		.amdhsa_next_free_vgpr 10
		.amdhsa_next_free_sgpr 22
		.amdhsa_reserve_vcc 1
		.amdhsa_float_round_mode_32 0
		.amdhsa_float_round_mode_16_64 0
		.amdhsa_float_denorm_mode_32 3
		.amdhsa_float_denorm_mode_16_64 3
		.amdhsa_dx10_clamp 1
		.amdhsa_ieee_mode 1
		.amdhsa_fp16_overflow 0
		.amdhsa_workgroup_processor_mode 1
		.amdhsa_memory_ordered 1
		.amdhsa_forward_progress 0
		.amdhsa_shared_vgpr_count 0
		.amdhsa_exception_fp_ieee_invalid_op 0
		.amdhsa_exception_fp_denorm_src 0
		.amdhsa_exception_fp_ieee_div_zero 0
		.amdhsa_exception_fp_ieee_overflow 0
		.amdhsa_exception_fp_ieee_underflow 0
		.amdhsa_exception_fp_ieee_inexact 0
		.amdhsa_exception_int_div_zero 0
	.end_amdhsa_kernel
	.section	.text._ZN5aiter20topk_softplus_kernelI6__halffDv1_fLb0ELi1EEEvPKT_PKT0_PfPimiiif,"axG",@progbits,_ZN5aiter20topk_softplus_kernelI6__halffDv1_fLb0ELi1EEEvPKT_PKT0_PfPimiiif,comdat
.Lfunc_end116:
	.size	_ZN5aiter20topk_softplus_kernelI6__halffDv1_fLb0ELi1EEEvPKT_PKT0_PfPimiiif, .Lfunc_end116-_ZN5aiter20topk_softplus_kernelI6__halffDv1_fLb0ELi1EEEvPKT_PKT0_PfPimiiif
                                        ; -- End function
	.section	.AMDGPU.csdata,"",@progbits
; Kernel info:
; codeLenInByte = 1340
; NumSgprs: 24
; NumVgprs: 10
; ScratchSize: 0
; MemoryBound: 0
; FloatMode: 240
; IeeeMode: 1
; LDSByteSize: 0 bytes/workgroup (compile time only)
; SGPRBlocks: 2
; VGPRBlocks: 1
; NumSGPRsForWavesPerEU: 24
; NumVGPRsForWavesPerEU: 10
; Occupancy: 16
; WaveLimiterHint : 0
; COMPUTE_PGM_RSRC2:SCRATCH_EN: 0
; COMPUTE_PGM_RSRC2:USER_SGPR: 15
; COMPUTE_PGM_RSRC2:TRAP_HANDLER: 0
; COMPUTE_PGM_RSRC2:TGID_X_EN: 1
; COMPUTE_PGM_RSRC2:TGID_Y_EN: 0
; COMPUTE_PGM_RSRC2:TGID_Z_EN: 0
; COMPUTE_PGM_RSRC2:TIDIG_COMP_CNT: 0
	.section	.text._ZN5aiter20topk_softplus_kernelI6__halffDv4_fLb1ELi2EEEvPKT_PKT0_PfPimiiif,"axG",@progbits,_ZN5aiter20topk_softplus_kernelI6__halffDv4_fLb1ELi2EEEvPKT_PKT0_PfPimiiif,comdat
	.protected	_ZN5aiter20topk_softplus_kernelI6__halffDv4_fLb1ELi2EEEvPKT_PKT0_PfPimiiif ; -- Begin function _ZN5aiter20topk_softplus_kernelI6__halffDv4_fLb1ELi2EEEvPKT_PKT0_PfPimiiif
	.globl	_ZN5aiter20topk_softplus_kernelI6__halffDv4_fLb1ELi2EEEvPKT_PKT0_PfPimiiif
	.p2align	8
	.type	_ZN5aiter20topk_softplus_kernelI6__halffDv4_fLb1ELi2EEEvPKT_PKT0_PfPimiiif,@function
_ZN5aiter20topk_softplus_kernelI6__halffDv4_fLb1ELi2EEEvPKT_PKT0_PfPimiiif: ; @_ZN5aiter20topk_softplus_kernelI6__halffDv4_fLb1ELi2EEEvPKT_PKT0_PfPimiiif
; %bb.0:
	s_clause 0x1
	s_load_b64 s[12:13], s[0:1], 0x28
	s_load_b256 s[4:11], s[0:1], 0x0
	v_lshl_add_u32 v3, v0, 4, 0
	s_waitcnt lgkmcnt(0)
	s_ashr_i32 s2, s12, 31
	s_mul_i32 s16, s15, s12
	s_lshr_b32 s2, s2, 30
	s_ashr_i32 s17, s16, 31
	s_add_i32 s2, s12, s2
	s_delay_alu instid0(SALU_CYCLE_1) | instskip(NEXT) | instid1(SALU_CYCLE_1)
	s_ashr_i32 s14, s2, 2
	v_cmp_gt_i32_e64 s2, s14, v0
	s_delay_alu instid0(VALU_DEP_1)
	s_and_saveexec_b32 s18, s2
	s_cbranch_execz .LBB117_3
; %bb.1:
	s_load_b32 s3, s[0:1], 0x44
	v_lshlrev_b32_e32 v1, 3, v0
	s_lshl_b64 s[20:21], s[16:17], 1
	v_lshl_add_u32 v4, v0, 4, 0
	v_mov_b32_e32 v5, v0
	s_waitcnt lgkmcnt(0)
	s_and_b32 s19, s3, 0xffff
	s_add_u32 s3, s4, s20
	s_addc_u32 s20, s5, s21
	v_add_co_u32 v1, s3, s3, v1
	s_delay_alu instid0(VALU_DEP_1)
	v_add_co_ci_u32_e64 v2, null, s20, 0, s3
	s_mov_b32 s20, 0
	s_lshl_b32 s21, s19, 3
	s_lshl_b32 s22, s19, 4
	.p2align	6
.LBB117_2:                              ; =>This Inner Loop Header: Depth=1
	global_load_b64 v[6:7], v[1:2], off
	v_add_nc_u32_e32 v5, s19, v5
	v_add_co_u32 v1, vcc_lo, v1, s21
	v_add_co_ci_u32_e32 v2, vcc_lo, 0, v2, vcc_lo
	s_delay_alu instid0(VALU_DEP_3) | instskip(NEXT) | instid1(VALU_DEP_1)
	v_cmp_le_i32_e64 s3, s14, v5
	s_or_b32 s20, s3, s20
	s_waitcnt vmcnt(0)
	v_lshrrev_b32_e32 v9, 16, v6
	v_lshrrev_b32_e32 v10, 16, v7
	v_cvt_f32_f16_e32 v6, v6
	v_cvt_f32_f16_e32 v8, v7
	s_delay_alu instid0(VALU_DEP_4) | instskip(NEXT) | instid1(VALU_DEP_4)
	v_cvt_f32_f16_e32 v7, v9
	v_cvt_f32_f16_e32 v9, v10
	ds_store_b128 v4, v[6:9]
	v_add_nc_u32_e32 v4, s22, v4
	s_and_not1_b32 exec_lo, exec_lo, s20
	s_cbranch_execnz .LBB117_2
.LBB117_3:
	s_or_b32 exec_lo, exec_lo, s18
	v_lshl_add_u32 v1, s14, 2, v0
	v_lshlrev_b32_e32 v4, 2, v0
	s_mov_b32 s3, exec_lo
	s_delay_alu instid0(VALU_DEP_2)
	v_cmpx_gt_i32_e64 s12, v1
	s_cbranch_execz .LBB117_6
; %bb.4:
	s_load_b32 s18, s[0:1], 0x44
	s_lshl_b64 s[16:17], s[16:17], 1
	v_lshlrev_b32_e32 v2, 2, v0
	s_add_u32 s4, s4, s16
	s_addc_u32 s5, s5, s17
	s_lshl_b32 s16, s14, 4
	s_mov_b32 s17, 0
	v_add3_u32 v5, 0, s16, v2
	s_waitcnt lgkmcnt(0)
	s_and_b32 s16, s18, 0xffff
	s_delay_alu instid0(SALU_CYCLE_1)
	s_lshl_b32 s18, s16, 2
	.p2align	6
.LBB117_5:                              ; =>This Inner Loop Header: Depth=1
	v_ashrrev_i32_e32 v2, 31, v1
	s_delay_alu instid0(VALU_DEP_1) | instskip(SKIP_1) | instid1(VALU_DEP_2)
	v_lshlrev_b64 v[6:7], 1, v[1:2]
	v_add_nc_u32_e32 v1, s16, v1
	v_add_co_u32 v6, vcc_lo, s4, v6
	s_delay_alu instid0(VALU_DEP_3) | instskip(NEXT) | instid1(VALU_DEP_3)
	v_add_co_ci_u32_e32 v7, vcc_lo, s5, v7, vcc_lo
	v_cmp_le_i32_e32 vcc_lo, s12, v1
	global_load_u16 v2, v[6:7], off
	s_or_b32 s17, vcc_lo, s17
	s_waitcnt vmcnt(0)
	v_cvt_f32_f16_e32 v2, v2
	ds_store_b32 v5, v2
	v_add_nc_u32_e32 v5, s18, v5
	s_and_not1_b32 exec_lo, exec_lo, s17
	s_cbranch_execnz .LBB117_5
.LBB117_6:
	s_or_b32 exec_lo, exec_lo, s3
	v_cmp_gt_i32_e32 vcc_lo, s12, v0
	v_mov_b32_e32 v2, 0xff800000
	s_waitcnt lgkmcnt(0)
	s_barrier
	buffer_gl0_inv
	s_and_saveexec_b32 s4, vcc_lo
	s_cbranch_execz .LBB117_10
; %bb.7:
	s_load_b32 s3, s[0:1], 0x44
	v_lshl_add_u32 v1, v0, 2, 0
	v_dual_mov_b32 v2, 0xff800000 :: v_dual_mov_b32 v5, v0
	s_mov_b32 s5, 0
	s_waitcnt lgkmcnt(0)
	s_and_b32 s16, s3, 0xffff
	s_delay_alu instid0(SALU_CYCLE_1)
	s_lshl_b32 s17, s16, 2
.LBB117_8:                              ; =>This Inner Loop Header: Depth=1
	ds_load_b32 v6, v1
	v_dual_max_f32 v2, v2, v2 :: v_dual_add_nc_u32 v5, s16, v5
	v_add_nc_u32_e32 v1, s17, v1
	s_delay_alu instid0(VALU_DEP_2) | instskip(NEXT) | instid1(VALU_DEP_1)
	v_cmp_le_i32_e64 s3, s12, v5
	s_or_b32 s5, s3, s5
	s_waitcnt lgkmcnt(0)
	v_max_f32_e32 v6, v6, v6
	s_delay_alu instid0(VALU_DEP_1)
	v_max_f32_e32 v2, v2, v6
	s_and_not1_b32 exec_lo, exec_lo, s5
	s_cbranch_execnz .LBB117_8
; %bb.9:
	s_or_b32 exec_lo, exec_lo, s5
.LBB117_10:
	s_delay_alu instid0(SALU_CYCLE_1)
	s_or_b32 exec_lo, exec_lo, s4
	v_mov_b32_e32 v1, 0
	;;#ASMSTART
	v_max_f32 v5, v2, v2 quad_perm:[1,0,3,2] row_mask:0xf bank_mask:0xf bound_ctrl:1
	;;#ASMEND
	;;#ASMSTART
	v_max_f32 v2, v5, v5 quad_perm:[2,3,0,1] row_mask:0xf bank_mask:0xf bound_ctrl:1
	;;#ASMEND
	;;#ASMSTART
	v_max_f32 v5, v2, v2 row_half_mirror row_mask:0xf bank_mask:0xf bound_ctrl:1
	;;#ASMEND
	;;#ASMSTART
	v_max_f32 v2, v5, v5 row_mirror row_mask:0xf bank_mask:0xf bound_ctrl:1
	;;#ASMEND
	s_and_saveexec_b32 s4, vcc_lo
	s_cbranch_execz .LBB117_14
; %bb.11:
	s_load_b32 s3, s[0:1], 0x44
	s_mov_b32 s5, 0x76543210
	v_lshl_add_u32 v5, v0, 2, 0
	v_permlanex16_b32 v1, v2, s5, 0xfedcba98 op_sel:[1,1]
	v_mov_b32_e32 v6, v0
	s_mov_b32 s5, 0
	s_delay_alu instid0(VALU_DEP_2) | instskip(NEXT) | instid1(VALU_DEP_1)
	v_dual_max_f32 v2, v2, v2 :: v_dual_max_f32 v1, v1, v1
	v_dual_max_f32 v2, v2, v1 :: v_dual_mov_b32 v1, 0
	s_waitcnt lgkmcnt(0)
	s_and_b32 s16, s3, 0xffff
	s_delay_alu instid0(SALU_CYCLE_1)
	s_lshl_b32 s17, s16, 2
	.p2align	6
.LBB117_12:                             ; =>This Inner Loop Header: Depth=1
	ds_load_b32 v7, v5
	s_waitcnt lgkmcnt(0)
	v_sub_f32_e32 v7, v7, v2
	s_delay_alu instid0(VALU_DEP_1) | instskip(NEXT) | instid1(VALU_DEP_1)
	v_mul_f32_e32 v8, 0x3fb8aa3b, v7
	v_cmp_gt_f32_e64 s3, 0xc2fc0000, v8
	s_delay_alu instid0(VALU_DEP_1) | instskip(NEXT) | instid1(VALU_DEP_1)
	v_cndmask_b32_e64 v8, 0, 0x42800000, s3
	v_fmac_f32_e32 v8, 0x3fb8aa3b, v7
	s_delay_alu instid0(VALU_DEP_1) | instskip(SKIP_3) | instid1(VALU_DEP_1)
	v_exp_f32_e32 v7, v8
	v_cndmask_b32_e64 v8, 1.0, 0x1f800000, s3
	s_waitcnt_depctr 0xfff
	v_dual_mul_f32 v9, v7, v8 :: v_dual_add_nc_u32 v6, s16, v6
	v_cmp_le_i32_e64 s3, s12, v6
	v_fmac_f32_e32 v1, v7, v8
	ds_store_b32 v5, v9
	v_add_nc_u32_e32 v5, s17, v5
	s_or_b32 s5, s3, s5
	s_delay_alu instid0(SALU_CYCLE_1)
	s_and_not1_b32 exec_lo, exec_lo, s5
	s_cbranch_execnz .LBB117_12
; %bb.13:
	s_or_b32 exec_lo, exec_lo, s5
.LBB117_14:
	s_delay_alu instid0(SALU_CYCLE_1) | instskip(SKIP_1) | instid1(VALU_DEP_1)
	s_or_b32 exec_lo, exec_lo, s4
	v_mov_b32_dpp v2, v1 quad_perm:[1,0,3,2] row_mask:0xf bank_mask:0xf
	v_add_f32_e32 v1, v1, v2
	s_delay_alu instid0(VALU_DEP_1) | instskip(NEXT) | instid1(VALU_DEP_1)
	v_mov_b32_dpp v2, v1 quad_perm:[2,3,0,1] row_mask:0xf bank_mask:0xf
	v_add_f32_e32 v1, v1, v2
	s_delay_alu instid0(VALU_DEP_1) | instskip(NEXT) | instid1(VALU_DEP_1)
	v_mov_b32_dpp v2, v1 row_xmask:7 row_mask:0xf bank_mask:0xf
	v_add_f32_e32 v1, v1, v2
	s_delay_alu instid0(VALU_DEP_1)
	v_mov_b32_dpp v2, v1 row_xmask:15 row_mask:0xf bank_mask:0xf
	s_and_saveexec_b32 s3, vcc_lo
	s_cbranch_execz .LBB117_19
; %bb.15:
	s_delay_alu instid0(VALU_DEP_1)
	v_add_f32_e32 v1, v1, v2
	s_load_b32 s5, s[0:1], 0x44
	s_mov_b32 s4, 0x76543210
	s_cmp_lg_u64 s[6:7], 0
	v_lshl_add_u32 v6, v0, 2, 0
	v_permlanex16_b32 v2, v1, s4, 0xfedcba98 op_sel:[1,1]
	s_cselect_b32 s4, -1, 0
	s_mov_b32 s16, 0
	s_delay_alu instid0(VALU_DEP_1) | instskip(NEXT) | instid1(VALU_DEP_1)
	v_add_f32_e32 v1, v1, v2
	v_rcp_f32_e32 v5, v1
	v_mov_b32_e32 v1, v0
	s_waitcnt lgkmcnt(0)
	s_and_b32 s5, s5, 0xffff
	s_delay_alu instid0(SALU_CYCLE_1)
	s_lshl_b32 s17, s5, 2
	s_set_inst_prefetch_distance 0x1
	s_branch .LBB117_17
	.p2align	6
.LBB117_16:                             ;   in Loop: Header=BB117_17 Depth=1
	v_add_nc_u32_e32 v1, s5, v1
	v_add_nc_u32_e32 v6, s17, v6
	s_delay_alu instid0(VALU_DEP_2) | instskip(SKIP_1) | instid1(SALU_CYCLE_1)
	v_cmp_le_i32_e32 vcc_lo, s12, v1
	s_or_b32 s16, vcc_lo, s16
	s_and_not1_b32 exec_lo, exec_lo, s16
	s_cbranch_execz .LBB117_19
.LBB117_17:                             ; =>This Inner Loop Header: Depth=1
	ds_load_b32 v2, v6
	s_and_not1_b32 vcc_lo, exec_lo, s4
	s_waitcnt lgkmcnt(0)
	v_mul_f32_e32 v7, v5, v2
	ds_store_b32 v6, v7
	s_cbranch_vccnz .LBB117_16
; %bb.18:                               ;   in Loop: Header=BB117_17 Depth=1
	v_ashrrev_i32_e32 v2, 31, v1
	s_delay_alu instid0(VALU_DEP_1) | instskip(NEXT) | instid1(VALU_DEP_1)
	v_lshlrev_b64 v[8:9], 2, v[1:2]
	v_add_co_u32 v8, vcc_lo, s6, v8
	s_delay_alu instid0(VALU_DEP_2)
	v_add_co_ci_u32_e32 v9, vcc_lo, s7, v9, vcc_lo
	global_load_b32 v2, v[8:9], off
	s_waitcnt vmcnt(0)
	v_add_f32_e32 v2, v7, v2
	ds_store_b32 v6, v2
	s_branch .LBB117_16
.LBB117_19:
	s_set_inst_prefetch_distance 0x2
	s_or_b32 exec_lo, exec_lo, s3
	v_mov_b32_e32 v2, 0
	s_cmp_lt_i32 s13, 1
	s_waitcnt lgkmcnt(0)
	s_barrier
	buffer_gl0_inv
	s_cbranch_scc1 .LBB117_28
; %bb.20:
	s_add_u32 s4, s0, 56
	s_addc_u32 s5, s1, 0
	v_dual_mov_b32 v2, 0 :: v_dual_mov_b32 v1, 0
	v_dual_mov_b32 v6, 0xff800000 :: v_dual_mov_b32 v5, 0
	s_cmp_lg_u64 s[6:7], 0
	s_mov_b32 s18, 0
	s_cselect_b32 s12, -1, 0
	s_mov_b32 s19, 0x76543210
	s_branch .LBB117_22
.LBB117_21:                             ;   in Loop: Header=BB117_22 Depth=1
	v_cmp_eq_u32_e32 vcc_lo, s18, v0
	s_delay_alu instid0(VALU_DEP_2) | instskip(NEXT) | instid1(VALU_DEP_2)
	s_lshl_b32 s3, s16, 2
	v_add_f32_e32 v5, v5, v9
	s_add_i32 s3, s3, 0
	s_add_i32 s18, s18, 1
	v_cndmask_b32_e64 v1, v1, s16, vcc_lo
	v_dual_mov_b32 v7, s3 :: v_dual_cndmask_b32 v2, v2, v9
	s_cmp_eq_u32 s18, s13
	ds_store_b32 v7, v6
	s_cbranch_scc1 .LBB117_29
.LBB117_22:                             ; =>This Loop Header: Depth=1
                                        ;     Child Loop BB117_24 Depth 2
	v_dual_mov_b32 v7, s18 :: v_dual_mov_b32 v8, 0xff800000
	s_and_saveexec_b32 s16, s2
	s_cbranch_execz .LBB117_26
; %bb.23:                               ;   in Loop: Header=BB117_22 Depth=1
	s_load_b32 s3, s[4:5], 0xc
	v_dual_mov_b32 v7, s18 :: v_dual_mov_b32 v8, 0xff800000
	v_dual_mov_b32 v9, v3 :: v_dual_mov_b32 v10, v4
	v_mov_b32_e32 v11, v0
	s_mov_b32 s21, 0
	s_waitcnt lgkmcnt(0)
	s_and_b32 s17, s3, 0xffff
	s_delay_alu instid0(SALU_CYCLE_1)
	s_lshl_b32 s20, s17, 2
	s_lshl_b32 s22, s17, 4
	.p2align	6
.LBB117_24:                             ;   Parent Loop BB117_22 Depth=1
                                        ; =>  This Inner Loop Header: Depth=2
	ds_load_b128 v[12:15], v9
	v_add_nc_u32_e32 v11, s17, v11
	s_delay_alu instid0(VALU_DEP_1) | instskip(NEXT) | instid1(VALU_DEP_1)
	v_cmp_le_i32_e64 s3, s14, v11
	s_or_b32 s21, s3, s21
	s_waitcnt lgkmcnt(0)
	v_cmp_gt_f32_e32 vcc_lo, v12, v8
	v_dual_cndmask_b32 v8, v8, v12 :: v_dual_cndmask_b32 v7, v7, v10
	s_delay_alu instid0(VALU_DEP_1) | instskip(SKIP_2) | instid1(VALU_DEP_1)
	v_cmp_gt_f32_e32 vcc_lo, v13, v8
	v_dual_cndmask_b32 v8, v8, v13 :: v_dual_add_nc_u32 v13, 2, v10
	v_add_nc_u32_e32 v12, 1, v10
	v_cndmask_b32_e32 v7, v7, v12, vcc_lo
	s_delay_alu instid0(VALU_DEP_3) | instskip(SKIP_1) | instid1(VALU_DEP_3)
	v_cmp_gt_f32_e32 vcc_lo, v14, v8
	v_add_nc_u32_e32 v12, 3, v10
	v_dual_cndmask_b32 v8, v8, v14 :: v_dual_cndmask_b32 v7, v7, v13
	s_delay_alu instid0(VALU_DEP_1) | instskip(SKIP_1) | instid1(VALU_DEP_3)
	v_cmp_gt_f32_e32 vcc_lo, v15, v8
	v_add_nc_u32_e32 v9, s22, v9
	v_dual_cndmask_b32 v7, v7, v12 :: v_dual_add_nc_u32 v10, s20, v10
	v_cndmask_b32_e32 v8, v8, v15, vcc_lo
	s_and_not1_b32 exec_lo, exec_lo, s21
	s_cbranch_execnz .LBB117_24
; %bb.25:                               ;   in Loop: Header=BB117_22 Depth=1
	s_or_b32 exec_lo, exec_lo, s21
.LBB117_26:                             ;   in Loop: Header=BB117_22 Depth=1
	s_delay_alu instid0(SALU_CYCLE_1)
	s_or_b32 exec_lo, exec_lo, s16
	;;#ASMSTART
	v_max_f32 v9, v8, v8 quad_perm:[1,0,3,2] row_mask:0xf bank_mask:0xf bound_ctrl:1
	;;#ASMEND
	;;#ASMSTART
	v_max_f32 v10, v9, v9 quad_perm:[2,3,0,1] row_mask:0xf bank_mask:0xf bound_ctrl:1
	;;#ASMEND
	;;#ASMSTART
	v_max_f32 v9, v10, v10 row_half_mirror row_mask:0xf bank_mask:0xf bound_ctrl:1
	;;#ASMEND
	;;#ASMSTART
	v_max_f32 v10, v9, v9 row_mirror row_mask:0xf bank_mask:0xf bound_ctrl:1
	;;#ASMEND
	v_permlanex16_b32 v9, v10, s19, 0xfedcba98 op_sel:[1,1]
	s_delay_alu instid0(VALU_DEP_1) | instskip(NEXT) | instid1(VALU_DEP_1)
	v_dual_max_f32 v10, v10, v10 :: v_dual_max_f32 v9, v9, v9
	v_max_f32_e32 v9, v10, v9
	s_delay_alu instid0(VALU_DEP_1)
	v_cmp_eq_f32_e32 vcc_lo, v8, v9
	s_ctz_i32_b32 s3, vcc_lo
	s_cmp_lg_u32 vcc_lo, 0
	s_cselect_b32 s3, s3, 0
	s_and_b32 vcc_lo, exec_lo, s12
	v_readlane_b32 s16, v7, s3
	s_cbranch_vccz .LBB117_21
; %bb.27:                               ;   in Loop: Header=BB117_22 Depth=1
	s_delay_alu instid0(VALU_DEP_1) | instskip(NEXT) | instid1(SALU_CYCLE_1)
	s_ashr_i32 s17, s16, 31
	s_lshl_b64 s[20:21], s[16:17], 2
	s_delay_alu instid0(SALU_CYCLE_1)
	s_add_u32 s20, s6, s20
	s_addc_u32 s21, s7, s21
	s_load_b32 s3, s[20:21], 0x0
	s_waitcnt lgkmcnt(0)
	v_subrev_f32_e32 v9, s3, v9
	s_branch .LBB117_21
.LBB117_28:
	v_mov_b32_e32 v1, 0
	v_mov_b32_e32 v5, 0
.LBB117_29:
	s_mov_b32 s2, exec_lo
	v_cmpx_gt_i32_e64 s13, v0
	s_cbranch_execz .LBB117_32
; %bb.30:
	s_clause 0x1
	s_load_b32 s2, s[0:1], 0x34
	s_load_b32 s3, s[0:1], 0x44
	v_max_f32_e32 v3, v5, v5
	s_load_b64 s[0:1], s[0:1], 0x20
	s_ashr_i32 s4, s15, 31
	s_delay_alu instid0(VALU_DEP_1) | instskip(SKIP_1) | instid1(VALU_DEP_1)
	v_max_f32_e32 v3, 0x1e3ce508, v3
	s_waitcnt lgkmcnt(0)
	v_div_scale_f32 v4, null, v3, v3, s2
	v_div_scale_f32 v7, vcc_lo, s2, v3, s2
	s_mul_i32 s1, s15, s1
	s_delay_alu instid0(VALU_DEP_2) | instskip(SKIP_4) | instid1(VALU_DEP_1)
	v_rcp_f32_e32 v5, v4
	s_mul_i32 s4, s4, s0
	s_and_b32 s3, s3, 0xffff
	s_waitcnt_depctr 0xfff
	v_fma_f32 v6, -v4, v5, 1.0
	v_fmac_f32_e32 v5, v6, v5
	s_delay_alu instid0(VALU_DEP_1) | instskip(NEXT) | instid1(VALU_DEP_1)
	v_mul_f32_e32 v6, v7, v5
	v_fma_f32 v8, -v4, v6, v7
	s_delay_alu instid0(VALU_DEP_1) | instskip(NEXT) | instid1(VALU_DEP_1)
	v_fmac_f32_e32 v6, v8, v5
	v_fma_f32 v4, -v4, v6, v7
	s_delay_alu instid0(VALU_DEP_1) | instskip(NEXT) | instid1(VALU_DEP_1)
	v_div_fmas_f32 v4, v4, v5, v6
	v_div_fixup_f32 v3, v4, v3, s2
	s_mul_hi_u32 s2, s15, s0
	s_delay_alu instid0(SALU_CYCLE_1) | instskip(SKIP_1) | instid1(VALU_DEP_1)
	s_add_i32 s1, s2, s1
	s_mul_i32 s2, s15, s0
	v_mul_f32_e32 v2, v2, v3
	s_add_i32 s1, s1, s4
	s_mov_b32 s4, 0
	.p2align	6
.LBB117_31:                             ; =>This Inner Loop Header: Depth=1
	v_ashrrev_i32_e32 v4, 31, v0
	v_add_co_u32 v3, vcc_lo, s2, v0
	v_add_nc_u32_e32 v0, s3, v0
	s_delay_alu instid0(VALU_DEP_3) | instskip(NEXT) | instid1(VALU_DEP_2)
	v_add_co_ci_u32_e32 v4, vcc_lo, s1, v4, vcc_lo
	v_cmp_le_i32_e32 vcc_lo, s13, v0
	s_delay_alu instid0(VALU_DEP_2) | instskip(SKIP_1) | instid1(VALU_DEP_1)
	v_lshlrev_b64 v[3:4], 2, v[3:4]
	s_or_b32 s4, vcc_lo, s4
	v_add_co_u32 v5, s0, s8, v3
	s_delay_alu instid0(VALU_DEP_1) | instskip(SKIP_1) | instid1(VALU_DEP_1)
	v_add_co_ci_u32_e64 v6, s0, s9, v4, s0
	v_add_co_u32 v3, s0, s10, v3
	v_add_co_ci_u32_e64 v4, s0, s11, v4, s0
	global_store_b32 v[5:6], v2, off
	global_store_b32 v[3:4], v1, off
	s_and_not1_b32 exec_lo, exec_lo, s4
	s_cbranch_execnz .LBB117_31
.LBB117_32:
	s_nop 0
	s_sendmsg sendmsg(MSG_DEALLOC_VGPRS)
	s_endpgm
	.section	.rodata,"a",@progbits
	.p2align	6, 0x0
	.amdhsa_kernel _ZN5aiter20topk_softplus_kernelI6__halffDv4_fLb1ELi2EEEvPKT_PKT0_PfPimiiif
		.amdhsa_group_segment_fixed_size 0
		.amdhsa_private_segment_fixed_size 0
		.amdhsa_kernarg_size 312
		.amdhsa_user_sgpr_count 15
		.amdhsa_user_sgpr_dispatch_ptr 0
		.amdhsa_user_sgpr_queue_ptr 0
		.amdhsa_user_sgpr_kernarg_segment_ptr 1
		.amdhsa_user_sgpr_dispatch_id 0
		.amdhsa_user_sgpr_private_segment_size 0
		.amdhsa_wavefront_size32 1
		.amdhsa_uses_dynamic_stack 0
		.amdhsa_enable_private_segment 0
		.amdhsa_system_sgpr_workgroup_id_x 1
		.amdhsa_system_sgpr_workgroup_id_y 0
		.amdhsa_system_sgpr_workgroup_id_z 0
		.amdhsa_system_sgpr_workgroup_info 0
		.amdhsa_system_vgpr_workitem_id 0
		.amdhsa_next_free_vgpr 16
		.amdhsa_next_free_sgpr 23
		.amdhsa_reserve_vcc 1
		.amdhsa_float_round_mode_32 0
		.amdhsa_float_round_mode_16_64 0
		.amdhsa_float_denorm_mode_32 3
		.amdhsa_float_denorm_mode_16_64 3
		.amdhsa_dx10_clamp 1
		.amdhsa_ieee_mode 1
		.amdhsa_fp16_overflow 0
		.amdhsa_workgroup_processor_mode 1
		.amdhsa_memory_ordered 1
		.amdhsa_forward_progress 0
		.amdhsa_shared_vgpr_count 0
		.amdhsa_exception_fp_ieee_invalid_op 0
		.amdhsa_exception_fp_denorm_src 0
		.amdhsa_exception_fp_ieee_div_zero 0
		.amdhsa_exception_fp_ieee_overflow 0
		.amdhsa_exception_fp_ieee_underflow 0
		.amdhsa_exception_fp_ieee_inexact 0
		.amdhsa_exception_int_div_zero 0
	.end_amdhsa_kernel
	.section	.text._ZN5aiter20topk_softplus_kernelI6__halffDv4_fLb1ELi2EEEvPKT_PKT0_PfPimiiif,"axG",@progbits,_ZN5aiter20topk_softplus_kernelI6__halffDv4_fLb1ELi2EEEvPKT_PKT0_PfPimiiif,comdat
.Lfunc_end117:
	.size	_ZN5aiter20topk_softplus_kernelI6__halffDv4_fLb1ELi2EEEvPKT_PKT0_PfPimiiif, .Lfunc_end117-_ZN5aiter20topk_softplus_kernelI6__halffDv4_fLb1ELi2EEEvPKT_PKT0_PfPimiiif
                                        ; -- End function
	.section	.AMDGPU.csdata,"",@progbits
; Kernel info:
; codeLenInByte = 2072
; NumSgprs: 25
; NumVgprs: 16
; ScratchSize: 0
; MemoryBound: 0
; FloatMode: 240
; IeeeMode: 1
; LDSByteSize: 0 bytes/workgroup (compile time only)
; SGPRBlocks: 3
; VGPRBlocks: 1
; NumSGPRsForWavesPerEU: 25
; NumVGPRsForWavesPerEU: 16
; Occupancy: 16
; WaveLimiterHint : 0
; COMPUTE_PGM_RSRC2:SCRATCH_EN: 0
; COMPUTE_PGM_RSRC2:USER_SGPR: 15
; COMPUTE_PGM_RSRC2:TRAP_HANDLER: 0
; COMPUTE_PGM_RSRC2:TGID_X_EN: 1
; COMPUTE_PGM_RSRC2:TGID_Y_EN: 0
; COMPUTE_PGM_RSRC2:TGID_Z_EN: 0
; COMPUTE_PGM_RSRC2:TIDIG_COMP_CNT: 0
	.section	.text._ZN5aiter20topk_softplus_kernelI6__halffDv4_fLb0ELi2EEEvPKT_PKT0_PfPimiiif,"axG",@progbits,_ZN5aiter20topk_softplus_kernelI6__halffDv4_fLb0ELi2EEEvPKT_PKT0_PfPimiiif,comdat
	.protected	_ZN5aiter20topk_softplus_kernelI6__halffDv4_fLb0ELi2EEEvPKT_PKT0_PfPimiiif ; -- Begin function _ZN5aiter20topk_softplus_kernelI6__halffDv4_fLb0ELi2EEEvPKT_PKT0_PfPimiiif
	.globl	_ZN5aiter20topk_softplus_kernelI6__halffDv4_fLb0ELi2EEEvPKT_PKT0_PfPimiiif
	.p2align	8
	.type	_ZN5aiter20topk_softplus_kernelI6__halffDv4_fLb0ELi2EEEvPKT_PKT0_PfPimiiif,@function
_ZN5aiter20topk_softplus_kernelI6__halffDv4_fLb0ELi2EEEvPKT_PKT0_PfPimiiif: ; @_ZN5aiter20topk_softplus_kernelI6__halffDv4_fLb0ELi2EEEvPKT_PKT0_PfPimiiif
; %bb.0:
	s_clause 0x1
	s_load_b64 s[12:13], s[0:1], 0x28
	s_load_b256 s[4:11], s[0:1], 0x0
	v_lshl_add_u32 v3, v0, 4, 0
	s_waitcnt lgkmcnt(0)
	s_ashr_i32 s2, s12, 31
	s_mul_i32 s16, s15, s12
	s_lshr_b32 s2, s2, 30
	s_ashr_i32 s17, s16, 31
	s_add_i32 s2, s12, s2
	s_delay_alu instid0(SALU_CYCLE_1) | instskip(NEXT) | instid1(SALU_CYCLE_1)
	s_ashr_i32 s14, s2, 2
	v_cmp_gt_i32_e64 s2, s14, v0
	s_delay_alu instid0(VALU_DEP_1)
	s_and_saveexec_b32 s18, s2
	s_cbranch_execz .LBB118_3
; %bb.1:
	s_load_b32 s3, s[0:1], 0x44
	v_lshlrev_b32_e32 v1, 3, v0
	s_lshl_b64 s[20:21], s[16:17], 1
	v_lshl_add_u32 v4, v0, 4, 0
	v_mov_b32_e32 v5, v0
	s_waitcnt lgkmcnt(0)
	s_and_b32 s19, s3, 0xffff
	s_add_u32 s3, s4, s20
	s_addc_u32 s20, s5, s21
	v_add_co_u32 v1, s3, s3, v1
	s_delay_alu instid0(VALU_DEP_1)
	v_add_co_ci_u32_e64 v2, null, s20, 0, s3
	s_mov_b32 s20, 0
	s_lshl_b32 s21, s19, 3
	s_lshl_b32 s22, s19, 4
	.p2align	6
.LBB118_2:                              ; =>This Inner Loop Header: Depth=1
	global_load_b64 v[6:7], v[1:2], off
	v_add_nc_u32_e32 v5, s19, v5
	v_add_co_u32 v1, vcc_lo, v1, s21
	v_add_co_ci_u32_e32 v2, vcc_lo, 0, v2, vcc_lo
	s_delay_alu instid0(VALU_DEP_3) | instskip(NEXT) | instid1(VALU_DEP_1)
	v_cmp_le_i32_e64 s3, s14, v5
	s_or_b32 s20, s3, s20
	s_waitcnt vmcnt(0)
	v_lshrrev_b32_e32 v9, 16, v6
	v_lshrrev_b32_e32 v10, 16, v7
	v_cvt_f32_f16_e32 v6, v6
	v_cvt_f32_f16_e32 v8, v7
	s_delay_alu instid0(VALU_DEP_4) | instskip(NEXT) | instid1(VALU_DEP_4)
	v_cvt_f32_f16_e32 v7, v9
	v_cvt_f32_f16_e32 v9, v10
	ds_store_b128 v4, v[6:9]
	v_add_nc_u32_e32 v4, s22, v4
	s_and_not1_b32 exec_lo, exec_lo, s20
	s_cbranch_execnz .LBB118_2
.LBB118_3:
	s_or_b32 exec_lo, exec_lo, s18
	v_lshl_add_u32 v1, s14, 2, v0
	v_lshlrev_b32_e32 v4, 2, v0
	s_mov_b32 s3, exec_lo
	s_delay_alu instid0(VALU_DEP_2)
	v_cmpx_gt_i32_e64 s12, v1
	s_cbranch_execz .LBB118_6
; %bb.4:
	s_load_b32 s18, s[0:1], 0x44
	s_lshl_b64 s[16:17], s[16:17], 1
	v_lshlrev_b32_e32 v2, 2, v0
	s_add_u32 s4, s4, s16
	s_addc_u32 s5, s5, s17
	s_lshl_b32 s16, s14, 4
	s_mov_b32 s17, 0
	v_add3_u32 v5, 0, s16, v2
	s_waitcnt lgkmcnt(0)
	s_and_b32 s16, s18, 0xffff
	s_delay_alu instid0(SALU_CYCLE_1)
	s_lshl_b32 s18, s16, 2
	.p2align	6
.LBB118_5:                              ; =>This Inner Loop Header: Depth=1
	v_ashrrev_i32_e32 v2, 31, v1
	s_delay_alu instid0(VALU_DEP_1) | instskip(SKIP_1) | instid1(VALU_DEP_2)
	v_lshlrev_b64 v[6:7], 1, v[1:2]
	v_add_nc_u32_e32 v1, s16, v1
	v_add_co_u32 v6, vcc_lo, s4, v6
	s_delay_alu instid0(VALU_DEP_3) | instskip(NEXT) | instid1(VALU_DEP_3)
	v_add_co_ci_u32_e32 v7, vcc_lo, s5, v7, vcc_lo
	v_cmp_le_i32_e32 vcc_lo, s12, v1
	global_load_u16 v2, v[6:7], off
	s_or_b32 s17, vcc_lo, s17
	s_waitcnt vmcnt(0)
	v_cvt_f32_f16_e32 v2, v2
	ds_store_b32 v5, v2
	v_add_nc_u32_e32 v5, s18, v5
	s_and_not1_b32 exec_lo, exec_lo, s17
	s_cbranch_execnz .LBB118_5
.LBB118_6:
	s_or_b32 exec_lo, exec_lo, s3
	v_cmp_gt_i32_e32 vcc_lo, s12, v0
	v_mov_b32_e32 v2, 0xff800000
	s_waitcnt lgkmcnt(0)
	s_barrier
	buffer_gl0_inv
	s_and_saveexec_b32 s4, vcc_lo
	s_cbranch_execz .LBB118_10
; %bb.7:
	s_load_b32 s3, s[0:1], 0x44
	v_lshl_add_u32 v1, v0, 2, 0
	v_dual_mov_b32 v2, 0xff800000 :: v_dual_mov_b32 v5, v0
	s_mov_b32 s5, 0
	s_waitcnt lgkmcnt(0)
	s_and_b32 s16, s3, 0xffff
	s_delay_alu instid0(SALU_CYCLE_1)
	s_lshl_b32 s17, s16, 2
.LBB118_8:                              ; =>This Inner Loop Header: Depth=1
	ds_load_b32 v6, v1
	v_dual_max_f32 v2, v2, v2 :: v_dual_add_nc_u32 v5, s16, v5
	v_add_nc_u32_e32 v1, s17, v1
	s_delay_alu instid0(VALU_DEP_2) | instskip(NEXT) | instid1(VALU_DEP_1)
	v_cmp_le_i32_e64 s3, s12, v5
	s_or_b32 s5, s3, s5
	s_waitcnt lgkmcnt(0)
	v_max_f32_e32 v6, v6, v6
	s_delay_alu instid0(VALU_DEP_1)
	v_max_f32_e32 v2, v2, v6
	s_and_not1_b32 exec_lo, exec_lo, s5
	s_cbranch_execnz .LBB118_8
; %bb.9:
	s_or_b32 exec_lo, exec_lo, s5
.LBB118_10:
	s_delay_alu instid0(SALU_CYCLE_1)
	s_or_b32 exec_lo, exec_lo, s4
	v_mov_b32_e32 v1, 0
	;;#ASMSTART
	v_max_f32 v5, v2, v2 quad_perm:[1,0,3,2] row_mask:0xf bank_mask:0xf bound_ctrl:1
	;;#ASMEND
	;;#ASMSTART
	v_max_f32 v2, v5, v5 quad_perm:[2,3,0,1] row_mask:0xf bank_mask:0xf bound_ctrl:1
	;;#ASMEND
	;;#ASMSTART
	v_max_f32 v5, v2, v2 row_half_mirror row_mask:0xf bank_mask:0xf bound_ctrl:1
	;;#ASMEND
	;;#ASMSTART
	v_max_f32 v2, v5, v5 row_mirror row_mask:0xf bank_mask:0xf bound_ctrl:1
	;;#ASMEND
	s_and_saveexec_b32 s4, vcc_lo
	s_cbranch_execz .LBB118_14
; %bb.11:
	s_load_b32 s3, s[0:1], 0x44
	s_mov_b32 s5, 0x76543210
	v_lshl_add_u32 v5, v0, 2, 0
	v_permlanex16_b32 v1, v2, s5, 0xfedcba98 op_sel:[1,1]
	v_mov_b32_e32 v6, v0
	s_mov_b32 s5, 0
	s_delay_alu instid0(VALU_DEP_2) | instskip(NEXT) | instid1(VALU_DEP_1)
	v_dual_max_f32 v2, v2, v2 :: v_dual_max_f32 v1, v1, v1
	v_dual_max_f32 v2, v2, v1 :: v_dual_mov_b32 v1, 0
	s_waitcnt lgkmcnt(0)
	s_and_b32 s16, s3, 0xffff
	s_delay_alu instid0(SALU_CYCLE_1)
	s_lshl_b32 s17, s16, 2
	.p2align	6
.LBB118_12:                             ; =>This Inner Loop Header: Depth=1
	ds_load_b32 v7, v5
	s_waitcnt lgkmcnt(0)
	v_sub_f32_e32 v7, v7, v2
	s_delay_alu instid0(VALU_DEP_1) | instskip(NEXT) | instid1(VALU_DEP_1)
	v_mul_f32_e32 v8, 0x3fb8aa3b, v7
	v_cmp_gt_f32_e64 s3, 0xc2fc0000, v8
	s_delay_alu instid0(VALU_DEP_1) | instskip(NEXT) | instid1(VALU_DEP_1)
	v_cndmask_b32_e64 v8, 0, 0x42800000, s3
	v_fmac_f32_e32 v8, 0x3fb8aa3b, v7
	s_delay_alu instid0(VALU_DEP_1) | instskip(SKIP_3) | instid1(VALU_DEP_1)
	v_exp_f32_e32 v7, v8
	v_cndmask_b32_e64 v8, 1.0, 0x1f800000, s3
	s_waitcnt_depctr 0xfff
	v_dual_mul_f32 v9, v7, v8 :: v_dual_add_nc_u32 v6, s16, v6
	v_cmp_le_i32_e64 s3, s12, v6
	v_fmac_f32_e32 v1, v7, v8
	ds_store_b32 v5, v9
	v_add_nc_u32_e32 v5, s17, v5
	s_or_b32 s5, s3, s5
	s_delay_alu instid0(SALU_CYCLE_1)
	s_and_not1_b32 exec_lo, exec_lo, s5
	s_cbranch_execnz .LBB118_12
; %bb.13:
	s_or_b32 exec_lo, exec_lo, s5
.LBB118_14:
	s_delay_alu instid0(SALU_CYCLE_1) | instskip(SKIP_1) | instid1(VALU_DEP_1)
	s_or_b32 exec_lo, exec_lo, s4
	v_mov_b32_dpp v2, v1 quad_perm:[1,0,3,2] row_mask:0xf bank_mask:0xf
	v_add_f32_e32 v1, v1, v2
	s_delay_alu instid0(VALU_DEP_1) | instskip(NEXT) | instid1(VALU_DEP_1)
	v_mov_b32_dpp v2, v1 quad_perm:[2,3,0,1] row_mask:0xf bank_mask:0xf
	v_add_f32_e32 v1, v1, v2
	s_delay_alu instid0(VALU_DEP_1) | instskip(NEXT) | instid1(VALU_DEP_1)
	v_mov_b32_dpp v2, v1 row_xmask:7 row_mask:0xf bank_mask:0xf
	v_add_f32_e32 v1, v1, v2
	s_delay_alu instid0(VALU_DEP_1)
	v_mov_b32_dpp v2, v1 row_xmask:15 row_mask:0xf bank_mask:0xf
	s_and_saveexec_b32 s3, vcc_lo
	s_cbranch_execz .LBB118_19
; %bb.15:
	s_delay_alu instid0(VALU_DEP_1)
	v_add_f32_e32 v1, v1, v2
	s_load_b32 s5, s[0:1], 0x44
	s_mov_b32 s4, 0x76543210
	s_cmp_lg_u64 s[6:7], 0
	v_lshl_add_u32 v6, v0, 2, 0
	v_permlanex16_b32 v2, v1, s4, 0xfedcba98 op_sel:[1,1]
	s_cselect_b32 s4, -1, 0
	s_mov_b32 s16, 0
	s_delay_alu instid0(VALU_DEP_1) | instskip(NEXT) | instid1(VALU_DEP_1)
	v_add_f32_e32 v1, v1, v2
	v_rcp_f32_e32 v5, v1
	v_mov_b32_e32 v1, v0
	s_waitcnt lgkmcnt(0)
	s_and_b32 s5, s5, 0xffff
	s_delay_alu instid0(SALU_CYCLE_1)
	s_lshl_b32 s17, s5, 2
	s_set_inst_prefetch_distance 0x1
	s_branch .LBB118_17
	.p2align	6
.LBB118_16:                             ;   in Loop: Header=BB118_17 Depth=1
	v_add_nc_u32_e32 v1, s5, v1
	v_add_nc_u32_e32 v6, s17, v6
	s_delay_alu instid0(VALU_DEP_2) | instskip(SKIP_1) | instid1(SALU_CYCLE_1)
	v_cmp_le_i32_e32 vcc_lo, s12, v1
	s_or_b32 s16, vcc_lo, s16
	s_and_not1_b32 exec_lo, exec_lo, s16
	s_cbranch_execz .LBB118_19
.LBB118_17:                             ; =>This Inner Loop Header: Depth=1
	ds_load_b32 v2, v6
	s_and_not1_b32 vcc_lo, exec_lo, s4
	s_waitcnt lgkmcnt(0)
	v_mul_f32_e32 v7, v5, v2
	ds_store_b32 v6, v7
	s_cbranch_vccnz .LBB118_16
; %bb.18:                               ;   in Loop: Header=BB118_17 Depth=1
	v_ashrrev_i32_e32 v2, 31, v1
	s_delay_alu instid0(VALU_DEP_1) | instskip(NEXT) | instid1(VALU_DEP_1)
	v_lshlrev_b64 v[8:9], 2, v[1:2]
	v_add_co_u32 v8, vcc_lo, s6, v8
	s_delay_alu instid0(VALU_DEP_2)
	v_add_co_ci_u32_e32 v9, vcc_lo, s7, v9, vcc_lo
	global_load_b32 v2, v[8:9], off
	s_waitcnt vmcnt(0)
	v_add_f32_e32 v2, v7, v2
	ds_store_b32 v6, v2
	s_branch .LBB118_16
.LBB118_19:
	s_set_inst_prefetch_distance 0x2
	s_or_b32 exec_lo, exec_lo, s3
	s_cmp_lt_i32 s13, 1
	s_waitcnt lgkmcnt(0)
	s_barrier
	buffer_gl0_inv
	s_cbranch_scc1 .LBB118_28
; %bb.20:
	s_add_u32 s4, s0, 56
	s_addc_u32 s5, s1, 0
	v_dual_mov_b32 v2, 0 :: v_dual_mov_b32 v1, 0
	v_mov_b32_e32 v5, 0xff800000
	s_cmp_lg_u64 s[6:7], 0
	s_mov_b32 s18, 0
	s_cselect_b32 s12, -1, 0
	s_mov_b32 s19, 0x76543210
	s_branch .LBB118_22
.LBB118_21:                             ;   in Loop: Header=BB118_22 Depth=1
	v_cmp_eq_u32_e32 vcc_lo, s18, v0
	s_delay_alu instid0(VALU_DEP_2)
	s_lshl_b32 s3, s16, 2
	s_add_i32 s18, s18, 1
	s_add_i32 s3, s3, 0
	s_cmp_eq_u32 s18, s13
	v_cndmask_b32_e64 v1, v1, s16, vcc_lo
	v_mov_b32_e32 v6, s3
	v_cndmask_b32_e32 v2, v2, v8, vcc_lo
	ds_store_b32 v6, v5
	s_cbranch_scc1 .LBB118_29
.LBB118_22:                             ; =>This Loop Header: Depth=1
                                        ;     Child Loop BB118_24 Depth 2
	v_dual_mov_b32 v6, s18 :: v_dual_mov_b32 v7, 0xff800000
	s_and_saveexec_b32 s16, s2
	s_cbranch_execz .LBB118_26
; %bb.23:                               ;   in Loop: Header=BB118_22 Depth=1
	s_load_b32 s3, s[4:5], 0xc
	v_dual_mov_b32 v6, s18 :: v_dual_mov_b32 v7, 0xff800000
	v_dual_mov_b32 v8, v3 :: v_dual_mov_b32 v9, v4
	v_mov_b32_e32 v10, v0
	s_mov_b32 s21, 0
	s_waitcnt lgkmcnt(0)
	s_and_b32 s17, s3, 0xffff
	s_delay_alu instid0(SALU_CYCLE_1)
	s_lshl_b32 s20, s17, 2
	s_lshl_b32 s22, s17, 4
	.p2align	6
.LBB118_24:                             ;   Parent Loop BB118_22 Depth=1
                                        ; =>  This Inner Loop Header: Depth=2
	ds_load_b128 v[11:14], v8
	v_add_nc_u32_e32 v10, s17, v10
	s_delay_alu instid0(VALU_DEP_1) | instskip(NEXT) | instid1(VALU_DEP_1)
	v_cmp_le_i32_e64 s3, s14, v10
	s_or_b32 s21, s3, s21
	s_waitcnt lgkmcnt(0)
	v_cmp_gt_f32_e32 vcc_lo, v11, v7
	v_dual_cndmask_b32 v7, v7, v11 :: v_dual_cndmask_b32 v6, v6, v9
	s_delay_alu instid0(VALU_DEP_1) | instskip(SKIP_2) | instid1(VALU_DEP_1)
	v_cmp_gt_f32_e32 vcc_lo, v12, v7
	v_dual_cndmask_b32 v7, v7, v12 :: v_dual_add_nc_u32 v12, 2, v9
	v_add_nc_u32_e32 v11, 1, v9
	v_cndmask_b32_e32 v6, v6, v11, vcc_lo
	s_delay_alu instid0(VALU_DEP_3) | instskip(SKIP_1) | instid1(VALU_DEP_3)
	v_cmp_gt_f32_e32 vcc_lo, v13, v7
	v_add_nc_u32_e32 v11, 3, v9
	v_dual_cndmask_b32 v7, v7, v13 :: v_dual_cndmask_b32 v6, v6, v12
	s_delay_alu instid0(VALU_DEP_1) | instskip(SKIP_1) | instid1(VALU_DEP_3)
	v_cmp_gt_f32_e32 vcc_lo, v14, v7
	v_add_nc_u32_e32 v8, s22, v8
	v_dual_cndmask_b32 v6, v6, v11 :: v_dual_add_nc_u32 v9, s20, v9
	v_cndmask_b32_e32 v7, v7, v14, vcc_lo
	s_and_not1_b32 exec_lo, exec_lo, s21
	s_cbranch_execnz .LBB118_24
; %bb.25:                               ;   in Loop: Header=BB118_22 Depth=1
	s_or_b32 exec_lo, exec_lo, s21
.LBB118_26:                             ;   in Loop: Header=BB118_22 Depth=1
	s_delay_alu instid0(SALU_CYCLE_1)
	s_or_b32 exec_lo, exec_lo, s16
	;;#ASMSTART
	v_max_f32 v8, v7, v7 quad_perm:[1,0,3,2] row_mask:0xf bank_mask:0xf bound_ctrl:1
	;;#ASMEND
	;;#ASMSTART
	v_max_f32 v9, v8, v8 quad_perm:[2,3,0,1] row_mask:0xf bank_mask:0xf bound_ctrl:1
	;;#ASMEND
	;;#ASMSTART
	v_max_f32 v8, v9, v9 row_half_mirror row_mask:0xf bank_mask:0xf bound_ctrl:1
	;;#ASMEND
	;;#ASMSTART
	v_max_f32 v9, v8, v8 row_mirror row_mask:0xf bank_mask:0xf bound_ctrl:1
	;;#ASMEND
	v_permlanex16_b32 v8, v9, s19, 0xfedcba98 op_sel:[1,1]
	s_delay_alu instid0(VALU_DEP_1) | instskip(NEXT) | instid1(VALU_DEP_1)
	v_dual_max_f32 v9, v9, v9 :: v_dual_max_f32 v8, v8, v8
	v_max_f32_e32 v8, v9, v8
	s_delay_alu instid0(VALU_DEP_1)
	v_cmp_eq_f32_e32 vcc_lo, v7, v8
	s_ctz_i32_b32 s3, vcc_lo
	s_cmp_lg_u32 vcc_lo, 0
	s_cselect_b32 s3, s3, 0
	s_and_b32 vcc_lo, exec_lo, s12
	v_readlane_b32 s16, v6, s3
	s_cbranch_vccz .LBB118_21
; %bb.27:                               ;   in Loop: Header=BB118_22 Depth=1
	s_delay_alu instid0(VALU_DEP_1) | instskip(NEXT) | instid1(SALU_CYCLE_1)
	s_ashr_i32 s17, s16, 31
	s_lshl_b64 s[20:21], s[16:17], 2
	s_delay_alu instid0(SALU_CYCLE_1)
	s_add_u32 s20, s6, s20
	s_addc_u32 s21, s7, s21
	s_load_b32 s3, s[20:21], 0x0
	s_waitcnt lgkmcnt(0)
	v_subrev_f32_e32 v8, s3, v8
	s_branch .LBB118_21
.LBB118_28:
	v_dual_mov_b32 v2, 0 :: v_dual_mov_b32 v1, 0
.LBB118_29:
	s_mov_b32 s2, exec_lo
	v_cmpx_gt_i32_e64 s13, v0
	s_cbranch_execz .LBB118_32
; %bb.30:
	s_clause 0x2
	s_load_b32 s4, s[0:1], 0x34
	s_load_b64 s[2:3], s[0:1], 0x20
	s_load_b32 s0, s[0:1], 0x44
	s_ashr_i32 s1, s15, 31
	s_waitcnt lgkmcnt(0)
	v_mul_f32_e32 v2, s4, v2
	s_mul_i32 s3, s15, s3
	s_mul_hi_u32 s4, s15, s2
	s_mul_i32 s5, s1, s2
	s_add_i32 s3, s4, s3
	s_mul_i32 s1, s15, s2
	s_and_b32 s2, s0, 0xffff
	s_add_i32 s3, s3, s5
	s_mov_b32 s4, 0
	.p2align	6
.LBB118_31:                             ; =>This Inner Loop Header: Depth=1
	v_ashrrev_i32_e32 v4, 31, v0
	v_add_co_u32 v3, vcc_lo, s1, v0
	v_add_nc_u32_e32 v0, s2, v0
	s_delay_alu instid0(VALU_DEP_3) | instskip(NEXT) | instid1(VALU_DEP_2)
	v_add_co_ci_u32_e32 v4, vcc_lo, s3, v4, vcc_lo
	v_cmp_le_i32_e32 vcc_lo, s13, v0
	s_delay_alu instid0(VALU_DEP_2) | instskip(SKIP_1) | instid1(VALU_DEP_1)
	v_lshlrev_b64 v[3:4], 2, v[3:4]
	s_or_b32 s4, vcc_lo, s4
	v_add_co_u32 v5, s0, s8, v3
	s_delay_alu instid0(VALU_DEP_1) | instskip(SKIP_1) | instid1(VALU_DEP_1)
	v_add_co_ci_u32_e64 v6, s0, s9, v4, s0
	v_add_co_u32 v3, s0, s10, v3
	v_add_co_ci_u32_e64 v4, s0, s11, v4, s0
	global_store_b32 v[5:6], v2, off
	global_store_b32 v[3:4], v1, off
	s_and_not1_b32 exec_lo, exec_lo, s4
	s_cbranch_execnz .LBB118_31
.LBB118_32:
	s_nop 0
	s_sendmsg sendmsg(MSG_DEALLOC_VGPRS)
	s_endpgm
	.section	.rodata,"a",@progbits
	.p2align	6, 0x0
	.amdhsa_kernel _ZN5aiter20topk_softplus_kernelI6__halffDv4_fLb0ELi2EEEvPKT_PKT0_PfPimiiif
		.amdhsa_group_segment_fixed_size 0
		.amdhsa_private_segment_fixed_size 0
		.amdhsa_kernarg_size 312
		.amdhsa_user_sgpr_count 15
		.amdhsa_user_sgpr_dispatch_ptr 0
		.amdhsa_user_sgpr_queue_ptr 0
		.amdhsa_user_sgpr_kernarg_segment_ptr 1
		.amdhsa_user_sgpr_dispatch_id 0
		.amdhsa_user_sgpr_private_segment_size 0
		.amdhsa_wavefront_size32 1
		.amdhsa_uses_dynamic_stack 0
		.amdhsa_enable_private_segment 0
		.amdhsa_system_sgpr_workgroup_id_x 1
		.amdhsa_system_sgpr_workgroup_id_y 0
		.amdhsa_system_sgpr_workgroup_id_z 0
		.amdhsa_system_sgpr_workgroup_info 0
		.amdhsa_system_vgpr_workitem_id 0
		.amdhsa_next_free_vgpr 15
		.amdhsa_next_free_sgpr 23
		.amdhsa_reserve_vcc 1
		.amdhsa_float_round_mode_32 0
		.amdhsa_float_round_mode_16_64 0
		.amdhsa_float_denorm_mode_32 3
		.amdhsa_float_denorm_mode_16_64 3
		.amdhsa_dx10_clamp 1
		.amdhsa_ieee_mode 1
		.amdhsa_fp16_overflow 0
		.amdhsa_workgroup_processor_mode 1
		.amdhsa_memory_ordered 1
		.amdhsa_forward_progress 0
		.amdhsa_shared_vgpr_count 0
		.amdhsa_exception_fp_ieee_invalid_op 0
		.amdhsa_exception_fp_denorm_src 0
		.amdhsa_exception_fp_ieee_div_zero 0
		.amdhsa_exception_fp_ieee_overflow 0
		.amdhsa_exception_fp_ieee_underflow 0
		.amdhsa_exception_fp_ieee_inexact 0
		.amdhsa_exception_int_div_zero 0
	.end_amdhsa_kernel
	.section	.text._ZN5aiter20topk_softplus_kernelI6__halffDv4_fLb0ELi2EEEvPKT_PKT0_PfPimiiif,"axG",@progbits,_ZN5aiter20topk_softplus_kernelI6__halffDv4_fLb0ELi2EEEvPKT_PKT0_PfPimiiif,comdat
.Lfunc_end118:
	.size	_ZN5aiter20topk_softplus_kernelI6__halffDv4_fLb0ELi2EEEvPKT_PKT0_PfPimiiif, .Lfunc_end118-_ZN5aiter20topk_softplus_kernelI6__halffDv4_fLb0ELi2EEEvPKT_PKT0_PfPimiiif
                                        ; -- End function
	.section	.AMDGPU.csdata,"",@progbits
; Kernel info:
; codeLenInByte = 1948
; NumSgprs: 25
; NumVgprs: 15
; ScratchSize: 0
; MemoryBound: 0
; FloatMode: 240
; IeeeMode: 1
; LDSByteSize: 0 bytes/workgroup (compile time only)
; SGPRBlocks: 3
; VGPRBlocks: 1
; NumSGPRsForWavesPerEU: 25
; NumVGPRsForWavesPerEU: 15
; Occupancy: 16
; WaveLimiterHint : 0
; COMPUTE_PGM_RSRC2:SCRATCH_EN: 0
; COMPUTE_PGM_RSRC2:USER_SGPR: 15
; COMPUTE_PGM_RSRC2:TRAP_HANDLER: 0
; COMPUTE_PGM_RSRC2:TGID_X_EN: 1
; COMPUTE_PGM_RSRC2:TGID_Y_EN: 0
; COMPUTE_PGM_RSRC2:TGID_Z_EN: 0
; COMPUTE_PGM_RSRC2:TIDIG_COMP_CNT: 0
	.section	.text._ZN5aiter20topk_softplus_kernelI6__halffDv2_fLb1ELi2EEEvPKT_PKT0_PfPimiiif,"axG",@progbits,_ZN5aiter20topk_softplus_kernelI6__halffDv2_fLb1ELi2EEEvPKT_PKT0_PfPimiiif,comdat
	.protected	_ZN5aiter20topk_softplus_kernelI6__halffDv2_fLb1ELi2EEEvPKT_PKT0_PfPimiiif ; -- Begin function _ZN5aiter20topk_softplus_kernelI6__halffDv2_fLb1ELi2EEEvPKT_PKT0_PfPimiiif
	.globl	_ZN5aiter20topk_softplus_kernelI6__halffDv2_fLb1ELi2EEEvPKT_PKT0_PfPimiiif
	.p2align	8
	.type	_ZN5aiter20topk_softplus_kernelI6__halffDv2_fLb1ELi2EEEvPKT_PKT0_PfPimiiif,@function
_ZN5aiter20topk_softplus_kernelI6__halffDv2_fLb1ELi2EEEvPKT_PKT0_PfPimiiif: ; @_ZN5aiter20topk_softplus_kernelI6__halffDv2_fLb1ELi2EEEvPKT_PKT0_PfPimiiif
; %bb.0:
	s_clause 0x1
	s_load_b64 s[12:13], s[0:1], 0x28
	s_load_b256 s[4:11], s[0:1], 0x0
	v_lshl_add_u32 v3, v0, 3, 0
	s_waitcnt lgkmcnt(0)
	s_lshr_b32 s2, s12, 31
	s_mul_i32 s16, s15, s12
	s_add_i32 s2, s12, s2
	s_ashr_i32 s17, s16, 31
	s_ashr_i32 s14, s2, 1
	s_delay_alu instid0(SALU_CYCLE_1) | instskip(NEXT) | instid1(VALU_DEP_1)
	v_cmp_gt_i32_e64 s2, s14, v0
	s_and_saveexec_b32 s18, s2
	s_cbranch_execz .LBB119_3
; %bb.1:
	s_load_b32 s3, s[0:1], 0x44
	v_lshlrev_b32_e32 v1, 2, v0
	s_lshl_b64 s[20:21], s[16:17], 1
	v_lshl_add_u32 v4, v0, 3, 0
	v_mov_b32_e32 v5, v0
	s_waitcnt lgkmcnt(0)
	s_and_b32 s19, s3, 0xffff
	s_add_u32 s3, s4, s20
	s_addc_u32 s20, s5, s21
	v_add_co_u32 v1, s3, s3, v1
	s_delay_alu instid0(VALU_DEP_1)
	v_add_co_ci_u32_e64 v2, null, s20, 0, s3
	s_mov_b32 s20, 0
	s_lshl_b32 s21, s19, 2
	s_lshl_b32 s22, s19, 3
	.p2align	6
.LBB119_2:                              ; =>This Inner Loop Header: Depth=1
	global_load_b32 v6, v[1:2], off
	v_add_nc_u32_e32 v5, s19, v5
	v_add_co_u32 v1, vcc_lo, v1, s21
	v_add_co_ci_u32_e32 v2, vcc_lo, 0, v2, vcc_lo
	s_delay_alu instid0(VALU_DEP_3) | instskip(NEXT) | instid1(VALU_DEP_1)
	v_cmp_le_i32_e64 s3, s14, v5
	s_or_b32 s20, s3, s20
	s_waitcnt vmcnt(0)
	v_lshrrev_b32_e32 v7, 16, v6
	v_cvt_f32_f16_e32 v6, v6
	s_delay_alu instid0(VALU_DEP_2)
	v_cvt_f32_f16_e32 v7, v7
	ds_store_b64 v4, v[6:7]
	v_add_nc_u32_e32 v4, s22, v4
	s_and_not1_b32 exec_lo, exec_lo, s20
	s_cbranch_execnz .LBB119_2
.LBB119_3:
	s_or_b32 exec_lo, exec_lo, s18
	v_lshl_add_u32 v1, s14, 1, v0
	s_mov_b32 s3, exec_lo
	s_delay_alu instid0(VALU_DEP_1)
	v_cmpx_gt_i32_e64 s12, v1
	s_cbranch_execz .LBB119_6
; %bb.4:
	s_load_b32 s18, s[0:1], 0x44
	s_lshl_b64 s[16:17], s[16:17], 1
	v_lshlrev_b32_e32 v2, 2, v0
	s_add_u32 s4, s4, s16
	s_addc_u32 s5, s5, s17
	s_lshl_b32 s16, s14, 3
	s_mov_b32 s17, 0
	v_add3_u32 v4, 0, s16, v2
	s_waitcnt lgkmcnt(0)
	s_and_b32 s16, s18, 0xffff
	s_delay_alu instid0(SALU_CYCLE_1)
	s_lshl_b32 s18, s16, 2
	.p2align	6
.LBB119_5:                              ; =>This Inner Loop Header: Depth=1
	v_ashrrev_i32_e32 v2, 31, v1
	s_delay_alu instid0(VALU_DEP_1) | instskip(SKIP_1) | instid1(VALU_DEP_2)
	v_lshlrev_b64 v[5:6], 1, v[1:2]
	v_add_nc_u32_e32 v1, s16, v1
	v_add_co_u32 v5, vcc_lo, s4, v5
	s_delay_alu instid0(VALU_DEP_3) | instskip(NEXT) | instid1(VALU_DEP_3)
	v_add_co_ci_u32_e32 v6, vcc_lo, s5, v6, vcc_lo
	v_cmp_le_i32_e32 vcc_lo, s12, v1
	global_load_u16 v2, v[5:6], off
	s_or_b32 s17, vcc_lo, s17
	s_waitcnt vmcnt(0)
	v_cvt_f32_f16_e32 v2, v2
	ds_store_b32 v4, v2
	v_add_nc_u32_e32 v4, s18, v4
	s_and_not1_b32 exec_lo, exec_lo, s17
	s_cbranch_execnz .LBB119_5
.LBB119_6:
	s_or_b32 exec_lo, exec_lo, s3
	v_cmp_gt_i32_e32 vcc_lo, s12, v0
	v_mov_b32_e32 v2, 0xff800000
	s_waitcnt lgkmcnt(0)
	s_barrier
	buffer_gl0_inv
	s_and_saveexec_b32 s4, vcc_lo
	s_cbranch_execz .LBB119_10
; %bb.7:
	s_load_b32 s3, s[0:1], 0x44
	v_lshl_add_u32 v1, v0, 2, 0
	v_mov_b32_e32 v2, 0xff800000
	v_mov_b32_e32 v4, v0
	s_mov_b32 s5, 0
	s_waitcnt lgkmcnt(0)
	s_and_b32 s16, s3, 0xffff
	s_delay_alu instid0(SALU_CYCLE_1)
	s_lshl_b32 s17, s16, 2
.LBB119_8:                              ; =>This Inner Loop Header: Depth=1
	ds_load_b32 v5, v1
	v_add_nc_u32_e32 v4, s16, v4
	v_dual_max_f32 v2, v2, v2 :: v_dual_add_nc_u32 v1, s17, v1
	s_waitcnt lgkmcnt(0)
	v_max_f32_e32 v5, v5, v5
	s_delay_alu instid0(VALU_DEP_3) | instskip(NEXT) | instid1(VALU_DEP_2)
	v_cmp_le_i32_e64 s3, s12, v4
	v_max_f32_e32 v2, v2, v5
	s_delay_alu instid0(VALU_DEP_2) | instskip(NEXT) | instid1(SALU_CYCLE_1)
	s_or_b32 s5, s3, s5
	s_and_not1_b32 exec_lo, exec_lo, s5
	s_cbranch_execnz .LBB119_8
; %bb.9:
	s_or_b32 exec_lo, exec_lo, s5
.LBB119_10:
	s_delay_alu instid0(SALU_CYCLE_1)
	s_or_b32 exec_lo, exec_lo, s4
	v_mov_b32_e32 v1, 0
	;;#ASMSTART
	v_max_f32 v4, v2, v2 quad_perm:[1,0,3,2] row_mask:0xf bank_mask:0xf bound_ctrl:1
	;;#ASMEND
	;;#ASMSTART
	v_max_f32 v2, v4, v4 quad_perm:[2,3,0,1] row_mask:0xf bank_mask:0xf bound_ctrl:1
	;;#ASMEND
	;;#ASMSTART
	v_max_f32 v4, v2, v2 row_half_mirror row_mask:0xf bank_mask:0xf bound_ctrl:1
	;;#ASMEND
	;;#ASMSTART
	v_max_f32 v2, v4, v4 row_mirror row_mask:0xf bank_mask:0xf bound_ctrl:1
	;;#ASMEND
	s_and_saveexec_b32 s4, vcc_lo
	s_cbranch_execz .LBB119_14
; %bb.11:
	s_load_b32 s3, s[0:1], 0x44
	s_mov_b32 s5, 0x76543210
	v_lshl_add_u32 v4, v0, 2, 0
	v_permlanex16_b32 v1, v2, s5, 0xfedcba98 op_sel:[1,1]
	v_mov_b32_e32 v5, v0
	s_mov_b32 s5, 0
	s_delay_alu instid0(VALU_DEP_2) | instskip(NEXT) | instid1(VALU_DEP_1)
	v_dual_max_f32 v2, v2, v2 :: v_dual_max_f32 v1, v1, v1
	v_dual_max_f32 v2, v2, v1 :: v_dual_mov_b32 v1, 0
	s_waitcnt lgkmcnt(0)
	s_and_b32 s16, s3, 0xffff
	s_delay_alu instid0(SALU_CYCLE_1)
	s_lshl_b32 s17, s16, 2
	.p2align	6
.LBB119_12:                             ; =>This Inner Loop Header: Depth=1
	ds_load_b32 v6, v4
	s_waitcnt lgkmcnt(0)
	v_dual_sub_f32 v6, v6, v2 :: v_dual_add_nc_u32 v5, s16, v5
	s_delay_alu instid0(VALU_DEP_1) | instskip(NEXT) | instid1(VALU_DEP_1)
	v_mul_f32_e32 v7, 0x3fb8aa3b, v6
	v_cmp_gt_f32_e64 s3, 0xc2fc0000, v7
	s_delay_alu instid0(VALU_DEP_1) | instskip(NEXT) | instid1(VALU_DEP_1)
	v_cndmask_b32_e64 v7, 0, 0x42800000, s3
	v_fmac_f32_e32 v7, 0x3fb8aa3b, v6
	s_delay_alu instid0(VALU_DEP_1) | instskip(SKIP_2) | instid1(VALU_DEP_1)
	v_exp_f32_e32 v6, v7
	v_cndmask_b32_e64 v7, 1.0, 0x1f800000, s3
	v_cmp_le_i32_e64 s3, s12, v5
	s_or_b32 s5, s3, s5
	s_waitcnt_depctr 0xfff
	v_mul_f32_e32 v8, v6, v7
	v_fmac_f32_e32 v1, v6, v7
	ds_store_b32 v4, v8
	v_add_nc_u32_e32 v4, s17, v4
	s_and_not1_b32 exec_lo, exec_lo, s5
	s_cbranch_execnz .LBB119_12
; %bb.13:
	s_or_b32 exec_lo, exec_lo, s5
.LBB119_14:
	s_delay_alu instid0(SALU_CYCLE_1) | instskip(SKIP_1) | instid1(VALU_DEP_1)
	s_or_b32 exec_lo, exec_lo, s4
	v_mov_b32_dpp v2, v1 quad_perm:[1,0,3,2] row_mask:0xf bank_mask:0xf
	v_add_f32_e32 v1, v1, v2
	s_delay_alu instid0(VALU_DEP_1) | instskip(NEXT) | instid1(VALU_DEP_1)
	v_mov_b32_dpp v2, v1 quad_perm:[2,3,0,1] row_mask:0xf bank_mask:0xf
	v_add_f32_e32 v1, v1, v2
	s_delay_alu instid0(VALU_DEP_1) | instskip(NEXT) | instid1(VALU_DEP_1)
	v_mov_b32_dpp v2, v1 row_xmask:7 row_mask:0xf bank_mask:0xf
	v_add_f32_e32 v1, v1, v2
	s_delay_alu instid0(VALU_DEP_1)
	v_mov_b32_dpp v2, v1 row_xmask:15 row_mask:0xf bank_mask:0xf
	s_and_saveexec_b32 s3, vcc_lo
	s_cbranch_execz .LBB119_19
; %bb.15:
	s_delay_alu instid0(VALU_DEP_1)
	v_add_f32_e32 v1, v1, v2
	s_load_b32 s5, s[0:1], 0x44
	s_mov_b32 s4, 0x76543210
	s_cmp_lg_u64 s[6:7], 0
	v_lshl_add_u32 v5, v0, 2, 0
	v_permlanex16_b32 v2, v1, s4, 0xfedcba98 op_sel:[1,1]
	s_cselect_b32 s4, -1, 0
	s_mov_b32 s16, 0
	s_delay_alu instid0(VALU_DEP_1) | instskip(NEXT) | instid1(VALU_DEP_1)
	v_add_f32_e32 v1, v1, v2
	v_rcp_f32_e32 v4, v1
	v_mov_b32_e32 v1, v0
	s_waitcnt lgkmcnt(0)
	s_and_b32 s5, s5, 0xffff
	s_delay_alu instid0(SALU_CYCLE_1)
	s_lshl_b32 s17, s5, 2
	s_set_inst_prefetch_distance 0x1
	s_branch .LBB119_17
	.p2align	6
.LBB119_16:                             ;   in Loop: Header=BB119_17 Depth=1
	v_add_nc_u32_e32 v1, s5, v1
	v_add_nc_u32_e32 v5, s17, v5
	s_delay_alu instid0(VALU_DEP_2) | instskip(SKIP_1) | instid1(SALU_CYCLE_1)
	v_cmp_le_i32_e32 vcc_lo, s12, v1
	s_or_b32 s16, vcc_lo, s16
	s_and_not1_b32 exec_lo, exec_lo, s16
	s_cbranch_execz .LBB119_19
.LBB119_17:                             ; =>This Inner Loop Header: Depth=1
	ds_load_b32 v2, v5
	s_and_not1_b32 vcc_lo, exec_lo, s4
	s_waitcnt lgkmcnt(0)
	v_mul_f32_e32 v6, v4, v2
	ds_store_b32 v5, v6
	s_cbranch_vccnz .LBB119_16
; %bb.18:                               ;   in Loop: Header=BB119_17 Depth=1
	v_ashrrev_i32_e32 v2, 31, v1
	s_delay_alu instid0(VALU_DEP_1) | instskip(NEXT) | instid1(VALU_DEP_1)
	v_lshlrev_b64 v[7:8], 2, v[1:2]
	v_add_co_u32 v7, vcc_lo, s6, v7
	s_delay_alu instid0(VALU_DEP_2)
	v_add_co_ci_u32_e32 v8, vcc_lo, s7, v8, vcc_lo
	global_load_b32 v2, v[7:8], off
	s_waitcnt vmcnt(0)
	v_add_f32_e32 v2, v6, v2
	ds_store_b32 v5, v2
	s_branch .LBB119_16
.LBB119_19:
	s_set_inst_prefetch_distance 0x2
	s_or_b32 exec_lo, exec_lo, s3
	v_mov_b32_e32 v2, 0
	s_cmp_lt_i32 s13, 1
	s_waitcnt lgkmcnt(0)
	s_barrier
	buffer_gl0_inv
	s_cbranch_scc1 .LBB119_28
; %bb.20:
	s_add_u32 s4, s0, 56
	s_addc_u32 s5, s1, 0
	v_dual_mov_b32 v2, 0 :: v_dual_lshlrev_b32 v5, 1, v0
	v_dual_mov_b32 v6, 0xff800000 :: v_dual_mov_b32 v1, 0
	v_mov_b32_e32 v4, 0
	s_cmp_lg_u64 s[6:7], 0
	s_mov_b32 s18, 0
	s_cselect_b32 s12, -1, 0
	s_mov_b32 s19, 0x76543210
	s_branch .LBB119_22
.LBB119_21:                             ;   in Loop: Header=BB119_22 Depth=1
	v_cmp_eq_u32_e32 vcc_lo, s18, v0
	s_delay_alu instid0(VALU_DEP_2) | instskip(NEXT) | instid1(VALU_DEP_2)
	s_lshl_b32 s3, s16, 2
	v_add_f32_e32 v4, v4, v9
	s_add_i32 s3, s3, 0
	s_add_i32 s18, s18, 1
	v_cndmask_b32_e64 v1, v1, s16, vcc_lo
	v_dual_mov_b32 v7, s3 :: v_dual_cndmask_b32 v2, v2, v9
	s_cmp_eq_u32 s18, s13
	ds_store_b32 v7, v6
	s_cbranch_scc1 .LBB119_29
.LBB119_22:                             ; =>This Loop Header: Depth=1
                                        ;     Child Loop BB119_24 Depth 2
	v_dual_mov_b32 v7, s18 :: v_dual_mov_b32 v8, 0xff800000
	s_and_saveexec_b32 s16, s2
	s_cbranch_execz .LBB119_26
; %bb.23:                               ;   in Loop: Header=BB119_22 Depth=1
	s_load_b32 s3, s[4:5], 0xc
	v_dual_mov_b32 v7, s18 :: v_dual_mov_b32 v8, 0xff800000
	v_dual_mov_b32 v9, v3 :: v_dual_mov_b32 v10, v5
	v_mov_b32_e32 v11, v0
	s_mov_b32 s21, 0
	s_waitcnt lgkmcnt(0)
	s_and_b32 s17, s3, 0xffff
	s_delay_alu instid0(SALU_CYCLE_1)
	s_lshl_b32 s20, s17, 1
	s_lshl_b32 s22, s17, 3
	.p2align	6
.LBB119_24:                             ;   Parent Loop BB119_22 Depth=1
                                        ; =>  This Inner Loop Header: Depth=2
	ds_load_b64 v[12:13], v9
	v_add_nc_u32_e32 v9, s22, v9
	v_add_nc_u32_e32 v11, s17, v11
	s_delay_alu instid0(VALU_DEP_1) | instskip(NEXT) | instid1(VALU_DEP_1)
	v_cmp_le_i32_e64 s3, s14, v11
	s_or_b32 s21, s3, s21
	s_waitcnt lgkmcnt(0)
	v_cmp_gt_f32_e32 vcc_lo, v12, v8
	v_cndmask_b32_e32 v8, v8, v12, vcc_lo
	v_add_nc_u32_e32 v12, 1, v10
	v_cndmask_b32_e32 v7, v7, v10, vcc_lo
	s_delay_alu instid0(VALU_DEP_3) | instskip(SKIP_1) | instid1(VALU_DEP_3)
	v_cmp_gt_f32_e32 vcc_lo, v13, v8
	v_cndmask_b32_e32 v8, v8, v13, vcc_lo
	v_dual_cndmask_b32 v7, v7, v12 :: v_dual_add_nc_u32 v10, s20, v10
	s_and_not1_b32 exec_lo, exec_lo, s21
	s_cbranch_execnz .LBB119_24
; %bb.25:                               ;   in Loop: Header=BB119_22 Depth=1
	s_or_b32 exec_lo, exec_lo, s21
.LBB119_26:                             ;   in Loop: Header=BB119_22 Depth=1
	s_delay_alu instid0(SALU_CYCLE_1)
	s_or_b32 exec_lo, exec_lo, s16
	;;#ASMSTART
	v_max_f32 v9, v8, v8 quad_perm:[1,0,3,2] row_mask:0xf bank_mask:0xf bound_ctrl:1
	;;#ASMEND
	;;#ASMSTART
	v_max_f32 v10, v9, v9 quad_perm:[2,3,0,1] row_mask:0xf bank_mask:0xf bound_ctrl:1
	;;#ASMEND
	;;#ASMSTART
	v_max_f32 v9, v10, v10 row_half_mirror row_mask:0xf bank_mask:0xf bound_ctrl:1
	;;#ASMEND
	;;#ASMSTART
	v_max_f32 v10, v9, v9 row_mirror row_mask:0xf bank_mask:0xf bound_ctrl:1
	;;#ASMEND
	v_permlanex16_b32 v9, v10, s19, 0xfedcba98 op_sel:[1,1]
	s_delay_alu instid0(VALU_DEP_1) | instskip(NEXT) | instid1(VALU_DEP_1)
	v_dual_max_f32 v10, v10, v10 :: v_dual_max_f32 v9, v9, v9
	v_max_f32_e32 v9, v10, v9
	s_delay_alu instid0(VALU_DEP_1)
	v_cmp_eq_f32_e32 vcc_lo, v8, v9
	s_ctz_i32_b32 s3, vcc_lo
	s_cmp_lg_u32 vcc_lo, 0
	s_cselect_b32 s3, s3, 0
	s_and_b32 vcc_lo, exec_lo, s12
	v_readlane_b32 s16, v7, s3
	s_cbranch_vccz .LBB119_21
; %bb.27:                               ;   in Loop: Header=BB119_22 Depth=1
	s_delay_alu instid0(VALU_DEP_1) | instskip(NEXT) | instid1(SALU_CYCLE_1)
	s_ashr_i32 s17, s16, 31
	s_lshl_b64 s[20:21], s[16:17], 2
	s_delay_alu instid0(SALU_CYCLE_1)
	s_add_u32 s20, s6, s20
	s_addc_u32 s21, s7, s21
	s_load_b32 s3, s[20:21], 0x0
	s_waitcnt lgkmcnt(0)
	v_subrev_f32_e32 v9, s3, v9
	s_branch .LBB119_21
.LBB119_28:
	v_dual_mov_b32 v1, 0 :: v_dual_mov_b32 v4, 0
.LBB119_29:
	s_mov_b32 s2, exec_lo
	v_cmpx_gt_i32_e64 s13, v0
	s_cbranch_execz .LBB119_32
; %bb.30:
	s_clause 0x1
	s_load_b32 s2, s[0:1], 0x34
	s_load_b32 s3, s[0:1], 0x44
	v_max_f32_e32 v3, v4, v4
	s_load_b64 s[0:1], s[0:1], 0x20
	s_ashr_i32 s4, s15, 31
	s_delay_alu instid0(VALU_DEP_1) | instskip(SKIP_1) | instid1(VALU_DEP_1)
	v_max_f32_e32 v3, 0x1e3ce508, v3
	s_waitcnt lgkmcnt(0)
	v_div_scale_f32 v4, null, v3, v3, s2
	v_div_scale_f32 v7, vcc_lo, s2, v3, s2
	s_mul_i32 s1, s15, s1
	s_delay_alu instid0(VALU_DEP_2) | instskip(SKIP_4) | instid1(VALU_DEP_1)
	v_rcp_f32_e32 v5, v4
	s_mul_i32 s4, s4, s0
	s_and_b32 s3, s3, 0xffff
	s_waitcnt_depctr 0xfff
	v_fma_f32 v6, -v4, v5, 1.0
	v_fmac_f32_e32 v5, v6, v5
	s_delay_alu instid0(VALU_DEP_1) | instskip(NEXT) | instid1(VALU_DEP_1)
	v_mul_f32_e32 v6, v7, v5
	v_fma_f32 v8, -v4, v6, v7
	s_delay_alu instid0(VALU_DEP_1) | instskip(NEXT) | instid1(VALU_DEP_1)
	v_fmac_f32_e32 v6, v8, v5
	v_fma_f32 v4, -v4, v6, v7
	s_delay_alu instid0(VALU_DEP_1) | instskip(NEXT) | instid1(VALU_DEP_1)
	v_div_fmas_f32 v4, v4, v5, v6
	v_div_fixup_f32 v3, v4, v3, s2
	s_mul_hi_u32 s2, s15, s0
	s_delay_alu instid0(SALU_CYCLE_1) | instskip(SKIP_1) | instid1(VALU_DEP_1)
	s_add_i32 s1, s2, s1
	s_mul_i32 s2, s15, s0
	v_mul_f32_e32 v2, v2, v3
	s_add_i32 s1, s1, s4
	s_mov_b32 s4, 0
	.p2align	6
.LBB119_31:                             ; =>This Inner Loop Header: Depth=1
	v_ashrrev_i32_e32 v4, 31, v0
	v_add_co_u32 v3, vcc_lo, s2, v0
	v_add_nc_u32_e32 v0, s3, v0
	s_delay_alu instid0(VALU_DEP_3) | instskip(NEXT) | instid1(VALU_DEP_2)
	v_add_co_ci_u32_e32 v4, vcc_lo, s1, v4, vcc_lo
	v_cmp_le_i32_e32 vcc_lo, s13, v0
	s_delay_alu instid0(VALU_DEP_2) | instskip(SKIP_1) | instid1(VALU_DEP_1)
	v_lshlrev_b64 v[3:4], 2, v[3:4]
	s_or_b32 s4, vcc_lo, s4
	v_add_co_u32 v5, s0, s8, v3
	s_delay_alu instid0(VALU_DEP_1) | instskip(SKIP_1) | instid1(VALU_DEP_1)
	v_add_co_ci_u32_e64 v6, s0, s9, v4, s0
	v_add_co_u32 v3, s0, s10, v3
	v_add_co_ci_u32_e64 v4, s0, s11, v4, s0
	global_store_b32 v[5:6], v2, off
	global_store_b32 v[3:4], v1, off
	s_and_not1_b32 exec_lo, exec_lo, s4
	s_cbranch_execnz .LBB119_31
.LBB119_32:
	s_nop 0
	s_sendmsg sendmsg(MSG_DEALLOC_VGPRS)
	s_endpgm
	.section	.rodata,"a",@progbits
	.p2align	6, 0x0
	.amdhsa_kernel _ZN5aiter20topk_softplus_kernelI6__halffDv2_fLb1ELi2EEEvPKT_PKT0_PfPimiiif
		.amdhsa_group_segment_fixed_size 0
		.amdhsa_private_segment_fixed_size 0
		.amdhsa_kernarg_size 312
		.amdhsa_user_sgpr_count 15
		.amdhsa_user_sgpr_dispatch_ptr 0
		.amdhsa_user_sgpr_queue_ptr 0
		.amdhsa_user_sgpr_kernarg_segment_ptr 1
		.amdhsa_user_sgpr_dispatch_id 0
		.amdhsa_user_sgpr_private_segment_size 0
		.amdhsa_wavefront_size32 1
		.amdhsa_uses_dynamic_stack 0
		.amdhsa_enable_private_segment 0
		.amdhsa_system_sgpr_workgroup_id_x 1
		.amdhsa_system_sgpr_workgroup_id_y 0
		.amdhsa_system_sgpr_workgroup_id_z 0
		.amdhsa_system_sgpr_workgroup_info 0
		.amdhsa_system_vgpr_workitem_id 0
		.amdhsa_next_free_vgpr 14
		.amdhsa_next_free_sgpr 23
		.amdhsa_reserve_vcc 1
		.amdhsa_float_round_mode_32 0
		.amdhsa_float_round_mode_16_64 0
		.amdhsa_float_denorm_mode_32 3
		.amdhsa_float_denorm_mode_16_64 3
		.amdhsa_dx10_clamp 1
		.amdhsa_ieee_mode 1
		.amdhsa_fp16_overflow 0
		.amdhsa_workgroup_processor_mode 1
		.amdhsa_memory_ordered 1
		.amdhsa_forward_progress 0
		.amdhsa_shared_vgpr_count 0
		.amdhsa_exception_fp_ieee_invalid_op 0
		.amdhsa_exception_fp_denorm_src 0
		.amdhsa_exception_fp_ieee_div_zero 0
		.amdhsa_exception_fp_ieee_overflow 0
		.amdhsa_exception_fp_ieee_underflow 0
		.amdhsa_exception_fp_ieee_inexact 0
		.amdhsa_exception_int_div_zero 0
	.end_amdhsa_kernel
	.section	.text._ZN5aiter20topk_softplus_kernelI6__halffDv2_fLb1ELi2EEEvPKT_PKT0_PfPimiiif,"axG",@progbits,_ZN5aiter20topk_softplus_kernelI6__halffDv2_fLb1ELi2EEEvPKT_PKT0_PfPimiiif,comdat
.Lfunc_end119:
	.size	_ZN5aiter20topk_softplus_kernelI6__halffDv2_fLb1ELi2EEEvPKT_PKT0_PfPimiiif, .Lfunc_end119-_ZN5aiter20topk_softplus_kernelI6__halffDv2_fLb1ELi2EEEvPKT_PKT0_PfPimiiif
                                        ; -- End function
	.section	.AMDGPU.csdata,"",@progbits
; Kernel info:
; codeLenInByte = 2008
; NumSgprs: 25
; NumVgprs: 14
; ScratchSize: 0
; MemoryBound: 0
; FloatMode: 240
; IeeeMode: 1
; LDSByteSize: 0 bytes/workgroup (compile time only)
; SGPRBlocks: 3
; VGPRBlocks: 1
; NumSGPRsForWavesPerEU: 25
; NumVGPRsForWavesPerEU: 14
; Occupancy: 16
; WaveLimiterHint : 0
; COMPUTE_PGM_RSRC2:SCRATCH_EN: 0
; COMPUTE_PGM_RSRC2:USER_SGPR: 15
; COMPUTE_PGM_RSRC2:TRAP_HANDLER: 0
; COMPUTE_PGM_RSRC2:TGID_X_EN: 1
; COMPUTE_PGM_RSRC2:TGID_Y_EN: 0
; COMPUTE_PGM_RSRC2:TGID_Z_EN: 0
; COMPUTE_PGM_RSRC2:TIDIG_COMP_CNT: 0
	.section	.text._ZN5aiter20topk_softplus_kernelI6__halffDv2_fLb0ELi2EEEvPKT_PKT0_PfPimiiif,"axG",@progbits,_ZN5aiter20topk_softplus_kernelI6__halffDv2_fLb0ELi2EEEvPKT_PKT0_PfPimiiif,comdat
	.protected	_ZN5aiter20topk_softplus_kernelI6__halffDv2_fLb0ELi2EEEvPKT_PKT0_PfPimiiif ; -- Begin function _ZN5aiter20topk_softplus_kernelI6__halffDv2_fLb0ELi2EEEvPKT_PKT0_PfPimiiif
	.globl	_ZN5aiter20topk_softplus_kernelI6__halffDv2_fLb0ELi2EEEvPKT_PKT0_PfPimiiif
	.p2align	8
	.type	_ZN5aiter20topk_softplus_kernelI6__halffDv2_fLb0ELi2EEEvPKT_PKT0_PfPimiiif,@function
_ZN5aiter20topk_softplus_kernelI6__halffDv2_fLb0ELi2EEEvPKT_PKT0_PfPimiiif: ; @_ZN5aiter20topk_softplus_kernelI6__halffDv2_fLb0ELi2EEEvPKT_PKT0_PfPimiiif
; %bb.0:
	s_clause 0x1
	s_load_b64 s[12:13], s[0:1], 0x28
	s_load_b256 s[4:11], s[0:1], 0x0
	v_lshl_add_u32 v3, v0, 3, 0
	s_waitcnt lgkmcnt(0)
	s_lshr_b32 s2, s12, 31
	s_mul_i32 s16, s15, s12
	s_add_i32 s2, s12, s2
	s_ashr_i32 s17, s16, 31
	s_ashr_i32 s14, s2, 1
	s_delay_alu instid0(SALU_CYCLE_1) | instskip(NEXT) | instid1(VALU_DEP_1)
	v_cmp_gt_i32_e64 s2, s14, v0
	s_and_saveexec_b32 s18, s2
	s_cbranch_execz .LBB120_3
; %bb.1:
	s_load_b32 s3, s[0:1], 0x44
	v_lshlrev_b32_e32 v1, 2, v0
	s_lshl_b64 s[20:21], s[16:17], 1
	v_lshl_add_u32 v4, v0, 3, 0
	v_mov_b32_e32 v5, v0
	s_waitcnt lgkmcnt(0)
	s_and_b32 s19, s3, 0xffff
	s_add_u32 s3, s4, s20
	s_addc_u32 s20, s5, s21
	v_add_co_u32 v1, s3, s3, v1
	s_delay_alu instid0(VALU_DEP_1)
	v_add_co_ci_u32_e64 v2, null, s20, 0, s3
	s_mov_b32 s20, 0
	s_lshl_b32 s21, s19, 2
	s_lshl_b32 s22, s19, 3
	.p2align	6
.LBB120_2:                              ; =>This Inner Loop Header: Depth=1
	global_load_b32 v6, v[1:2], off
	v_add_nc_u32_e32 v5, s19, v5
	v_add_co_u32 v1, vcc_lo, v1, s21
	v_add_co_ci_u32_e32 v2, vcc_lo, 0, v2, vcc_lo
	s_delay_alu instid0(VALU_DEP_3) | instskip(NEXT) | instid1(VALU_DEP_1)
	v_cmp_le_i32_e64 s3, s14, v5
	s_or_b32 s20, s3, s20
	s_waitcnt vmcnt(0)
	v_lshrrev_b32_e32 v7, 16, v6
	v_cvt_f32_f16_e32 v6, v6
	s_delay_alu instid0(VALU_DEP_2)
	v_cvt_f32_f16_e32 v7, v7
	ds_store_b64 v4, v[6:7]
	v_add_nc_u32_e32 v4, s22, v4
	s_and_not1_b32 exec_lo, exec_lo, s20
	s_cbranch_execnz .LBB120_2
.LBB120_3:
	s_or_b32 exec_lo, exec_lo, s18
	v_lshl_add_u32 v1, s14, 1, v0
	s_mov_b32 s3, exec_lo
	s_delay_alu instid0(VALU_DEP_1)
	v_cmpx_gt_i32_e64 s12, v1
	s_cbranch_execz .LBB120_6
; %bb.4:
	s_load_b32 s18, s[0:1], 0x44
	s_lshl_b64 s[16:17], s[16:17], 1
	v_lshlrev_b32_e32 v2, 2, v0
	s_add_u32 s4, s4, s16
	s_addc_u32 s5, s5, s17
	s_lshl_b32 s16, s14, 3
	s_mov_b32 s17, 0
	v_add3_u32 v4, 0, s16, v2
	s_waitcnt lgkmcnt(0)
	s_and_b32 s16, s18, 0xffff
	s_delay_alu instid0(SALU_CYCLE_1)
	s_lshl_b32 s18, s16, 2
	.p2align	6
.LBB120_5:                              ; =>This Inner Loop Header: Depth=1
	v_ashrrev_i32_e32 v2, 31, v1
	s_delay_alu instid0(VALU_DEP_1) | instskip(SKIP_1) | instid1(VALU_DEP_2)
	v_lshlrev_b64 v[5:6], 1, v[1:2]
	v_add_nc_u32_e32 v1, s16, v1
	v_add_co_u32 v5, vcc_lo, s4, v5
	s_delay_alu instid0(VALU_DEP_3) | instskip(NEXT) | instid1(VALU_DEP_3)
	v_add_co_ci_u32_e32 v6, vcc_lo, s5, v6, vcc_lo
	v_cmp_le_i32_e32 vcc_lo, s12, v1
	global_load_u16 v2, v[5:6], off
	s_or_b32 s17, vcc_lo, s17
	s_waitcnt vmcnt(0)
	v_cvt_f32_f16_e32 v2, v2
	ds_store_b32 v4, v2
	v_add_nc_u32_e32 v4, s18, v4
	s_and_not1_b32 exec_lo, exec_lo, s17
	s_cbranch_execnz .LBB120_5
.LBB120_6:
	s_or_b32 exec_lo, exec_lo, s3
	v_cmp_gt_i32_e32 vcc_lo, s12, v0
	v_mov_b32_e32 v2, 0xff800000
	s_waitcnt lgkmcnt(0)
	s_barrier
	buffer_gl0_inv
	s_and_saveexec_b32 s4, vcc_lo
	s_cbranch_execz .LBB120_10
; %bb.7:
	s_load_b32 s3, s[0:1], 0x44
	v_lshl_add_u32 v1, v0, 2, 0
	v_mov_b32_e32 v2, 0xff800000
	v_mov_b32_e32 v4, v0
	s_mov_b32 s5, 0
	s_waitcnt lgkmcnt(0)
	s_and_b32 s16, s3, 0xffff
	s_delay_alu instid0(SALU_CYCLE_1)
	s_lshl_b32 s17, s16, 2
.LBB120_8:                              ; =>This Inner Loop Header: Depth=1
	ds_load_b32 v5, v1
	v_add_nc_u32_e32 v4, s16, v4
	v_dual_max_f32 v2, v2, v2 :: v_dual_add_nc_u32 v1, s17, v1
	s_waitcnt lgkmcnt(0)
	v_max_f32_e32 v5, v5, v5
	s_delay_alu instid0(VALU_DEP_3) | instskip(NEXT) | instid1(VALU_DEP_2)
	v_cmp_le_i32_e64 s3, s12, v4
	v_max_f32_e32 v2, v2, v5
	s_delay_alu instid0(VALU_DEP_2) | instskip(NEXT) | instid1(SALU_CYCLE_1)
	s_or_b32 s5, s3, s5
	s_and_not1_b32 exec_lo, exec_lo, s5
	s_cbranch_execnz .LBB120_8
; %bb.9:
	s_or_b32 exec_lo, exec_lo, s5
.LBB120_10:
	s_delay_alu instid0(SALU_CYCLE_1)
	s_or_b32 exec_lo, exec_lo, s4
	v_mov_b32_e32 v1, 0
	;;#ASMSTART
	v_max_f32 v4, v2, v2 quad_perm:[1,0,3,2] row_mask:0xf bank_mask:0xf bound_ctrl:1
	;;#ASMEND
	;;#ASMSTART
	v_max_f32 v2, v4, v4 quad_perm:[2,3,0,1] row_mask:0xf bank_mask:0xf bound_ctrl:1
	;;#ASMEND
	;;#ASMSTART
	v_max_f32 v4, v2, v2 row_half_mirror row_mask:0xf bank_mask:0xf bound_ctrl:1
	;;#ASMEND
	;;#ASMSTART
	v_max_f32 v2, v4, v4 row_mirror row_mask:0xf bank_mask:0xf bound_ctrl:1
	;;#ASMEND
	s_and_saveexec_b32 s4, vcc_lo
	s_cbranch_execz .LBB120_14
; %bb.11:
	s_load_b32 s3, s[0:1], 0x44
	s_mov_b32 s5, 0x76543210
	v_lshl_add_u32 v4, v0, 2, 0
	v_permlanex16_b32 v1, v2, s5, 0xfedcba98 op_sel:[1,1]
	v_mov_b32_e32 v5, v0
	s_mov_b32 s5, 0
	s_delay_alu instid0(VALU_DEP_2) | instskip(NEXT) | instid1(VALU_DEP_1)
	v_dual_max_f32 v2, v2, v2 :: v_dual_max_f32 v1, v1, v1
	v_dual_max_f32 v2, v2, v1 :: v_dual_mov_b32 v1, 0
	s_waitcnt lgkmcnt(0)
	s_and_b32 s16, s3, 0xffff
	s_delay_alu instid0(SALU_CYCLE_1)
	s_lshl_b32 s17, s16, 2
	.p2align	6
.LBB120_12:                             ; =>This Inner Loop Header: Depth=1
	ds_load_b32 v6, v4
	s_waitcnt lgkmcnt(0)
	v_dual_sub_f32 v6, v6, v2 :: v_dual_add_nc_u32 v5, s16, v5
	s_delay_alu instid0(VALU_DEP_1) | instskip(NEXT) | instid1(VALU_DEP_1)
	v_mul_f32_e32 v7, 0x3fb8aa3b, v6
	v_cmp_gt_f32_e64 s3, 0xc2fc0000, v7
	s_delay_alu instid0(VALU_DEP_1) | instskip(NEXT) | instid1(VALU_DEP_1)
	v_cndmask_b32_e64 v7, 0, 0x42800000, s3
	v_fmac_f32_e32 v7, 0x3fb8aa3b, v6
	s_delay_alu instid0(VALU_DEP_1) | instskip(SKIP_2) | instid1(VALU_DEP_1)
	v_exp_f32_e32 v6, v7
	v_cndmask_b32_e64 v7, 1.0, 0x1f800000, s3
	v_cmp_le_i32_e64 s3, s12, v5
	s_or_b32 s5, s3, s5
	s_waitcnt_depctr 0xfff
	v_mul_f32_e32 v8, v6, v7
	v_fmac_f32_e32 v1, v6, v7
	ds_store_b32 v4, v8
	v_add_nc_u32_e32 v4, s17, v4
	s_and_not1_b32 exec_lo, exec_lo, s5
	s_cbranch_execnz .LBB120_12
; %bb.13:
	s_or_b32 exec_lo, exec_lo, s5
.LBB120_14:
	s_delay_alu instid0(SALU_CYCLE_1) | instskip(SKIP_1) | instid1(VALU_DEP_1)
	s_or_b32 exec_lo, exec_lo, s4
	v_mov_b32_dpp v2, v1 quad_perm:[1,0,3,2] row_mask:0xf bank_mask:0xf
	v_add_f32_e32 v1, v1, v2
	s_delay_alu instid0(VALU_DEP_1) | instskip(NEXT) | instid1(VALU_DEP_1)
	v_mov_b32_dpp v2, v1 quad_perm:[2,3,0,1] row_mask:0xf bank_mask:0xf
	v_add_f32_e32 v1, v1, v2
	s_delay_alu instid0(VALU_DEP_1) | instskip(NEXT) | instid1(VALU_DEP_1)
	v_mov_b32_dpp v2, v1 row_xmask:7 row_mask:0xf bank_mask:0xf
	v_add_f32_e32 v1, v1, v2
	s_delay_alu instid0(VALU_DEP_1)
	v_mov_b32_dpp v2, v1 row_xmask:15 row_mask:0xf bank_mask:0xf
	s_and_saveexec_b32 s3, vcc_lo
	s_cbranch_execz .LBB120_19
; %bb.15:
	s_delay_alu instid0(VALU_DEP_1)
	v_add_f32_e32 v1, v1, v2
	s_load_b32 s5, s[0:1], 0x44
	s_mov_b32 s4, 0x76543210
	s_cmp_lg_u64 s[6:7], 0
	v_lshl_add_u32 v5, v0, 2, 0
	v_permlanex16_b32 v2, v1, s4, 0xfedcba98 op_sel:[1,1]
	s_cselect_b32 s4, -1, 0
	s_mov_b32 s16, 0
	s_delay_alu instid0(VALU_DEP_1) | instskip(NEXT) | instid1(VALU_DEP_1)
	v_add_f32_e32 v1, v1, v2
	v_rcp_f32_e32 v4, v1
	v_mov_b32_e32 v1, v0
	s_waitcnt lgkmcnt(0)
	s_and_b32 s5, s5, 0xffff
	s_delay_alu instid0(SALU_CYCLE_1)
	s_lshl_b32 s17, s5, 2
	s_set_inst_prefetch_distance 0x1
	s_branch .LBB120_17
	.p2align	6
.LBB120_16:                             ;   in Loop: Header=BB120_17 Depth=1
	v_add_nc_u32_e32 v1, s5, v1
	v_add_nc_u32_e32 v5, s17, v5
	s_delay_alu instid0(VALU_DEP_2) | instskip(SKIP_1) | instid1(SALU_CYCLE_1)
	v_cmp_le_i32_e32 vcc_lo, s12, v1
	s_or_b32 s16, vcc_lo, s16
	s_and_not1_b32 exec_lo, exec_lo, s16
	s_cbranch_execz .LBB120_19
.LBB120_17:                             ; =>This Inner Loop Header: Depth=1
	ds_load_b32 v2, v5
	s_and_not1_b32 vcc_lo, exec_lo, s4
	s_waitcnt lgkmcnt(0)
	v_mul_f32_e32 v6, v4, v2
	ds_store_b32 v5, v6
	s_cbranch_vccnz .LBB120_16
; %bb.18:                               ;   in Loop: Header=BB120_17 Depth=1
	v_ashrrev_i32_e32 v2, 31, v1
	s_delay_alu instid0(VALU_DEP_1) | instskip(NEXT) | instid1(VALU_DEP_1)
	v_lshlrev_b64 v[7:8], 2, v[1:2]
	v_add_co_u32 v7, vcc_lo, s6, v7
	s_delay_alu instid0(VALU_DEP_2)
	v_add_co_ci_u32_e32 v8, vcc_lo, s7, v8, vcc_lo
	global_load_b32 v2, v[7:8], off
	s_waitcnt vmcnt(0)
	v_add_f32_e32 v2, v6, v2
	ds_store_b32 v5, v2
	s_branch .LBB120_16
.LBB120_19:
	s_set_inst_prefetch_distance 0x2
	s_or_b32 exec_lo, exec_lo, s3
	s_cmp_lt_i32 s13, 1
	s_waitcnt lgkmcnt(0)
	s_barrier
	buffer_gl0_inv
	s_cbranch_scc1 .LBB120_28
; %bb.20:
	s_add_u32 s4, s0, 56
	s_addc_u32 s5, s1, 0
	v_dual_mov_b32 v1, 0 :: v_dual_lshlrev_b32 v4, 1, v0
	v_dual_mov_b32 v2, 0 :: v_dual_mov_b32 v5, 0xff800000
	s_cmp_lg_u64 s[6:7], 0
	s_mov_b32 s18, 0
	s_cselect_b32 s12, -1, 0
	s_mov_b32 s19, 0x76543210
	s_branch .LBB120_22
.LBB120_21:                             ;   in Loop: Header=BB120_22 Depth=1
	v_cmp_eq_u32_e32 vcc_lo, s18, v0
	s_delay_alu instid0(VALU_DEP_2)
	s_lshl_b32 s3, s16, 2
	s_add_i32 s18, s18, 1
	s_add_i32 s3, s3, 0
	s_cmp_eq_u32 s18, s13
	v_cndmask_b32_e64 v1, v1, s16, vcc_lo
	v_mov_b32_e32 v6, s3
	v_cndmask_b32_e32 v2, v2, v8, vcc_lo
	ds_store_b32 v6, v5
	s_cbranch_scc1 .LBB120_29
.LBB120_22:                             ; =>This Loop Header: Depth=1
                                        ;     Child Loop BB120_24 Depth 2
	v_dual_mov_b32 v6, s18 :: v_dual_mov_b32 v7, 0xff800000
	s_and_saveexec_b32 s16, s2
	s_cbranch_execz .LBB120_26
; %bb.23:                               ;   in Loop: Header=BB120_22 Depth=1
	s_load_b32 s3, s[4:5], 0xc
	v_dual_mov_b32 v6, s18 :: v_dual_mov_b32 v7, 0xff800000
	v_dual_mov_b32 v8, v3 :: v_dual_mov_b32 v9, v4
	v_mov_b32_e32 v10, v0
	s_mov_b32 s21, 0
	s_waitcnt lgkmcnt(0)
	s_and_b32 s17, s3, 0xffff
	s_delay_alu instid0(SALU_CYCLE_1)
	s_lshl_b32 s20, s17, 1
	s_lshl_b32 s22, s17, 3
	.p2align	6
.LBB120_24:                             ;   Parent Loop BB120_22 Depth=1
                                        ; =>  This Inner Loop Header: Depth=2
	ds_load_b64 v[11:12], v8
	v_add_nc_u32_e32 v8, s22, v8
	v_add_nc_u32_e32 v10, s17, v10
	s_delay_alu instid0(VALU_DEP_1) | instskip(NEXT) | instid1(VALU_DEP_1)
	v_cmp_le_i32_e64 s3, s14, v10
	s_or_b32 s21, s3, s21
	s_waitcnt lgkmcnt(0)
	v_cmp_gt_f32_e32 vcc_lo, v11, v7
	v_cndmask_b32_e32 v7, v7, v11, vcc_lo
	v_add_nc_u32_e32 v11, 1, v9
	v_cndmask_b32_e32 v6, v6, v9, vcc_lo
	s_delay_alu instid0(VALU_DEP_3) | instskip(SKIP_1) | instid1(VALU_DEP_3)
	v_cmp_gt_f32_e32 vcc_lo, v12, v7
	v_cndmask_b32_e32 v7, v7, v12, vcc_lo
	v_dual_cndmask_b32 v6, v6, v11 :: v_dual_add_nc_u32 v9, s20, v9
	s_and_not1_b32 exec_lo, exec_lo, s21
	s_cbranch_execnz .LBB120_24
; %bb.25:                               ;   in Loop: Header=BB120_22 Depth=1
	s_or_b32 exec_lo, exec_lo, s21
.LBB120_26:                             ;   in Loop: Header=BB120_22 Depth=1
	s_delay_alu instid0(SALU_CYCLE_1)
	s_or_b32 exec_lo, exec_lo, s16
	;;#ASMSTART
	v_max_f32 v8, v7, v7 quad_perm:[1,0,3,2] row_mask:0xf bank_mask:0xf bound_ctrl:1
	;;#ASMEND
	;;#ASMSTART
	v_max_f32 v9, v8, v8 quad_perm:[2,3,0,1] row_mask:0xf bank_mask:0xf bound_ctrl:1
	;;#ASMEND
	;;#ASMSTART
	v_max_f32 v8, v9, v9 row_half_mirror row_mask:0xf bank_mask:0xf bound_ctrl:1
	;;#ASMEND
	;;#ASMSTART
	v_max_f32 v9, v8, v8 row_mirror row_mask:0xf bank_mask:0xf bound_ctrl:1
	;;#ASMEND
	v_permlanex16_b32 v8, v9, s19, 0xfedcba98 op_sel:[1,1]
	s_delay_alu instid0(VALU_DEP_1) | instskip(NEXT) | instid1(VALU_DEP_1)
	v_dual_max_f32 v9, v9, v9 :: v_dual_max_f32 v8, v8, v8
	v_max_f32_e32 v8, v9, v8
	s_delay_alu instid0(VALU_DEP_1)
	v_cmp_eq_f32_e32 vcc_lo, v7, v8
	s_ctz_i32_b32 s3, vcc_lo
	s_cmp_lg_u32 vcc_lo, 0
	s_cselect_b32 s3, s3, 0
	s_and_b32 vcc_lo, exec_lo, s12
	v_readlane_b32 s16, v6, s3
	s_cbranch_vccz .LBB120_21
; %bb.27:                               ;   in Loop: Header=BB120_22 Depth=1
	s_delay_alu instid0(VALU_DEP_1) | instskip(NEXT) | instid1(SALU_CYCLE_1)
	s_ashr_i32 s17, s16, 31
	s_lshl_b64 s[20:21], s[16:17], 2
	s_delay_alu instid0(SALU_CYCLE_1)
	s_add_u32 s20, s6, s20
	s_addc_u32 s21, s7, s21
	s_load_b32 s3, s[20:21], 0x0
	s_waitcnt lgkmcnt(0)
	v_subrev_f32_e32 v8, s3, v8
	s_branch .LBB120_21
.LBB120_28:
	v_dual_mov_b32 v2, 0 :: v_dual_mov_b32 v1, 0
.LBB120_29:
	s_mov_b32 s2, exec_lo
	v_cmpx_gt_i32_e64 s13, v0
	s_cbranch_execz .LBB120_32
; %bb.30:
	s_clause 0x2
	s_load_b32 s4, s[0:1], 0x34
	s_load_b64 s[2:3], s[0:1], 0x20
	s_load_b32 s0, s[0:1], 0x44
	s_ashr_i32 s1, s15, 31
	s_waitcnt lgkmcnt(0)
	v_mul_f32_e32 v2, s4, v2
	s_mul_i32 s3, s15, s3
	s_mul_hi_u32 s4, s15, s2
	s_mul_i32 s5, s1, s2
	s_add_i32 s3, s4, s3
	s_mul_i32 s1, s15, s2
	s_and_b32 s2, s0, 0xffff
	s_add_i32 s3, s3, s5
	s_mov_b32 s4, 0
	.p2align	6
.LBB120_31:                             ; =>This Inner Loop Header: Depth=1
	v_ashrrev_i32_e32 v4, 31, v0
	v_add_co_u32 v3, vcc_lo, s1, v0
	v_add_nc_u32_e32 v0, s2, v0
	s_delay_alu instid0(VALU_DEP_3) | instskip(NEXT) | instid1(VALU_DEP_2)
	v_add_co_ci_u32_e32 v4, vcc_lo, s3, v4, vcc_lo
	v_cmp_le_i32_e32 vcc_lo, s13, v0
	s_delay_alu instid0(VALU_DEP_2) | instskip(SKIP_1) | instid1(VALU_DEP_1)
	v_lshlrev_b64 v[3:4], 2, v[3:4]
	s_or_b32 s4, vcc_lo, s4
	v_add_co_u32 v5, s0, s8, v3
	s_delay_alu instid0(VALU_DEP_1) | instskip(SKIP_1) | instid1(VALU_DEP_1)
	v_add_co_ci_u32_e64 v6, s0, s9, v4, s0
	v_add_co_u32 v3, s0, s10, v3
	v_add_co_ci_u32_e64 v4, s0, s11, v4, s0
	global_store_b32 v[5:6], v2, off
	global_store_b32 v[3:4], v1, off
	s_and_not1_b32 exec_lo, exec_lo, s4
	s_cbranch_execnz .LBB120_31
.LBB120_32:
	s_nop 0
	s_sendmsg sendmsg(MSG_DEALLOC_VGPRS)
	s_endpgm
	.section	.rodata,"a",@progbits
	.p2align	6, 0x0
	.amdhsa_kernel _ZN5aiter20topk_softplus_kernelI6__halffDv2_fLb0ELi2EEEvPKT_PKT0_PfPimiiif
		.amdhsa_group_segment_fixed_size 0
		.amdhsa_private_segment_fixed_size 0
		.amdhsa_kernarg_size 312
		.amdhsa_user_sgpr_count 15
		.amdhsa_user_sgpr_dispatch_ptr 0
		.amdhsa_user_sgpr_queue_ptr 0
		.amdhsa_user_sgpr_kernarg_segment_ptr 1
		.amdhsa_user_sgpr_dispatch_id 0
		.amdhsa_user_sgpr_private_segment_size 0
		.amdhsa_wavefront_size32 1
		.amdhsa_uses_dynamic_stack 0
		.amdhsa_enable_private_segment 0
		.amdhsa_system_sgpr_workgroup_id_x 1
		.amdhsa_system_sgpr_workgroup_id_y 0
		.amdhsa_system_sgpr_workgroup_id_z 0
		.amdhsa_system_sgpr_workgroup_info 0
		.amdhsa_system_vgpr_workitem_id 0
		.amdhsa_next_free_vgpr 13
		.amdhsa_next_free_sgpr 23
		.amdhsa_reserve_vcc 1
		.amdhsa_float_round_mode_32 0
		.amdhsa_float_round_mode_16_64 0
		.amdhsa_float_denorm_mode_32 3
		.amdhsa_float_denorm_mode_16_64 3
		.amdhsa_dx10_clamp 1
		.amdhsa_ieee_mode 1
		.amdhsa_fp16_overflow 0
		.amdhsa_workgroup_processor_mode 1
		.amdhsa_memory_ordered 1
		.amdhsa_forward_progress 0
		.amdhsa_shared_vgpr_count 0
		.amdhsa_exception_fp_ieee_invalid_op 0
		.amdhsa_exception_fp_denorm_src 0
		.amdhsa_exception_fp_ieee_div_zero 0
		.amdhsa_exception_fp_ieee_overflow 0
		.amdhsa_exception_fp_ieee_underflow 0
		.amdhsa_exception_fp_ieee_inexact 0
		.amdhsa_exception_int_div_zero 0
	.end_amdhsa_kernel
	.section	.text._ZN5aiter20topk_softplus_kernelI6__halffDv2_fLb0ELi2EEEvPKT_PKT0_PfPimiiif,"axG",@progbits,_ZN5aiter20topk_softplus_kernelI6__halffDv2_fLb0ELi2EEEvPKT_PKT0_PfPimiiif,comdat
.Lfunc_end120:
	.size	_ZN5aiter20topk_softplus_kernelI6__halffDv2_fLb0ELi2EEEvPKT_PKT0_PfPimiiif, .Lfunc_end120-_ZN5aiter20topk_softplus_kernelI6__halffDv2_fLb0ELi2EEEvPKT_PKT0_PfPimiiif
                                        ; -- End function
	.section	.AMDGPU.csdata,"",@progbits
; Kernel info:
; codeLenInByte = 1884
; NumSgprs: 25
; NumVgprs: 13
; ScratchSize: 0
; MemoryBound: 0
; FloatMode: 240
; IeeeMode: 1
; LDSByteSize: 0 bytes/workgroup (compile time only)
; SGPRBlocks: 3
; VGPRBlocks: 1
; NumSGPRsForWavesPerEU: 25
; NumVGPRsForWavesPerEU: 13
; Occupancy: 16
; WaveLimiterHint : 0
; COMPUTE_PGM_RSRC2:SCRATCH_EN: 0
; COMPUTE_PGM_RSRC2:USER_SGPR: 15
; COMPUTE_PGM_RSRC2:TRAP_HANDLER: 0
; COMPUTE_PGM_RSRC2:TGID_X_EN: 1
; COMPUTE_PGM_RSRC2:TGID_Y_EN: 0
; COMPUTE_PGM_RSRC2:TGID_Z_EN: 0
; COMPUTE_PGM_RSRC2:TIDIG_COMP_CNT: 0
	.section	.text._ZN5aiter20topk_softplus_kernelI6__halffDv1_fLb1ELi2EEEvPKT_PKT0_PfPimiiif,"axG",@progbits,_ZN5aiter20topk_softplus_kernelI6__halffDv1_fLb1ELi2EEEvPKT_PKT0_PfPimiiif,comdat
	.protected	_ZN5aiter20topk_softplus_kernelI6__halffDv1_fLb1ELi2EEEvPKT_PKT0_PfPimiiif ; -- Begin function _ZN5aiter20topk_softplus_kernelI6__halffDv1_fLb1ELi2EEEvPKT_PKT0_PfPimiiif
	.globl	_ZN5aiter20topk_softplus_kernelI6__halffDv1_fLb1ELi2EEEvPKT_PKT0_PfPimiiif
	.p2align	8
	.type	_ZN5aiter20topk_softplus_kernelI6__halffDv1_fLb1ELi2EEEvPKT_PKT0_PfPimiiif,@function
_ZN5aiter20topk_softplus_kernelI6__halffDv1_fLb1ELi2EEEvPKT_PKT0_PfPimiiif: ; @_ZN5aiter20topk_softplus_kernelI6__halffDv1_fLb1ELi2EEEvPKT_PKT0_PfPimiiif
; %bb.0:
	s_clause 0x1
	s_load_b64 s[12:13], s[0:1], 0x28
	s_load_b256 s[4:11], s[0:1], 0x0
	v_lshl_add_u32 v3, v0, 2, 0
	s_waitcnt lgkmcnt(0)
	s_mul_i32 s16, s15, s12
	v_cmp_gt_i32_e64 s2, s12, v0
	s_ashr_i32 s17, s16, 31
	s_delay_alu instid0(SALU_CYCLE_1) | instskip(NEXT) | instid1(SALU_CYCLE_1)
	s_lshl_b64 s[16:17], s[16:17], 1
	s_add_u32 s3, s4, s16
	s_addc_u32 s4, s5, s17
	s_and_saveexec_b32 s5, s2
	s_cbranch_execz .LBB121_3
; %bb.1:
	s_load_b32 s14, s[0:1], 0x44
	v_lshl_add_u32 v4, v0, 2, 0
	v_mov_b32_e32 v1, v0
	s_mov_b32 s16, 0
	s_waitcnt lgkmcnt(0)
	s_and_b32 s14, s14, 0xffff
	s_delay_alu instid0(SALU_CYCLE_1)
	s_lshl_b32 s17, s14, 2
	.p2align	6
.LBB121_2:                              ; =>This Inner Loop Header: Depth=1
	v_ashrrev_i32_e32 v2, 31, v1
	s_delay_alu instid0(VALU_DEP_1) | instskip(SKIP_1) | instid1(VALU_DEP_2)
	v_lshlrev_b64 v[5:6], 1, v[1:2]
	v_add_nc_u32_e32 v1, s14, v1
	v_add_co_u32 v5, vcc_lo, s3, v5
	s_delay_alu instid0(VALU_DEP_3) | instskip(NEXT) | instid1(VALU_DEP_3)
	v_add_co_ci_u32_e32 v6, vcc_lo, s4, v6, vcc_lo
	v_cmp_le_i32_e32 vcc_lo, s12, v1
	global_load_u16 v2, v[5:6], off
	s_or_b32 s16, vcc_lo, s16
	s_waitcnt vmcnt(0)
	v_cvt_f32_f16_e32 v2, v2
	ds_store_b32 v4, v2
	v_add_nc_u32_e32 v4, s17, v4
	s_and_not1_b32 exec_lo, exec_lo, s16
	s_cbranch_execnz .LBB121_2
.LBB121_3:
	s_or_b32 exec_lo, exec_lo, s5
	v_add_nc_u32_e32 v1, s12, v0
	s_mov_b32 s5, exec_lo
	s_delay_alu instid0(VALU_DEP_1)
	v_cmpx_gt_i32_e64 s12, v1
	s_cbranch_execz .LBB121_6
; %bb.4:
	s_load_b32 s14, s[0:1], 0x44
	v_lshl_add_u32 v4, v1, 2, 0
	s_mov_b32 s16, 0
	s_waitcnt lgkmcnt(0)
	s_and_b32 s14, s14, 0xffff
	s_delay_alu instid0(SALU_CYCLE_1)
	s_lshl_b32 s17, s14, 2
	.p2align	6
.LBB121_5:                              ; =>This Inner Loop Header: Depth=1
	v_ashrrev_i32_e32 v2, 31, v1
	s_delay_alu instid0(VALU_DEP_1) | instskip(SKIP_1) | instid1(VALU_DEP_2)
	v_lshlrev_b64 v[5:6], 1, v[1:2]
	v_add_nc_u32_e32 v1, s14, v1
	v_add_co_u32 v5, vcc_lo, s3, v5
	s_delay_alu instid0(VALU_DEP_3) | instskip(NEXT) | instid1(VALU_DEP_3)
	v_add_co_ci_u32_e32 v6, vcc_lo, s4, v6, vcc_lo
	v_cmp_le_i32_e32 vcc_lo, s12, v1
	global_load_u16 v2, v[5:6], off
	s_or_b32 s16, vcc_lo, s16
	s_waitcnt vmcnt(0)
	v_cvt_f32_f16_e32 v2, v2
	ds_store_b32 v4, v2
	v_add_nc_u32_e32 v4, s17, v4
	s_and_not1_b32 exec_lo, exec_lo, s16
	s_cbranch_execnz .LBB121_5
.LBB121_6:
	s_or_b32 exec_lo, exec_lo, s5
	v_mov_b32_e32 v2, 0xff800000
	s_waitcnt lgkmcnt(0)
	s_barrier
	buffer_gl0_inv
	s_and_saveexec_b32 s3, s2
	s_cbranch_execz .LBB121_10
; %bb.7:
	s_load_b32 s4, s[0:1], 0x44
	v_lshl_add_u32 v1, v0, 2, 0
	v_mov_b32_e32 v2, 0xff800000
	v_mov_b32_e32 v4, v0
	s_waitcnt lgkmcnt(0)
	s_and_b32 s5, s4, 0xffff
	s_mov_b32 s4, 0
	s_lshl_b32 s14, s5, 2
.LBB121_8:                              ; =>This Inner Loop Header: Depth=1
	ds_load_b32 v5, v1
	v_add_nc_u32_e32 v4, s5, v4
	v_dual_max_f32 v2, v2, v2 :: v_dual_add_nc_u32 v1, s14, v1
	s_waitcnt lgkmcnt(0)
	v_max_f32_e32 v5, v5, v5
	s_delay_alu instid0(VALU_DEP_3) | instskip(NEXT) | instid1(VALU_DEP_2)
	v_cmp_le_i32_e32 vcc_lo, s12, v4
	v_max_f32_e32 v2, v2, v5
	s_or_b32 s4, vcc_lo, s4
	s_delay_alu instid0(SALU_CYCLE_1)
	s_and_not1_b32 exec_lo, exec_lo, s4
	s_cbranch_execnz .LBB121_8
; %bb.9:
	s_or_b32 exec_lo, exec_lo, s4
.LBB121_10:
	s_delay_alu instid0(SALU_CYCLE_1)
	s_or_b32 exec_lo, exec_lo, s3
	v_mov_b32_e32 v1, 0
	;;#ASMSTART
	v_max_f32 v4, v2, v2 quad_perm:[1,0,3,2] row_mask:0xf bank_mask:0xf bound_ctrl:1
	;;#ASMEND
	;;#ASMSTART
	v_max_f32 v2, v4, v4 quad_perm:[2,3,0,1] row_mask:0xf bank_mask:0xf bound_ctrl:1
	;;#ASMEND
	;;#ASMSTART
	v_max_f32 v4, v2, v2 row_half_mirror row_mask:0xf bank_mask:0xf bound_ctrl:1
	;;#ASMEND
	;;#ASMSTART
	v_max_f32 v2, v4, v4 row_mirror row_mask:0xf bank_mask:0xf bound_ctrl:1
	;;#ASMEND
	s_and_saveexec_b32 s3, s2
	s_cbranch_execz .LBB121_14
; %bb.11:
	s_load_b32 s4, s[0:1], 0x44
	s_mov_b32 s5, 0x76543210
	v_lshl_add_u32 v4, v0, 2, 0
	v_permlanex16_b32 v1, v2, s5, 0xfedcba98 op_sel:[1,1]
	v_dual_mov_b32 v5, v0 :: v_dual_max_f32 v2, v2, v2
	s_delay_alu instid0(VALU_DEP_2) | instskip(NEXT) | instid1(VALU_DEP_1)
	v_max_f32_e32 v1, v1, v1
	v_dual_max_f32 v2, v2, v1 :: v_dual_mov_b32 v1, 0
	s_waitcnt lgkmcnt(0)
	s_and_b32 s5, s4, 0xffff
	s_mov_b32 s4, 0
	s_lshl_b32 s14, s5, 2
	.p2align	6
.LBB121_12:                             ; =>This Inner Loop Header: Depth=1
	ds_load_b32 v6, v4
	s_waitcnt lgkmcnt(0)
	v_dual_sub_f32 v6, v6, v2 :: v_dual_add_nc_u32 v5, s5, v5
	s_delay_alu instid0(VALU_DEP_1) | instskip(NEXT) | instid1(VALU_DEP_1)
	v_mul_f32_e32 v7, 0x3fb8aa3b, v6
	v_cmp_gt_f32_e32 vcc_lo, 0xc2fc0000, v7
	v_cndmask_b32_e64 v7, 0, 0x42800000, vcc_lo
	s_delay_alu instid0(VALU_DEP_1) | instskip(NEXT) | instid1(VALU_DEP_1)
	v_fmac_f32_e32 v7, 0x3fb8aa3b, v6
	v_exp_f32_e32 v6, v7
	v_cndmask_b32_e64 v7, 1.0, 0x1f800000, vcc_lo
	v_cmp_le_i32_e32 vcc_lo, s12, v5
	s_or_b32 s4, vcc_lo, s4
	s_waitcnt_depctr 0xfff
	v_mul_f32_e32 v8, v6, v7
	v_fmac_f32_e32 v1, v6, v7
	ds_store_b32 v4, v8
	v_add_nc_u32_e32 v4, s14, v4
	s_and_not1_b32 exec_lo, exec_lo, s4
	s_cbranch_execnz .LBB121_12
; %bb.13:
	s_or_b32 exec_lo, exec_lo, s4
.LBB121_14:
	s_delay_alu instid0(SALU_CYCLE_1) | instskip(SKIP_1) | instid1(VALU_DEP_1)
	s_or_b32 exec_lo, exec_lo, s3
	v_mov_b32_dpp v2, v1 quad_perm:[1,0,3,2] row_mask:0xf bank_mask:0xf
	v_add_f32_e32 v1, v1, v2
	s_delay_alu instid0(VALU_DEP_1) | instskip(NEXT) | instid1(VALU_DEP_1)
	v_mov_b32_dpp v2, v1 quad_perm:[2,3,0,1] row_mask:0xf bank_mask:0xf
	v_add_f32_e32 v1, v1, v2
	s_delay_alu instid0(VALU_DEP_1) | instskip(NEXT) | instid1(VALU_DEP_1)
	v_mov_b32_dpp v2, v1 row_xmask:7 row_mask:0xf bank_mask:0xf
	v_add_f32_e32 v1, v1, v2
	s_delay_alu instid0(VALU_DEP_1)
	v_mov_b32_dpp v2, v1 row_xmask:15 row_mask:0xf bank_mask:0xf
	s_and_saveexec_b32 s3, s2
	s_cbranch_execz .LBB121_19
; %bb.15:
	s_delay_alu instid0(VALU_DEP_1)
	v_add_f32_e32 v1, v1, v2
	s_load_b32 s5, s[0:1], 0x44
	s_mov_b32 s4, 0x76543210
	s_cmp_lg_u64 s[6:7], 0
	v_lshl_add_u32 v5, v0, 2, 0
	v_permlanex16_b32 v2, v1, s4, 0xfedcba98 op_sel:[1,1]
	s_cselect_b32 s4, -1, 0
	s_mov_b32 s14, 0
	s_delay_alu instid0(VALU_DEP_1) | instskip(NEXT) | instid1(VALU_DEP_1)
	v_add_f32_e32 v1, v1, v2
	v_rcp_f32_e32 v4, v1
	v_mov_b32_e32 v1, v0
	s_waitcnt lgkmcnt(0)
	s_and_b32 s5, s5, 0xffff
	s_delay_alu instid0(SALU_CYCLE_1)
	s_lshl_b32 s16, s5, 2
	s_set_inst_prefetch_distance 0x1
	s_branch .LBB121_17
	.p2align	6
.LBB121_16:                             ;   in Loop: Header=BB121_17 Depth=1
	v_add_nc_u32_e32 v1, s5, v1
	v_add_nc_u32_e32 v5, s16, v5
	s_delay_alu instid0(VALU_DEP_2) | instskip(SKIP_1) | instid1(SALU_CYCLE_1)
	v_cmp_le_i32_e32 vcc_lo, s12, v1
	s_or_b32 s14, vcc_lo, s14
	s_and_not1_b32 exec_lo, exec_lo, s14
	s_cbranch_execz .LBB121_19
.LBB121_17:                             ; =>This Inner Loop Header: Depth=1
	ds_load_b32 v2, v5
	s_and_not1_b32 vcc_lo, exec_lo, s4
	s_waitcnt lgkmcnt(0)
	v_mul_f32_e32 v6, v4, v2
	ds_store_b32 v5, v6
	s_cbranch_vccnz .LBB121_16
; %bb.18:                               ;   in Loop: Header=BB121_17 Depth=1
	v_ashrrev_i32_e32 v2, 31, v1
	s_delay_alu instid0(VALU_DEP_1) | instskip(NEXT) | instid1(VALU_DEP_1)
	v_lshlrev_b64 v[7:8], 2, v[1:2]
	v_add_co_u32 v7, vcc_lo, s6, v7
	s_delay_alu instid0(VALU_DEP_2)
	v_add_co_ci_u32_e32 v8, vcc_lo, s7, v8, vcc_lo
	global_load_b32 v2, v[7:8], off
	s_waitcnt vmcnt(0)
	v_add_f32_e32 v2, v6, v2
	ds_store_b32 v5, v2
	s_branch .LBB121_16
.LBB121_19:
	s_set_inst_prefetch_distance 0x2
	s_or_b32 exec_lo, exec_lo, s3
	v_mov_b32_e32 v2, 0
	s_cmp_lt_i32 s13, 1
	s_waitcnt lgkmcnt(0)
	s_barrier
	buffer_gl0_inv
	s_cbranch_scc1 .LBB121_28
; %bb.20:
	s_add_u32 s4, s0, 56
	s_addc_u32 s5, s1, 0
	v_dual_mov_b32 v2, 0 :: v_dual_mov_b32 v5, 0xff800000
	v_dual_mov_b32 v1, 0 :: v_dual_mov_b32 v4, 0
	s_cmp_lg_u64 s[6:7], 0
	s_mov_b32 s14, 0
	s_cselect_b32 s3, -1, 0
	s_mov_b32 s18, 0x76543210
	s_branch .LBB121_22
.LBB121_21:                             ;   in Loop: Header=BB121_22 Depth=1
	v_cmp_eq_u32_e32 vcc_lo, s14, v0
	s_delay_alu instid0(VALU_DEP_2) | instskip(NEXT) | instid1(VALU_DEP_2)
	s_lshl_b32 s17, s16, 2
	v_add_f32_e32 v4, v4, v8
	s_add_i32 s17, s17, 0
	s_add_i32 s14, s14, 1
	v_cndmask_b32_e64 v1, v1, s16, vcc_lo
	v_mov_b32_e32 v6, s17
	v_cndmask_b32_e32 v2, v2, v8, vcc_lo
	s_cmp_eq_u32 s14, s13
	ds_store_b32 v6, v5
	s_cbranch_scc1 .LBB121_29
.LBB121_22:                             ; =>This Loop Header: Depth=1
                                        ;     Child Loop BB121_24 Depth 2
	v_dual_mov_b32 v6, s14 :: v_dual_mov_b32 v7, 0xff800000
	s_and_saveexec_b32 s16, s2
	s_cbranch_execz .LBB121_26
; %bb.23:                               ;   in Loop: Header=BB121_22 Depth=1
	s_load_b32 s17, s[4:5], 0xc
	v_dual_mov_b32 v6, s14 :: v_dual_mov_b32 v7, 0xff800000
	v_dual_mov_b32 v8, v3 :: v_dual_mov_b32 v9, v0
	s_mov_b32 s19, 0
	s_waitcnt lgkmcnt(0)
	s_and_b32 s17, s17, 0xffff
	s_delay_alu instid0(SALU_CYCLE_1)
	s_lshl_b32 s20, s17, 2
.LBB121_24:                             ;   Parent Loop BB121_22 Depth=1
                                        ; =>  This Inner Loop Header: Depth=2
	ds_load_b32 v10, v8
	v_add_nc_u32_e32 v8, s20, v8
	s_waitcnt lgkmcnt(0)
	v_cmp_gt_f32_e32 vcc_lo, v10, v7
	v_dual_cndmask_b32 v7, v7, v10 :: v_dual_cndmask_b32 v6, v6, v9
	v_add_nc_u32_e32 v9, s17, v9
	s_delay_alu instid0(VALU_DEP_1) | instskip(SKIP_1) | instid1(SALU_CYCLE_1)
	v_cmp_le_i32_e32 vcc_lo, s12, v9
	s_or_b32 s19, vcc_lo, s19
	s_and_not1_b32 exec_lo, exec_lo, s19
	s_cbranch_execnz .LBB121_24
; %bb.25:                               ;   in Loop: Header=BB121_22 Depth=1
	s_or_b32 exec_lo, exec_lo, s19
.LBB121_26:                             ;   in Loop: Header=BB121_22 Depth=1
	s_delay_alu instid0(SALU_CYCLE_1)
	s_or_b32 exec_lo, exec_lo, s16
	;;#ASMSTART
	v_max_f32 v8, v7, v7 quad_perm:[1,0,3,2] row_mask:0xf bank_mask:0xf bound_ctrl:1
	;;#ASMEND
	;;#ASMSTART
	v_max_f32 v9, v8, v8 quad_perm:[2,3,0,1] row_mask:0xf bank_mask:0xf bound_ctrl:1
	;;#ASMEND
	;;#ASMSTART
	v_max_f32 v8, v9, v9 row_half_mirror row_mask:0xf bank_mask:0xf bound_ctrl:1
	;;#ASMEND
	;;#ASMSTART
	v_max_f32 v9, v8, v8 row_mirror row_mask:0xf bank_mask:0xf bound_ctrl:1
	;;#ASMEND
	v_permlanex16_b32 v8, v9, s18, 0xfedcba98 op_sel:[1,1]
	s_delay_alu instid0(VALU_DEP_1) | instskip(NEXT) | instid1(VALU_DEP_1)
	v_dual_max_f32 v9, v9, v9 :: v_dual_max_f32 v8, v8, v8
	v_max_f32_e32 v8, v9, v8
	s_delay_alu instid0(VALU_DEP_1)
	v_cmp_eq_f32_e32 vcc_lo, v7, v8
	s_ctz_i32_b32 s16, vcc_lo
	s_cmp_lg_u32 vcc_lo, 0
	s_cselect_b32 s16, s16, 0
	s_and_b32 vcc_lo, exec_lo, s3
	v_readlane_b32 s16, v6, s16
	s_cbranch_vccz .LBB121_21
; %bb.27:                               ;   in Loop: Header=BB121_22 Depth=1
	s_delay_alu instid0(VALU_DEP_1) | instskip(NEXT) | instid1(SALU_CYCLE_1)
	s_ashr_i32 s17, s16, 31
	s_lshl_b64 s[20:21], s[16:17], 2
	s_delay_alu instid0(SALU_CYCLE_1)
	s_add_u32 s20, s6, s20
	s_addc_u32 s21, s7, s21
	s_load_b32 s17, s[20:21], 0x0
	s_waitcnt lgkmcnt(0)
	v_subrev_f32_e32 v8, s17, v8
	s_branch .LBB121_21
.LBB121_28:
	v_dual_mov_b32 v1, 0 :: v_dual_mov_b32 v4, 0
.LBB121_29:
	s_mov_b32 s2, exec_lo
	v_cmpx_gt_i32_e64 s13, v0
	s_cbranch_execz .LBB121_32
; %bb.30:
	s_clause 0x1
	s_load_b32 s2, s[0:1], 0x34
	s_load_b32 s3, s[0:1], 0x44
	v_max_f32_e32 v3, v4, v4
	s_load_b64 s[0:1], s[0:1], 0x20
	s_ashr_i32 s4, s15, 31
	s_delay_alu instid0(VALU_DEP_1) | instskip(SKIP_1) | instid1(VALU_DEP_1)
	v_max_f32_e32 v3, 0x1e3ce508, v3
	s_waitcnt lgkmcnt(0)
	v_div_scale_f32 v4, null, v3, v3, s2
	v_div_scale_f32 v7, vcc_lo, s2, v3, s2
	s_mul_i32 s1, s15, s1
	s_delay_alu instid0(VALU_DEP_2) | instskip(SKIP_4) | instid1(VALU_DEP_1)
	v_rcp_f32_e32 v5, v4
	s_mul_i32 s4, s4, s0
	s_and_b32 s3, s3, 0xffff
	s_waitcnt_depctr 0xfff
	v_fma_f32 v6, -v4, v5, 1.0
	v_fmac_f32_e32 v5, v6, v5
	s_delay_alu instid0(VALU_DEP_1) | instskip(NEXT) | instid1(VALU_DEP_1)
	v_mul_f32_e32 v6, v7, v5
	v_fma_f32 v8, -v4, v6, v7
	s_delay_alu instid0(VALU_DEP_1) | instskip(NEXT) | instid1(VALU_DEP_1)
	v_fmac_f32_e32 v6, v8, v5
	v_fma_f32 v4, -v4, v6, v7
	s_delay_alu instid0(VALU_DEP_1) | instskip(NEXT) | instid1(VALU_DEP_1)
	v_div_fmas_f32 v4, v4, v5, v6
	v_div_fixup_f32 v3, v4, v3, s2
	s_mul_hi_u32 s2, s15, s0
	s_delay_alu instid0(SALU_CYCLE_1) | instskip(SKIP_1) | instid1(VALU_DEP_1)
	s_add_i32 s1, s2, s1
	s_mul_i32 s2, s15, s0
	v_mul_f32_e32 v2, v2, v3
	s_add_i32 s1, s1, s4
	s_mov_b32 s4, 0
	.p2align	6
.LBB121_31:                             ; =>This Inner Loop Header: Depth=1
	v_ashrrev_i32_e32 v4, 31, v0
	v_add_co_u32 v3, vcc_lo, s2, v0
	v_add_nc_u32_e32 v0, s3, v0
	s_delay_alu instid0(VALU_DEP_3) | instskip(NEXT) | instid1(VALU_DEP_2)
	v_add_co_ci_u32_e32 v4, vcc_lo, s1, v4, vcc_lo
	v_cmp_le_i32_e32 vcc_lo, s13, v0
	s_delay_alu instid0(VALU_DEP_2) | instskip(SKIP_1) | instid1(VALU_DEP_1)
	v_lshlrev_b64 v[3:4], 2, v[3:4]
	s_or_b32 s4, vcc_lo, s4
	v_add_co_u32 v5, s0, s8, v3
	s_delay_alu instid0(VALU_DEP_1) | instskip(SKIP_1) | instid1(VALU_DEP_1)
	v_add_co_ci_u32_e64 v6, s0, s9, v4, s0
	v_add_co_u32 v3, s0, s10, v3
	v_add_co_ci_u32_e64 v4, s0, s11, v4, s0
	global_store_b32 v[5:6], v2, off
	global_store_b32 v[3:4], v1, off
	s_and_not1_b32 exec_lo, exec_lo, s4
	s_cbranch_execnz .LBB121_31
.LBB121_32:
	s_nop 0
	s_sendmsg sendmsg(MSG_DEALLOC_VGPRS)
	s_endpgm
	.section	.rodata,"a",@progbits
	.p2align	6, 0x0
	.amdhsa_kernel _ZN5aiter20topk_softplus_kernelI6__halffDv1_fLb1ELi2EEEvPKT_PKT0_PfPimiiif
		.amdhsa_group_segment_fixed_size 0
		.amdhsa_private_segment_fixed_size 0
		.amdhsa_kernarg_size 312
		.amdhsa_user_sgpr_count 15
		.amdhsa_user_sgpr_dispatch_ptr 0
		.amdhsa_user_sgpr_queue_ptr 0
		.amdhsa_user_sgpr_kernarg_segment_ptr 1
		.amdhsa_user_sgpr_dispatch_id 0
		.amdhsa_user_sgpr_private_segment_size 0
		.amdhsa_wavefront_size32 1
		.amdhsa_uses_dynamic_stack 0
		.amdhsa_enable_private_segment 0
		.amdhsa_system_sgpr_workgroup_id_x 1
		.amdhsa_system_sgpr_workgroup_id_y 0
		.amdhsa_system_sgpr_workgroup_id_z 0
		.amdhsa_system_sgpr_workgroup_info 0
		.amdhsa_system_vgpr_workitem_id 0
		.amdhsa_next_free_vgpr 11
		.amdhsa_next_free_sgpr 22
		.amdhsa_reserve_vcc 1
		.amdhsa_float_round_mode_32 0
		.amdhsa_float_round_mode_16_64 0
		.amdhsa_float_denorm_mode_32 3
		.amdhsa_float_denorm_mode_16_64 3
		.amdhsa_dx10_clamp 1
		.amdhsa_ieee_mode 1
		.amdhsa_fp16_overflow 0
		.amdhsa_workgroup_processor_mode 1
		.amdhsa_memory_ordered 1
		.amdhsa_forward_progress 0
		.amdhsa_shared_vgpr_count 0
		.amdhsa_exception_fp_ieee_invalid_op 0
		.amdhsa_exception_fp_denorm_src 0
		.amdhsa_exception_fp_ieee_div_zero 0
		.amdhsa_exception_fp_ieee_overflow 0
		.amdhsa_exception_fp_ieee_underflow 0
		.amdhsa_exception_fp_ieee_inexact 0
		.amdhsa_exception_int_div_zero 0
	.end_amdhsa_kernel
	.section	.text._ZN5aiter20topk_softplus_kernelI6__halffDv1_fLb1ELi2EEEvPKT_PKT0_PfPimiiif,"axG",@progbits,_ZN5aiter20topk_softplus_kernelI6__halffDv1_fLb1ELi2EEEvPKT_PKT0_PfPimiiif,comdat
.Lfunc_end121:
	.size	_ZN5aiter20topk_softplus_kernelI6__halffDv1_fLb1ELi2EEEvPKT_PKT0_PfPimiiif, .Lfunc_end121-_ZN5aiter20topk_softplus_kernelI6__halffDv1_fLb1ELi2EEEvPKT_PKT0_PfPimiiif
                                        ; -- End function
	.section	.AMDGPU.csdata,"",@progbits
; Kernel info:
; codeLenInByte = 1880
; NumSgprs: 24
; NumVgprs: 11
; ScratchSize: 0
; MemoryBound: 0
; FloatMode: 240
; IeeeMode: 1
; LDSByteSize: 0 bytes/workgroup (compile time only)
; SGPRBlocks: 2
; VGPRBlocks: 1
; NumSGPRsForWavesPerEU: 24
; NumVGPRsForWavesPerEU: 11
; Occupancy: 16
; WaveLimiterHint : 0
; COMPUTE_PGM_RSRC2:SCRATCH_EN: 0
; COMPUTE_PGM_RSRC2:USER_SGPR: 15
; COMPUTE_PGM_RSRC2:TRAP_HANDLER: 0
; COMPUTE_PGM_RSRC2:TGID_X_EN: 1
; COMPUTE_PGM_RSRC2:TGID_Y_EN: 0
; COMPUTE_PGM_RSRC2:TGID_Z_EN: 0
; COMPUTE_PGM_RSRC2:TIDIG_COMP_CNT: 0
	.section	.text._ZN5aiter20topk_softplus_kernelI6__halffDv1_fLb0ELi2EEEvPKT_PKT0_PfPimiiif,"axG",@progbits,_ZN5aiter20topk_softplus_kernelI6__halffDv1_fLb0ELi2EEEvPKT_PKT0_PfPimiiif,comdat
	.protected	_ZN5aiter20topk_softplus_kernelI6__halffDv1_fLb0ELi2EEEvPKT_PKT0_PfPimiiif ; -- Begin function _ZN5aiter20topk_softplus_kernelI6__halffDv1_fLb0ELi2EEEvPKT_PKT0_PfPimiiif
	.globl	_ZN5aiter20topk_softplus_kernelI6__halffDv1_fLb0ELi2EEEvPKT_PKT0_PfPimiiif
	.p2align	8
	.type	_ZN5aiter20topk_softplus_kernelI6__halffDv1_fLb0ELi2EEEvPKT_PKT0_PfPimiiif,@function
_ZN5aiter20topk_softplus_kernelI6__halffDv1_fLb0ELi2EEEvPKT_PKT0_PfPimiiif: ; @_ZN5aiter20topk_softplus_kernelI6__halffDv1_fLb0ELi2EEEvPKT_PKT0_PfPimiiif
; %bb.0:
	s_clause 0x1
	s_load_b64 s[12:13], s[0:1], 0x28
	s_load_b256 s[4:11], s[0:1], 0x0
	v_lshl_add_u32 v3, v0, 2, 0
	s_waitcnt lgkmcnt(0)
	s_mul_i32 s16, s15, s12
	v_cmp_gt_i32_e64 s2, s12, v0
	s_ashr_i32 s17, s16, 31
	s_delay_alu instid0(SALU_CYCLE_1) | instskip(NEXT) | instid1(SALU_CYCLE_1)
	s_lshl_b64 s[16:17], s[16:17], 1
	s_add_u32 s3, s4, s16
	s_addc_u32 s4, s5, s17
	s_and_saveexec_b32 s5, s2
	s_cbranch_execz .LBB122_3
; %bb.1:
	s_load_b32 s14, s[0:1], 0x44
	v_lshl_add_u32 v4, v0, 2, 0
	v_mov_b32_e32 v1, v0
	s_mov_b32 s16, 0
	s_waitcnt lgkmcnt(0)
	s_and_b32 s14, s14, 0xffff
	s_delay_alu instid0(SALU_CYCLE_1)
	s_lshl_b32 s17, s14, 2
	.p2align	6
.LBB122_2:                              ; =>This Inner Loop Header: Depth=1
	v_ashrrev_i32_e32 v2, 31, v1
	s_delay_alu instid0(VALU_DEP_1) | instskip(SKIP_1) | instid1(VALU_DEP_2)
	v_lshlrev_b64 v[5:6], 1, v[1:2]
	v_add_nc_u32_e32 v1, s14, v1
	v_add_co_u32 v5, vcc_lo, s3, v5
	s_delay_alu instid0(VALU_DEP_3) | instskip(NEXT) | instid1(VALU_DEP_3)
	v_add_co_ci_u32_e32 v6, vcc_lo, s4, v6, vcc_lo
	v_cmp_le_i32_e32 vcc_lo, s12, v1
	global_load_u16 v2, v[5:6], off
	s_or_b32 s16, vcc_lo, s16
	s_waitcnt vmcnt(0)
	v_cvt_f32_f16_e32 v2, v2
	ds_store_b32 v4, v2
	v_add_nc_u32_e32 v4, s17, v4
	s_and_not1_b32 exec_lo, exec_lo, s16
	s_cbranch_execnz .LBB122_2
.LBB122_3:
	s_or_b32 exec_lo, exec_lo, s5
	v_add_nc_u32_e32 v1, s12, v0
	s_mov_b32 s5, exec_lo
	s_delay_alu instid0(VALU_DEP_1)
	v_cmpx_gt_i32_e64 s12, v1
	s_cbranch_execz .LBB122_6
; %bb.4:
	s_load_b32 s14, s[0:1], 0x44
	v_lshl_add_u32 v4, v1, 2, 0
	s_mov_b32 s16, 0
	s_waitcnt lgkmcnt(0)
	s_and_b32 s14, s14, 0xffff
	s_delay_alu instid0(SALU_CYCLE_1)
	s_lshl_b32 s17, s14, 2
	.p2align	6
.LBB122_5:                              ; =>This Inner Loop Header: Depth=1
	v_ashrrev_i32_e32 v2, 31, v1
	s_delay_alu instid0(VALU_DEP_1) | instskip(SKIP_1) | instid1(VALU_DEP_2)
	v_lshlrev_b64 v[5:6], 1, v[1:2]
	v_add_nc_u32_e32 v1, s14, v1
	v_add_co_u32 v5, vcc_lo, s3, v5
	s_delay_alu instid0(VALU_DEP_3) | instskip(NEXT) | instid1(VALU_DEP_3)
	v_add_co_ci_u32_e32 v6, vcc_lo, s4, v6, vcc_lo
	v_cmp_le_i32_e32 vcc_lo, s12, v1
	global_load_u16 v2, v[5:6], off
	s_or_b32 s16, vcc_lo, s16
	s_waitcnt vmcnt(0)
	v_cvt_f32_f16_e32 v2, v2
	ds_store_b32 v4, v2
	v_add_nc_u32_e32 v4, s17, v4
	s_and_not1_b32 exec_lo, exec_lo, s16
	s_cbranch_execnz .LBB122_5
.LBB122_6:
	s_or_b32 exec_lo, exec_lo, s5
	v_mov_b32_e32 v2, 0xff800000
	s_waitcnt lgkmcnt(0)
	s_barrier
	buffer_gl0_inv
	s_and_saveexec_b32 s3, s2
	s_cbranch_execz .LBB122_10
; %bb.7:
	s_load_b32 s4, s[0:1], 0x44
	v_lshl_add_u32 v1, v0, 2, 0
	v_mov_b32_e32 v2, 0xff800000
	v_mov_b32_e32 v4, v0
	s_waitcnt lgkmcnt(0)
	s_and_b32 s5, s4, 0xffff
	s_mov_b32 s4, 0
	s_lshl_b32 s14, s5, 2
.LBB122_8:                              ; =>This Inner Loop Header: Depth=1
	ds_load_b32 v5, v1
	v_add_nc_u32_e32 v4, s5, v4
	v_dual_max_f32 v2, v2, v2 :: v_dual_add_nc_u32 v1, s14, v1
	s_waitcnt lgkmcnt(0)
	v_max_f32_e32 v5, v5, v5
	s_delay_alu instid0(VALU_DEP_3) | instskip(NEXT) | instid1(VALU_DEP_2)
	v_cmp_le_i32_e32 vcc_lo, s12, v4
	v_max_f32_e32 v2, v2, v5
	s_or_b32 s4, vcc_lo, s4
	s_delay_alu instid0(SALU_CYCLE_1)
	s_and_not1_b32 exec_lo, exec_lo, s4
	s_cbranch_execnz .LBB122_8
; %bb.9:
	s_or_b32 exec_lo, exec_lo, s4
.LBB122_10:
	s_delay_alu instid0(SALU_CYCLE_1)
	s_or_b32 exec_lo, exec_lo, s3
	v_mov_b32_e32 v1, 0
	;;#ASMSTART
	v_max_f32 v4, v2, v2 quad_perm:[1,0,3,2] row_mask:0xf bank_mask:0xf bound_ctrl:1
	;;#ASMEND
	;;#ASMSTART
	v_max_f32 v2, v4, v4 quad_perm:[2,3,0,1] row_mask:0xf bank_mask:0xf bound_ctrl:1
	;;#ASMEND
	;;#ASMSTART
	v_max_f32 v4, v2, v2 row_half_mirror row_mask:0xf bank_mask:0xf bound_ctrl:1
	;;#ASMEND
	;;#ASMSTART
	v_max_f32 v2, v4, v4 row_mirror row_mask:0xf bank_mask:0xf bound_ctrl:1
	;;#ASMEND
	s_and_saveexec_b32 s3, s2
	s_cbranch_execz .LBB122_14
; %bb.11:
	s_load_b32 s4, s[0:1], 0x44
	s_mov_b32 s5, 0x76543210
	v_lshl_add_u32 v4, v0, 2, 0
	v_permlanex16_b32 v1, v2, s5, 0xfedcba98 op_sel:[1,1]
	v_dual_mov_b32 v5, v0 :: v_dual_max_f32 v2, v2, v2
	s_delay_alu instid0(VALU_DEP_2) | instskip(NEXT) | instid1(VALU_DEP_1)
	v_max_f32_e32 v1, v1, v1
	v_dual_max_f32 v2, v2, v1 :: v_dual_mov_b32 v1, 0
	s_waitcnt lgkmcnt(0)
	s_and_b32 s5, s4, 0xffff
	s_mov_b32 s4, 0
	s_lshl_b32 s14, s5, 2
	.p2align	6
.LBB122_12:                             ; =>This Inner Loop Header: Depth=1
	ds_load_b32 v6, v4
	s_waitcnt lgkmcnt(0)
	v_dual_sub_f32 v6, v6, v2 :: v_dual_add_nc_u32 v5, s5, v5
	s_delay_alu instid0(VALU_DEP_1) | instskip(NEXT) | instid1(VALU_DEP_1)
	v_mul_f32_e32 v7, 0x3fb8aa3b, v6
	v_cmp_gt_f32_e32 vcc_lo, 0xc2fc0000, v7
	v_cndmask_b32_e64 v7, 0, 0x42800000, vcc_lo
	s_delay_alu instid0(VALU_DEP_1) | instskip(NEXT) | instid1(VALU_DEP_1)
	v_fmac_f32_e32 v7, 0x3fb8aa3b, v6
	v_exp_f32_e32 v6, v7
	v_cndmask_b32_e64 v7, 1.0, 0x1f800000, vcc_lo
	v_cmp_le_i32_e32 vcc_lo, s12, v5
	s_or_b32 s4, vcc_lo, s4
	s_waitcnt_depctr 0xfff
	v_mul_f32_e32 v8, v6, v7
	v_fmac_f32_e32 v1, v6, v7
	ds_store_b32 v4, v8
	v_add_nc_u32_e32 v4, s14, v4
	s_and_not1_b32 exec_lo, exec_lo, s4
	s_cbranch_execnz .LBB122_12
; %bb.13:
	s_or_b32 exec_lo, exec_lo, s4
.LBB122_14:
	s_delay_alu instid0(SALU_CYCLE_1) | instskip(SKIP_1) | instid1(VALU_DEP_1)
	s_or_b32 exec_lo, exec_lo, s3
	v_mov_b32_dpp v2, v1 quad_perm:[1,0,3,2] row_mask:0xf bank_mask:0xf
	v_add_f32_e32 v1, v1, v2
	s_delay_alu instid0(VALU_DEP_1) | instskip(NEXT) | instid1(VALU_DEP_1)
	v_mov_b32_dpp v2, v1 quad_perm:[2,3,0,1] row_mask:0xf bank_mask:0xf
	v_add_f32_e32 v1, v1, v2
	s_delay_alu instid0(VALU_DEP_1) | instskip(NEXT) | instid1(VALU_DEP_1)
	v_mov_b32_dpp v2, v1 row_xmask:7 row_mask:0xf bank_mask:0xf
	v_add_f32_e32 v1, v1, v2
	s_delay_alu instid0(VALU_DEP_1)
	v_mov_b32_dpp v2, v1 row_xmask:15 row_mask:0xf bank_mask:0xf
	s_and_saveexec_b32 s3, s2
	s_cbranch_execz .LBB122_19
; %bb.15:
	s_delay_alu instid0(VALU_DEP_1)
	v_add_f32_e32 v1, v1, v2
	s_load_b32 s5, s[0:1], 0x44
	s_mov_b32 s4, 0x76543210
	s_cmp_lg_u64 s[6:7], 0
	v_lshl_add_u32 v5, v0, 2, 0
	v_permlanex16_b32 v2, v1, s4, 0xfedcba98 op_sel:[1,1]
	s_cselect_b32 s4, -1, 0
	s_mov_b32 s14, 0
	s_delay_alu instid0(VALU_DEP_1) | instskip(NEXT) | instid1(VALU_DEP_1)
	v_add_f32_e32 v1, v1, v2
	v_rcp_f32_e32 v4, v1
	v_mov_b32_e32 v1, v0
	s_waitcnt lgkmcnt(0)
	s_and_b32 s5, s5, 0xffff
	s_delay_alu instid0(SALU_CYCLE_1)
	s_lshl_b32 s16, s5, 2
	s_set_inst_prefetch_distance 0x1
	s_branch .LBB122_17
	.p2align	6
.LBB122_16:                             ;   in Loop: Header=BB122_17 Depth=1
	v_add_nc_u32_e32 v1, s5, v1
	v_add_nc_u32_e32 v5, s16, v5
	s_delay_alu instid0(VALU_DEP_2) | instskip(SKIP_1) | instid1(SALU_CYCLE_1)
	v_cmp_le_i32_e32 vcc_lo, s12, v1
	s_or_b32 s14, vcc_lo, s14
	s_and_not1_b32 exec_lo, exec_lo, s14
	s_cbranch_execz .LBB122_19
.LBB122_17:                             ; =>This Inner Loop Header: Depth=1
	ds_load_b32 v2, v5
	s_and_not1_b32 vcc_lo, exec_lo, s4
	s_waitcnt lgkmcnt(0)
	v_mul_f32_e32 v6, v4, v2
	ds_store_b32 v5, v6
	s_cbranch_vccnz .LBB122_16
; %bb.18:                               ;   in Loop: Header=BB122_17 Depth=1
	v_ashrrev_i32_e32 v2, 31, v1
	s_delay_alu instid0(VALU_DEP_1) | instskip(NEXT) | instid1(VALU_DEP_1)
	v_lshlrev_b64 v[7:8], 2, v[1:2]
	v_add_co_u32 v7, vcc_lo, s6, v7
	s_delay_alu instid0(VALU_DEP_2)
	v_add_co_ci_u32_e32 v8, vcc_lo, s7, v8, vcc_lo
	global_load_b32 v2, v[7:8], off
	s_waitcnt vmcnt(0)
	v_add_f32_e32 v2, v6, v2
	ds_store_b32 v5, v2
	s_branch .LBB122_16
.LBB122_19:
	s_set_inst_prefetch_distance 0x2
	s_or_b32 exec_lo, exec_lo, s3
	s_cmp_lt_i32 s13, 1
	s_waitcnt lgkmcnt(0)
	s_barrier
	buffer_gl0_inv
	s_cbranch_scc1 .LBB122_28
; %bb.20:
	s_add_u32 s4, s0, 56
	s_addc_u32 s5, s1, 0
	v_dual_mov_b32 v2, 0 :: v_dual_mov_b32 v1, 0
	v_mov_b32_e32 v4, 0xff800000
	s_cmp_lg_u64 s[6:7], 0
	s_mov_b32 s14, 0
	s_cselect_b32 s3, -1, 0
	s_mov_b32 s18, 0x76543210
	s_branch .LBB122_22
.LBB122_21:                             ;   in Loop: Header=BB122_22 Depth=1
	v_cmp_eq_u32_e32 vcc_lo, s14, v0
	s_delay_alu instid0(VALU_DEP_2)
	s_lshl_b32 s17, s16, 2
	s_add_i32 s14, s14, 1
	s_add_i32 s17, s17, 0
	s_cmp_eq_u32 s14, s13
	v_cndmask_b32_e64 v1, v1, s16, vcc_lo
	v_dual_mov_b32 v5, s17 :: v_dual_cndmask_b32 v2, v2, v7
	ds_store_b32 v5, v4
	s_cbranch_scc1 .LBB122_29
.LBB122_22:                             ; =>This Loop Header: Depth=1
                                        ;     Child Loop BB122_24 Depth 2
	v_dual_mov_b32 v5, s14 :: v_dual_mov_b32 v6, 0xff800000
	s_and_saveexec_b32 s16, s2
	s_cbranch_execz .LBB122_26
; %bb.23:                               ;   in Loop: Header=BB122_22 Depth=1
	s_load_b32 s17, s[4:5], 0xc
	v_dual_mov_b32 v5, s14 :: v_dual_mov_b32 v6, 0xff800000
	v_dual_mov_b32 v7, v3 :: v_dual_mov_b32 v8, v0
	s_mov_b32 s19, 0
	s_waitcnt lgkmcnt(0)
	s_and_b32 s17, s17, 0xffff
	s_delay_alu instid0(SALU_CYCLE_1)
	s_lshl_b32 s20, s17, 2
.LBB122_24:                             ;   Parent Loop BB122_22 Depth=1
                                        ; =>  This Inner Loop Header: Depth=2
	ds_load_b32 v9, v7
	v_add_nc_u32_e32 v7, s20, v7
	s_waitcnt lgkmcnt(0)
	v_cmp_gt_f32_e32 vcc_lo, v9, v6
	v_dual_cndmask_b32 v6, v6, v9 :: v_dual_cndmask_b32 v5, v5, v8
	v_add_nc_u32_e32 v8, s17, v8
	s_delay_alu instid0(VALU_DEP_1) | instskip(SKIP_1) | instid1(SALU_CYCLE_1)
	v_cmp_le_i32_e32 vcc_lo, s12, v8
	s_or_b32 s19, vcc_lo, s19
	s_and_not1_b32 exec_lo, exec_lo, s19
	s_cbranch_execnz .LBB122_24
; %bb.25:                               ;   in Loop: Header=BB122_22 Depth=1
	s_or_b32 exec_lo, exec_lo, s19
.LBB122_26:                             ;   in Loop: Header=BB122_22 Depth=1
	s_delay_alu instid0(SALU_CYCLE_1)
	s_or_b32 exec_lo, exec_lo, s16
	;;#ASMSTART
	v_max_f32 v7, v6, v6 quad_perm:[1,0,3,2] row_mask:0xf bank_mask:0xf bound_ctrl:1
	;;#ASMEND
	;;#ASMSTART
	v_max_f32 v8, v7, v7 quad_perm:[2,3,0,1] row_mask:0xf bank_mask:0xf bound_ctrl:1
	;;#ASMEND
	;;#ASMSTART
	v_max_f32 v7, v8, v8 row_half_mirror row_mask:0xf bank_mask:0xf bound_ctrl:1
	;;#ASMEND
	;;#ASMSTART
	v_max_f32 v8, v7, v7 row_mirror row_mask:0xf bank_mask:0xf bound_ctrl:1
	;;#ASMEND
	v_permlanex16_b32 v7, v8, s18, 0xfedcba98 op_sel:[1,1]
	s_delay_alu instid0(VALU_DEP_1) | instskip(NEXT) | instid1(VALU_DEP_1)
	v_dual_max_f32 v8, v8, v8 :: v_dual_max_f32 v7, v7, v7
	v_max_f32_e32 v7, v8, v7
	s_delay_alu instid0(VALU_DEP_1)
	v_cmp_eq_f32_e32 vcc_lo, v6, v7
	s_ctz_i32_b32 s16, vcc_lo
	s_cmp_lg_u32 vcc_lo, 0
	s_cselect_b32 s16, s16, 0
	s_and_b32 vcc_lo, exec_lo, s3
	v_readlane_b32 s16, v5, s16
	s_cbranch_vccz .LBB122_21
; %bb.27:                               ;   in Loop: Header=BB122_22 Depth=1
	s_delay_alu instid0(VALU_DEP_1) | instskip(NEXT) | instid1(SALU_CYCLE_1)
	s_ashr_i32 s17, s16, 31
	s_lshl_b64 s[20:21], s[16:17], 2
	s_delay_alu instid0(SALU_CYCLE_1)
	s_add_u32 s20, s6, s20
	s_addc_u32 s21, s7, s21
	s_load_b32 s17, s[20:21], 0x0
	s_waitcnt lgkmcnt(0)
	v_subrev_f32_e32 v7, s17, v7
	s_branch .LBB122_21
.LBB122_28:
	v_dual_mov_b32 v2, 0 :: v_dual_mov_b32 v1, 0
.LBB122_29:
	s_mov_b32 s2, exec_lo
	v_cmpx_gt_i32_e64 s13, v0
	s_cbranch_execz .LBB122_32
; %bb.30:
	s_clause 0x2
	s_load_b32 s4, s[0:1], 0x34
	s_load_b64 s[2:3], s[0:1], 0x20
	s_load_b32 s0, s[0:1], 0x44
	s_ashr_i32 s1, s15, 31
	s_waitcnt lgkmcnt(0)
	v_mul_f32_e32 v2, s4, v2
	s_mul_i32 s3, s15, s3
	s_mul_hi_u32 s4, s15, s2
	s_mul_i32 s5, s1, s2
	s_add_i32 s3, s4, s3
	s_mul_i32 s1, s15, s2
	s_and_b32 s2, s0, 0xffff
	s_add_i32 s3, s3, s5
	s_mov_b32 s4, 0
	.p2align	6
.LBB122_31:                             ; =>This Inner Loop Header: Depth=1
	v_ashrrev_i32_e32 v4, 31, v0
	v_add_co_u32 v3, vcc_lo, s1, v0
	v_add_nc_u32_e32 v0, s2, v0
	s_delay_alu instid0(VALU_DEP_3) | instskip(NEXT) | instid1(VALU_DEP_2)
	v_add_co_ci_u32_e32 v4, vcc_lo, s3, v4, vcc_lo
	v_cmp_le_i32_e32 vcc_lo, s13, v0
	s_delay_alu instid0(VALU_DEP_2) | instskip(SKIP_1) | instid1(VALU_DEP_1)
	v_lshlrev_b64 v[3:4], 2, v[3:4]
	s_or_b32 s4, vcc_lo, s4
	v_add_co_u32 v5, s0, s8, v3
	s_delay_alu instid0(VALU_DEP_1) | instskip(SKIP_1) | instid1(VALU_DEP_1)
	v_add_co_ci_u32_e64 v6, s0, s9, v4, s0
	v_add_co_u32 v3, s0, s10, v3
	v_add_co_ci_u32_e64 v4, s0, s11, v4, s0
	global_store_b32 v[5:6], v2, off
	global_store_b32 v[3:4], v1, off
	s_and_not1_b32 exec_lo, exec_lo, s4
	s_cbranch_execnz .LBB122_31
.LBB122_32:
	s_nop 0
	s_sendmsg sendmsg(MSG_DEALLOC_VGPRS)
	s_endpgm
	.section	.rodata,"a",@progbits
	.p2align	6, 0x0
	.amdhsa_kernel _ZN5aiter20topk_softplus_kernelI6__halffDv1_fLb0ELi2EEEvPKT_PKT0_PfPimiiif
		.amdhsa_group_segment_fixed_size 0
		.amdhsa_private_segment_fixed_size 0
		.amdhsa_kernarg_size 312
		.amdhsa_user_sgpr_count 15
		.amdhsa_user_sgpr_dispatch_ptr 0
		.amdhsa_user_sgpr_queue_ptr 0
		.amdhsa_user_sgpr_kernarg_segment_ptr 1
		.amdhsa_user_sgpr_dispatch_id 0
		.amdhsa_user_sgpr_private_segment_size 0
		.amdhsa_wavefront_size32 1
		.amdhsa_uses_dynamic_stack 0
		.amdhsa_enable_private_segment 0
		.amdhsa_system_sgpr_workgroup_id_x 1
		.amdhsa_system_sgpr_workgroup_id_y 0
		.amdhsa_system_sgpr_workgroup_id_z 0
		.amdhsa_system_sgpr_workgroup_info 0
		.amdhsa_system_vgpr_workitem_id 0
		.amdhsa_next_free_vgpr 10
		.amdhsa_next_free_sgpr 22
		.amdhsa_reserve_vcc 1
		.amdhsa_float_round_mode_32 0
		.amdhsa_float_round_mode_16_64 0
		.amdhsa_float_denorm_mode_32 3
		.amdhsa_float_denorm_mode_16_64 3
		.amdhsa_dx10_clamp 1
		.amdhsa_ieee_mode 1
		.amdhsa_fp16_overflow 0
		.amdhsa_workgroup_processor_mode 1
		.amdhsa_memory_ordered 1
		.amdhsa_forward_progress 0
		.amdhsa_shared_vgpr_count 0
		.amdhsa_exception_fp_ieee_invalid_op 0
		.amdhsa_exception_fp_denorm_src 0
		.amdhsa_exception_fp_ieee_div_zero 0
		.amdhsa_exception_fp_ieee_overflow 0
		.amdhsa_exception_fp_ieee_underflow 0
		.amdhsa_exception_fp_ieee_inexact 0
		.amdhsa_exception_int_div_zero 0
	.end_amdhsa_kernel
	.section	.text._ZN5aiter20topk_softplus_kernelI6__halffDv1_fLb0ELi2EEEvPKT_PKT0_PfPimiiif,"axG",@progbits,_ZN5aiter20topk_softplus_kernelI6__halffDv1_fLb0ELi2EEEvPKT_PKT0_PfPimiiif,comdat
.Lfunc_end122:
	.size	_ZN5aiter20topk_softplus_kernelI6__halffDv1_fLb0ELi2EEEvPKT_PKT0_PfPimiiif, .Lfunc_end122-_ZN5aiter20topk_softplus_kernelI6__halffDv1_fLb0ELi2EEEvPKT_PKT0_PfPimiiif
                                        ; -- End function
	.section	.AMDGPU.csdata,"",@progbits
; Kernel info:
; codeLenInByte = 1756
; NumSgprs: 24
; NumVgprs: 10
; ScratchSize: 0
; MemoryBound: 0
; FloatMode: 240
; IeeeMode: 1
; LDSByteSize: 0 bytes/workgroup (compile time only)
; SGPRBlocks: 2
; VGPRBlocks: 1
; NumSGPRsForWavesPerEU: 24
; NumVGPRsForWavesPerEU: 10
; Occupancy: 16
; WaveLimiterHint : 0
; COMPUTE_PGM_RSRC2:SCRATCH_EN: 0
; COMPUTE_PGM_RSRC2:USER_SGPR: 15
; COMPUTE_PGM_RSRC2:TRAP_HANDLER: 0
; COMPUTE_PGM_RSRC2:TGID_X_EN: 1
; COMPUTE_PGM_RSRC2:TGID_Y_EN: 0
; COMPUTE_PGM_RSRC2:TGID_Z_EN: 0
; COMPUTE_PGM_RSRC2:TIDIG_COMP_CNT: 0
	.section	.text._ZN5aiter24topk_softplus_kernel_optI6__halffLi64ELb1ELi0EEEvPKT_PKT0_PfPimiif,"axG",@progbits,_ZN5aiter24topk_softplus_kernel_optI6__halffLi64ELb1ELi0EEEvPKT_PKT0_PfPimiif,comdat
	.protected	_ZN5aiter24topk_softplus_kernel_optI6__halffLi64ELb1ELi0EEEvPKT_PKT0_PfPimiif ; -- Begin function _ZN5aiter24topk_softplus_kernel_optI6__halffLi64ELb1ELi0EEEvPKT_PKT0_PfPimiif
	.globl	_ZN5aiter24topk_softplus_kernel_optI6__halffLi64ELb1ELi0EEEvPKT_PKT0_PfPimiif
	.p2align	8
	.type	_ZN5aiter24topk_softplus_kernel_optI6__halffLi64ELb1ELi0EEEvPKT_PKT0_PfPimiif,@function
_ZN5aiter24topk_softplus_kernel_optI6__halffLi64ELb1ELi0EEEvPKT_PKT0_PfPimiif: ; @_ZN5aiter24topk_softplus_kernel_optI6__halffLi64ELb1ELi0EEEvPKT_PKT0_PfPimiif
; %bb.0:
	s_load_b128 s[4:7], s[0:1], 0x0
	s_lshl_b32 s2, s15, 6
	v_lshlrev_b32_e32 v1, 1, v0
	s_ashr_i32 s3, s2, 31
	s_delay_alu instid0(SALU_CYCLE_1)
	s_lshl_b64 s[2:3], s[2:3], 1
	s_waitcnt lgkmcnt(0)
	s_add_u32 s8, s4, s2
	s_addc_u32 s9, s5, s3
	s_mov_b32 s4, 0x3fb8aa3b
	global_load_u16 v2, v1, s[8:9]
	s_cmp_lg_u64 s[6:7], 0
	s_cselect_b32 s3, -1, 0
	s_waitcnt vmcnt(0)
	v_cvt_f32_f16_e32 v3, v2
	s_delay_alu instid0(VALU_DEP_1) | instskip(NEXT) | instid1(VALU_DEP_1)
	v_mul_f32_e32 v4, 0x3fb8aa3b, v3
	v_cmp_gt_f32_e32 vcc_lo, 0xc2fc0000, v4
	v_cndmask_b32_e64 v4, 0, 0x42800000, vcc_lo
	v_cndmask_b32_e64 v5, 1.0, 0x1f800000, vcc_lo
	s_delay_alu instid0(VALU_DEP_2) | instskip(NEXT) | instid1(VALU_DEP_1)
	v_fma_mix_f32 v4, v2, s4, v4 op_sel_hi:[1,0,0]
	v_exp_f32_e32 v4, v4
	s_waitcnt_depctr 0xfff
	v_fma_f32 v4, v4, v5, 1.0
	s_delay_alu instid0(VALU_DEP_1) | instskip(SKIP_1) | instid1(VALU_DEP_1)
	v_cmp_gt_f32_e32 vcc_lo, 0x800000, v4
	v_cndmask_b32_e64 v5, 1.0, 0x4f800000, vcc_lo
	v_mul_f32_e32 v4, v4, v5
	v_cndmask_b32_e64 v5, 0, 0x42000000, vcc_lo
	v_cmp_lt_f16_e32 vcc_lo, 0x4d00, v2
	s_delay_alu instid0(VALU_DEP_3) | instskip(SKIP_2) | instid1(VALU_DEP_1)
	v_log_f32_e32 v4, v4
	s_waitcnt_depctr 0xfff
	v_sub_f32_e32 v4, v4, v5
	v_mul_f32_e32 v4, 0x3f317218, v4
	s_delay_alu instid0(VALU_DEP_1) | instskip(NEXT) | instid1(VALU_DEP_1)
	v_cndmask_b32_e32 v2, v4, v3, vcc_lo
	v_mul_f32_e32 v3, 0x4f800000, v2
	v_cmp_gt_f32_e32 vcc_lo, 0xf800000, v2
	s_delay_alu instid0(VALU_DEP_2) | instskip(NEXT) | instid1(VALU_DEP_1)
	v_cndmask_b32_e32 v2, v2, v3, vcc_lo
	v_sqrt_f32_e32 v3, v2
	s_waitcnt_depctr 0xfff
	v_add_nc_u32_e32 v4, -1, v3
	v_add_nc_u32_e32 v5, 1, v3
	s_delay_alu instid0(VALU_DEP_2) | instskip(NEXT) | instid1(VALU_DEP_2)
	v_fma_f32 v6, -v4, v3, v2
	v_fma_f32 v7, -v5, v3, v2
	s_delay_alu instid0(VALU_DEP_2) | instskip(NEXT) | instid1(VALU_DEP_1)
	v_cmp_ge_f32_e64 s2, 0, v6
	v_cndmask_b32_e64 v3, v3, v4, s2
	s_delay_alu instid0(VALU_DEP_3) | instskip(NEXT) | instid1(VALU_DEP_1)
	v_cmp_lt_f32_e64 s2, 0, v7
	v_cndmask_b32_e64 v3, v3, v5, s2
	v_add_co_u32 v1, s2, s8, v1
	s_delay_alu instid0(VALU_DEP_2) | instskip(NEXT) | instid1(VALU_DEP_1)
	v_mul_f32_e32 v4, 0x37800000, v3
	v_cndmask_b32_e32 v3, v3, v4, vcc_lo
	v_cmp_class_f32_e64 vcc_lo, v2, 0x260
	s_delay_alu instid0(VALU_DEP_2) | instskip(SKIP_2) | instid1(VALU_DEP_2)
	v_dual_cndmask_b32 v4, v3, v2 :: v_dual_lshlrev_b32 v3, 2, v0
	v_add_co_ci_u32_e64 v2, null, s9, 0, s2
	s_and_b32 vcc_lo, exec_lo, s3
	v_mov_b32_e32 v6, v4
	s_cbranch_vccz .LBB123_2
; %bb.1:
	global_load_b32 v5, v3, s[6:7]
	s_waitcnt vmcnt(0)
	v_add_f32_e32 v6, v4, v5
.LBB123_2:
	global_load_u16 v1, v[1:2], off offset:64
	s_waitcnt vmcnt(0)
	v_cvt_f32_f16_e32 v2, v1
	s_delay_alu instid0(VALU_DEP_1) | instskip(NEXT) | instid1(VALU_DEP_1)
	v_mul_f32_e32 v5, 0x3fb8aa3b, v2
	v_cmp_gt_f32_e32 vcc_lo, 0xc2fc0000, v5
	v_cndmask_b32_e64 v7, 0, 0x42800000, vcc_lo
	v_cndmask_b32_e64 v5, 1.0, 0x1f800000, vcc_lo
	s_delay_alu instid0(VALU_DEP_2) | instskip(NEXT) | instid1(VALU_DEP_1)
	v_fma_mix_f32 v7, v1, s4, v7 op_sel_hi:[1,0,0]
	v_exp_f32_e32 v7, v7
	s_waitcnt_depctr 0xfff
	v_fma_f32 v5, v7, v5, 1.0
	s_delay_alu instid0(VALU_DEP_1) | instskip(SKIP_1) | instid1(VALU_DEP_1)
	v_cmp_gt_f32_e32 vcc_lo, 0x800000, v5
	v_cndmask_b32_e64 v7, 1.0, 0x4f800000, vcc_lo
	v_mul_f32_e32 v5, v5, v7
	v_cndmask_b32_e64 v7, 0, 0x42000000, vcc_lo
	v_cmp_lt_f16_e32 vcc_lo, 0x4d00, v1
	s_delay_alu instid0(VALU_DEP_3) | instskip(SKIP_2) | instid1(VALU_DEP_1)
	v_log_f32_e32 v5, v5
	s_waitcnt_depctr 0xfff
	v_sub_f32_e32 v5, v5, v7
	v_mul_f32_e32 v5, 0x3f317218, v5
	s_delay_alu instid0(VALU_DEP_1) | instskip(NEXT) | instid1(VALU_DEP_1)
	v_cndmask_b32_e32 v1, v5, v2, vcc_lo
	v_mul_f32_e32 v2, 0x4f800000, v1
	v_cmp_gt_f32_e32 vcc_lo, 0xf800000, v1
	s_delay_alu instid0(VALU_DEP_2) | instskip(NEXT) | instid1(VALU_DEP_1)
	v_cndmask_b32_e32 v1, v1, v2, vcc_lo
	v_sqrt_f32_e32 v2, v1
	s_waitcnt_depctr 0xfff
	v_add_nc_u32_e32 v5, -1, v2
	v_add_nc_u32_e32 v7, 1, v2
	s_delay_alu instid0(VALU_DEP_2) | instskip(NEXT) | instid1(VALU_DEP_2)
	v_fma_f32 v8, -v5, v2, v1
	v_fma_f32 v9, -v7, v2, v1
	s_delay_alu instid0(VALU_DEP_2) | instskip(NEXT) | instid1(VALU_DEP_1)
	v_cmp_ge_f32_e64 s2, 0, v8
	v_cndmask_b32_e64 v2, v2, v5, s2
	s_delay_alu instid0(VALU_DEP_3) | instskip(NEXT) | instid1(VALU_DEP_1)
	v_cmp_lt_f32_e64 s2, 0, v9
	v_cndmask_b32_e64 v2, v2, v7, s2
	s_delay_alu instid0(VALU_DEP_1) | instskip(NEXT) | instid1(VALU_DEP_1)
	v_mul_f32_e32 v5, 0x37800000, v2
	v_cndmask_b32_e32 v2, v2, v5, vcc_lo
	v_cmp_class_f32_e64 vcc_lo, v1, 0x260
	s_delay_alu instid0(VALU_DEP_2) | instskip(SKIP_1) | instid1(VALU_DEP_1)
	v_cndmask_b32_e32 v11, v2, v1, vcc_lo
	s_and_not1_b32 vcc_lo, exec_lo, s3
	v_mov_b32_e32 v10, v11
	s_cbranch_vccnz .LBB123_4
; %bb.3:
	global_load_b32 v1, v3, s[6:7] offset:128
	s_waitcnt vmcnt(0)
	v_add_f32_e32 v10, v11, v1
.LBB123_4:
	s_clause 0x1
	s_load_b32 s8, s[0:1], 0x28
	s_load_b128 s[4:7], s[0:1], 0x10
	v_dual_mov_b32 v5, 0 :: v_dual_mov_b32 v2, 0
	v_mov_b32_e32 v1, 0
	s_waitcnt lgkmcnt(0)
	s_cmp_gt_i32 s8, 0
	s_cbranch_scc0 .LBB123_7
; %bb.5:
	v_cmp_lt_f32_e32 vcc_lo, v6, v10
	v_add_nc_u32_e32 v1, 32, v0
	s_mov_b32 s9, 0x76543210
	s_mov_b32 s10, s8
	v_mov_b32_e32 v5, 0
	v_cndmask_b32_e32 v9, v10, v6, vcc_lo
	v_cndmask_b32_e32 v6, v6, v10, vcc_lo
	;; [unrolled: 1-line block ×3, first 2 shown]
	v_dual_cndmask_b32 v7, v1, v0 :: v_dual_cndmask_b32 v8, v0, v1
	v_dual_cndmask_b32 v4, v4, v11 :: v_dual_mov_b32 v11, 0
	v_dual_mov_b32 v12, v0 :: v_dual_mov_b32 v1, 0
	v_mov_b32_e32 v2, 0
.LBB123_6:                              ; =>This Inner Loop Header: Depth=1
	s_delay_alu instid0(VALU_DEP_3) | instskip(SKIP_2) | instid1(VALU_DEP_1)
	v_cmp_eq_u32_e32 vcc_lo, 1, v11
	v_cmp_gt_u32_e64 s2, 2, v11
	v_dual_cndmask_b32 v13, v6, v9 :: v_dual_cndmask_b32 v14, v8, v7
	v_cndmask_b32_e64 v13, 0xff800000, v13, s2
	;;#ASMSTART
	v_max_f32 v16, v13, v13 quad_perm:[1,0,3,2] row_mask:0xf bank_mask:0xf bound_ctrl:1
	;;#ASMEND
	;;#ASMSTART
	v_max_f32 v17, v16, v16 quad_perm:[2,3,0,1] row_mask:0xf bank_mask:0xf bound_ctrl:1
	;;#ASMEND
	;;#ASMSTART
	v_max_f32 v16, v17, v17 row_half_mirror row_mask:0xf bank_mask:0xf bound_ctrl:1
	;;#ASMEND
	;;#ASMSTART
	v_max_f32 v17, v16, v16 row_mirror row_mask:0xf bank_mask:0xf bound_ctrl:1
	;;#ASMEND
	v_permlanex16_b32 v16, v17, s9, 0xfedcba98 op_sel:[1,1]
	v_max_f32_e32 v17, v17, v17
	v_cndmask_b32_e64 v15, 0, v14, s2
	s_delay_alu instid0(VALU_DEP_3) | instskip(NEXT) | instid1(VALU_DEP_1)
	v_max_f32_e32 v16, v16, v16
	v_max_f32_e32 v16, v17, v16
	s_delay_alu instid0(VALU_DEP_1) | instskip(SKIP_1) | instid1(VALU_DEP_2)
	v_cmp_eq_f32_e64 s3, v13, v16
	v_cndmask_b32_e32 v13, v4, v10, vcc_lo
	s_ctz_i32_b32 s11, s3
	s_cmp_lg_u32 s3, 0
	s_cselect_b32 s3, s11, 0
	s_add_i32 s10, s10, -1
	v_readlane_b32 s3, v15, s3
	s_delay_alu instid0(VALU_DEP_1)
	v_cmp_eq_u32_e32 vcc_lo, s3, v14
	s_and_b32 vcc_lo, s2, vcc_lo
	s_and_b32 s2, s3, 31
	v_cndmask_b32_e32 v13, 0, v13, vcc_lo
	v_add_co_ci_u32_e32 v11, vcc_lo, 0, v11, vcc_lo
	s_cmp_eq_u32 s10, 0
	s_delay_alu instid0(VALU_DEP_2) | instskip(SKIP_1) | instid1(VALU_DEP_2)
	v_readlane_b32 s11, v13, s2
	v_cmp_eq_u32_e64 s2, 0, v12
	v_dual_add_f32 v5, s11, v5 :: v_dual_add_nc_u32 v12, -1, v12
	s_delay_alu instid0(VALU_DEP_2)
	v_cndmask_b32_e64 v2, v2, s11, s2
	v_cndmask_b32_e64 v1, v1, s3, s2
	s_cbranch_scc0 .LBB123_6
.LBB123_7:
	s_mov_b32 s2, exec_lo
	v_cmpx_gt_i32_e64 s8, v0
	s_cbranch_execz .LBB123_9
; %bb.8:
	s_load_b32 s2, s[0:1], 0x30
	v_max_f32_e32 v0, v5, v5
	s_load_b64 s[0:1], s[0:1], 0x20
	s_ashr_i32 s3, s15, 31
	s_delay_alu instid0(VALU_DEP_1) | instskip(SKIP_1) | instid1(VALU_DEP_1)
	v_max_f32_e32 v0, 0x1e3ce508, v0
	s_waitcnt lgkmcnt(0)
	v_div_scale_f32 v4, null, v0, v0, s2
	s_mul_i32 s1, s15, s1
	s_mul_hi_u32 s8, s15, s0
	s_mul_i32 s3, s3, s0
	s_delay_alu instid0(VALU_DEP_1) | instskip(SKIP_3) | instid1(SALU_CYCLE_1)
	v_rcp_f32_e32 v5, v4
	s_add_i32 s1, s8, s1
	s_mul_i32 s0, s15, s0
	s_add_i32 s1, s1, s3
	s_lshl_b64 s[0:1], s[0:1], 2
	s_waitcnt_depctr 0xfff
	v_fma_f32 v6, -v4, v5, 1.0
	s_delay_alu instid0(VALU_DEP_1) | instskip(SKIP_1) | instid1(VALU_DEP_1)
	v_fmac_f32_e32 v5, v6, v5
	v_div_scale_f32 v7, vcc_lo, s2, v0, s2
	v_mul_f32_e32 v6, v7, v5
	s_delay_alu instid0(VALU_DEP_1) | instskip(NEXT) | instid1(VALU_DEP_1)
	v_fma_f32 v8, -v4, v6, v7
	v_fmac_f32_e32 v6, v8, v5
	s_delay_alu instid0(VALU_DEP_1) | instskip(NEXT) | instid1(VALU_DEP_1)
	v_fma_f32 v4, -v4, v6, v7
	v_div_fmas_f32 v4, v4, v5, v6
	s_delay_alu instid0(VALU_DEP_1)
	v_div_fixup_f32 v0, v4, v0, s2
	s_add_u32 s2, s4, s0
	s_addc_u32 s3, s5, s1
	s_add_u32 s0, s6, s0
	s_addc_u32 s1, s7, s1
	v_mul_f32_e32 v0, v2, v0
	s_clause 0x1
	global_store_b32 v3, v0, s[2:3]
	global_store_b32 v3, v1, s[0:1]
.LBB123_9:
	s_nop 0
	s_sendmsg sendmsg(MSG_DEALLOC_VGPRS)
	s_endpgm
	.section	.rodata,"a",@progbits
	.p2align	6, 0x0
	.amdhsa_kernel _ZN5aiter24topk_softplus_kernel_optI6__halffLi64ELb1ELi0EEEvPKT_PKT0_PfPimiif
		.amdhsa_group_segment_fixed_size 0
		.amdhsa_private_segment_fixed_size 0
		.amdhsa_kernarg_size 52
		.amdhsa_user_sgpr_count 15
		.amdhsa_user_sgpr_dispatch_ptr 0
		.amdhsa_user_sgpr_queue_ptr 0
		.amdhsa_user_sgpr_kernarg_segment_ptr 1
		.amdhsa_user_sgpr_dispatch_id 0
		.amdhsa_user_sgpr_private_segment_size 0
		.amdhsa_wavefront_size32 1
		.amdhsa_uses_dynamic_stack 0
		.amdhsa_enable_private_segment 0
		.amdhsa_system_sgpr_workgroup_id_x 1
		.amdhsa_system_sgpr_workgroup_id_y 0
		.amdhsa_system_sgpr_workgroup_id_z 0
		.amdhsa_system_sgpr_workgroup_info 0
		.amdhsa_system_vgpr_workitem_id 0
		.amdhsa_next_free_vgpr 18
		.amdhsa_next_free_sgpr 16
		.amdhsa_reserve_vcc 1
		.amdhsa_float_round_mode_32 0
		.amdhsa_float_round_mode_16_64 0
		.amdhsa_float_denorm_mode_32 3
		.amdhsa_float_denorm_mode_16_64 3
		.amdhsa_dx10_clamp 1
		.amdhsa_ieee_mode 1
		.amdhsa_fp16_overflow 0
		.amdhsa_workgroup_processor_mode 1
		.amdhsa_memory_ordered 1
		.amdhsa_forward_progress 0
		.amdhsa_shared_vgpr_count 0
		.amdhsa_exception_fp_ieee_invalid_op 0
		.amdhsa_exception_fp_denorm_src 0
		.amdhsa_exception_fp_ieee_div_zero 0
		.amdhsa_exception_fp_ieee_overflow 0
		.amdhsa_exception_fp_ieee_underflow 0
		.amdhsa_exception_fp_ieee_inexact 0
		.amdhsa_exception_int_div_zero 0
	.end_amdhsa_kernel
	.section	.text._ZN5aiter24topk_softplus_kernel_optI6__halffLi64ELb1ELi0EEEvPKT_PKT0_PfPimiif,"axG",@progbits,_ZN5aiter24topk_softplus_kernel_optI6__halffLi64ELb1ELi0EEEvPKT_PKT0_PfPimiif,comdat
.Lfunc_end123:
	.size	_ZN5aiter24topk_softplus_kernel_optI6__halffLi64ELb1ELi0EEEvPKT_PKT0_PfPimiif, .Lfunc_end123-_ZN5aiter24topk_softplus_kernel_optI6__halffLi64ELb1ELi0EEEvPKT_PKT0_PfPimiif
                                        ; -- End function
	.section	.AMDGPU.csdata,"",@progbits
; Kernel info:
; codeLenInByte = 1352
; NumSgprs: 18
; NumVgprs: 18
; ScratchSize: 0
; MemoryBound: 0
; FloatMode: 240
; IeeeMode: 1
; LDSByteSize: 0 bytes/workgroup (compile time only)
; SGPRBlocks: 2
; VGPRBlocks: 2
; NumSGPRsForWavesPerEU: 18
; NumVGPRsForWavesPerEU: 18
; Occupancy: 16
; WaveLimiterHint : 0
; COMPUTE_PGM_RSRC2:SCRATCH_EN: 0
; COMPUTE_PGM_RSRC2:USER_SGPR: 15
; COMPUTE_PGM_RSRC2:TRAP_HANDLER: 0
; COMPUTE_PGM_RSRC2:TGID_X_EN: 1
; COMPUTE_PGM_RSRC2:TGID_Y_EN: 0
; COMPUTE_PGM_RSRC2:TGID_Z_EN: 0
; COMPUTE_PGM_RSRC2:TIDIG_COMP_CNT: 0
	.section	.text._ZN5aiter24topk_softplus_kernel_optI6__halffLi64ELb0ELi0EEEvPKT_PKT0_PfPimiif,"axG",@progbits,_ZN5aiter24topk_softplus_kernel_optI6__halffLi64ELb0ELi0EEEvPKT_PKT0_PfPimiif,comdat
	.protected	_ZN5aiter24topk_softplus_kernel_optI6__halffLi64ELb0ELi0EEEvPKT_PKT0_PfPimiif ; -- Begin function _ZN5aiter24topk_softplus_kernel_optI6__halffLi64ELb0ELi0EEEvPKT_PKT0_PfPimiif
	.globl	_ZN5aiter24topk_softplus_kernel_optI6__halffLi64ELb0ELi0EEEvPKT_PKT0_PfPimiif
	.p2align	8
	.type	_ZN5aiter24topk_softplus_kernel_optI6__halffLi64ELb0ELi0EEEvPKT_PKT0_PfPimiif,@function
_ZN5aiter24topk_softplus_kernel_optI6__halffLi64ELb0ELi0EEEvPKT_PKT0_PfPimiif: ; @_ZN5aiter24topk_softplus_kernel_optI6__halffLi64ELb0ELi0EEEvPKT_PKT0_PfPimiif
; %bb.0:
	s_load_b128 s[4:7], s[0:1], 0x0
	s_lshl_b32 s2, s15, 6
	v_lshlrev_b32_e32 v1, 1, v0
	s_ashr_i32 s3, s2, 31
	s_delay_alu instid0(SALU_CYCLE_1)
	s_lshl_b64 s[2:3], s[2:3], 1
	s_waitcnt lgkmcnt(0)
	s_add_u32 s8, s4, s2
	s_addc_u32 s9, s5, s3
	s_mov_b32 s4, 0x3fb8aa3b
	global_load_u16 v2, v1, s[8:9]
	s_cmp_lg_u64 s[6:7], 0
	s_cselect_b32 s3, -1, 0
	s_waitcnt vmcnt(0)
	v_cvt_f32_f16_e32 v3, v2
	s_delay_alu instid0(VALU_DEP_1) | instskip(NEXT) | instid1(VALU_DEP_1)
	v_mul_f32_e32 v4, 0x3fb8aa3b, v3
	v_cmp_gt_f32_e32 vcc_lo, 0xc2fc0000, v4
	v_cndmask_b32_e64 v4, 0, 0x42800000, vcc_lo
	v_cndmask_b32_e64 v5, 1.0, 0x1f800000, vcc_lo
	s_delay_alu instid0(VALU_DEP_2) | instskip(NEXT) | instid1(VALU_DEP_1)
	v_fma_mix_f32 v4, v2, s4, v4 op_sel_hi:[1,0,0]
	v_exp_f32_e32 v4, v4
	s_waitcnt_depctr 0xfff
	v_fma_f32 v4, v4, v5, 1.0
	s_delay_alu instid0(VALU_DEP_1) | instskip(SKIP_1) | instid1(VALU_DEP_1)
	v_cmp_gt_f32_e32 vcc_lo, 0x800000, v4
	v_cndmask_b32_e64 v5, 1.0, 0x4f800000, vcc_lo
	v_mul_f32_e32 v4, v4, v5
	v_cndmask_b32_e64 v5, 0, 0x42000000, vcc_lo
	v_cmp_lt_f16_e32 vcc_lo, 0x4d00, v2
	s_delay_alu instid0(VALU_DEP_3) | instskip(SKIP_2) | instid1(VALU_DEP_1)
	v_log_f32_e32 v4, v4
	s_waitcnt_depctr 0xfff
	v_sub_f32_e32 v4, v4, v5
	v_mul_f32_e32 v4, 0x3f317218, v4
	s_delay_alu instid0(VALU_DEP_1) | instskip(NEXT) | instid1(VALU_DEP_1)
	v_cndmask_b32_e32 v2, v4, v3, vcc_lo
	v_mul_f32_e32 v3, 0x4f800000, v2
	v_cmp_gt_f32_e32 vcc_lo, 0xf800000, v2
	s_delay_alu instid0(VALU_DEP_2) | instskip(NEXT) | instid1(VALU_DEP_1)
	v_cndmask_b32_e32 v2, v2, v3, vcc_lo
	v_sqrt_f32_e32 v3, v2
	s_waitcnt_depctr 0xfff
	v_add_nc_u32_e32 v4, -1, v3
	v_add_nc_u32_e32 v5, 1, v3
	s_delay_alu instid0(VALU_DEP_2) | instskip(NEXT) | instid1(VALU_DEP_2)
	v_fma_f32 v6, -v4, v3, v2
	v_fma_f32 v7, -v5, v3, v2
	s_delay_alu instid0(VALU_DEP_2) | instskip(NEXT) | instid1(VALU_DEP_1)
	v_cmp_ge_f32_e64 s2, 0, v6
	v_cndmask_b32_e64 v3, v3, v4, s2
	s_delay_alu instid0(VALU_DEP_3) | instskip(NEXT) | instid1(VALU_DEP_1)
	v_cmp_lt_f32_e64 s2, 0, v7
	v_cndmask_b32_e64 v3, v3, v5, s2
	v_add_co_u32 v1, s2, s8, v1
	s_delay_alu instid0(VALU_DEP_2) | instskip(NEXT) | instid1(VALU_DEP_1)
	v_mul_f32_e32 v4, 0x37800000, v3
	v_cndmask_b32_e32 v3, v3, v4, vcc_lo
	v_cmp_class_f32_e64 vcc_lo, v2, 0x260
	s_delay_alu instid0(VALU_DEP_2) | instskip(SKIP_2) | instid1(VALU_DEP_2)
	v_dual_cndmask_b32 v4, v3, v2 :: v_dual_lshlrev_b32 v3, 2, v0
	v_add_co_ci_u32_e64 v2, null, s9, 0, s2
	s_and_b32 vcc_lo, exec_lo, s3
	v_mov_b32_e32 v5, v4
	s_cbranch_vccz .LBB124_2
; %bb.1:
	global_load_b32 v5, v3, s[6:7]
	s_waitcnt vmcnt(0)
	v_add_f32_e32 v5, v4, v5
.LBB124_2:
	global_load_u16 v1, v[1:2], off offset:64
	s_waitcnt vmcnt(0)
	v_cvt_f32_f16_e32 v2, v1
	s_delay_alu instid0(VALU_DEP_1) | instskip(NEXT) | instid1(VALU_DEP_1)
	v_mul_f32_e32 v6, 0x3fb8aa3b, v2
	v_cmp_gt_f32_e32 vcc_lo, 0xc2fc0000, v6
	v_cndmask_b32_e64 v7, 0, 0x42800000, vcc_lo
	v_cndmask_b32_e64 v6, 1.0, 0x1f800000, vcc_lo
	s_delay_alu instid0(VALU_DEP_2) | instskip(NEXT) | instid1(VALU_DEP_1)
	v_fma_mix_f32 v7, v1, s4, v7 op_sel_hi:[1,0,0]
	v_exp_f32_e32 v7, v7
	s_waitcnt_depctr 0xfff
	v_fma_f32 v6, v7, v6, 1.0
	s_delay_alu instid0(VALU_DEP_1) | instskip(SKIP_1) | instid1(VALU_DEP_1)
	v_cmp_gt_f32_e32 vcc_lo, 0x800000, v6
	v_cndmask_b32_e64 v7, 1.0, 0x4f800000, vcc_lo
	v_mul_f32_e32 v6, v6, v7
	v_cndmask_b32_e64 v7, 0, 0x42000000, vcc_lo
	v_cmp_lt_f16_e32 vcc_lo, 0x4d00, v1
	s_delay_alu instid0(VALU_DEP_3) | instskip(SKIP_2) | instid1(VALU_DEP_1)
	v_log_f32_e32 v6, v6
	s_waitcnt_depctr 0xfff
	v_sub_f32_e32 v6, v6, v7
	v_mul_f32_e32 v6, 0x3f317218, v6
	s_delay_alu instid0(VALU_DEP_1) | instskip(NEXT) | instid1(VALU_DEP_1)
	v_cndmask_b32_e32 v1, v6, v2, vcc_lo
	v_mul_f32_e32 v2, 0x4f800000, v1
	v_cmp_gt_f32_e32 vcc_lo, 0xf800000, v1
	s_delay_alu instid0(VALU_DEP_2) | instskip(NEXT) | instid1(VALU_DEP_1)
	v_cndmask_b32_e32 v1, v1, v2, vcc_lo
	v_sqrt_f32_e32 v2, v1
	s_waitcnt_depctr 0xfff
	v_add_nc_u32_e32 v7, 1, v2
	v_add_nc_u32_e32 v6, -1, v2
	s_delay_alu instid0(VALU_DEP_2) | instskip(NEXT) | instid1(VALU_DEP_2)
	v_fma_f32 v9, -v7, v2, v1
	v_fma_f32 v8, -v6, v2, v1
	s_delay_alu instid0(VALU_DEP_1) | instskip(NEXT) | instid1(VALU_DEP_1)
	v_cmp_ge_f32_e64 s2, 0, v8
	v_cndmask_b32_e64 v2, v2, v6, s2
	s_delay_alu instid0(VALU_DEP_4) | instskip(NEXT) | instid1(VALU_DEP_1)
	v_cmp_lt_f32_e64 s2, 0, v9
	v_cndmask_b32_e64 v2, v2, v7, s2
	s_delay_alu instid0(VALU_DEP_1) | instskip(NEXT) | instid1(VALU_DEP_1)
	v_mul_f32_e32 v6, 0x37800000, v2
	v_cndmask_b32_e32 v2, v2, v6, vcc_lo
	v_cmp_class_f32_e64 vcc_lo, v1, 0x260
	s_delay_alu instid0(VALU_DEP_2) | instskip(SKIP_1) | instid1(VALU_DEP_1)
	v_cndmask_b32_e32 v2, v2, v1, vcc_lo
	s_and_not1_b32 vcc_lo, exec_lo, s3
	v_mov_b32_e32 v9, v2
	s_cbranch_vccnz .LBB124_4
; %bb.3:
	global_load_b32 v1, v3, s[6:7] offset:128
	s_waitcnt vmcnt(0)
	v_add_f32_e32 v9, v2, v1
.LBB124_4:
	s_clause 0x1
	s_load_b32 s8, s[0:1], 0x28
	s_load_b128 s[4:7], s[0:1], 0x10
	v_mov_b32_e32 v1, 0
	s_waitcnt lgkmcnt(0)
	s_cmp_gt_i32 s8, 0
	s_cbranch_scc0 .LBB124_10
; %bb.5:
	v_cmp_lt_f32_e32 vcc_lo, v5, v9
	v_add_nc_u32_e32 v1, 32, v0
	s_mov_b32 s9, 0x76543210
	s_mov_b32 s10, s8
	v_mov_b32_e32 v10, 0
	v_cndmask_b32_e32 v8, v9, v5, vcc_lo
	v_dual_cndmask_b32 v6, v1, v0 :: v_dual_cndmask_b32 v7, v0, v1
	v_cndmask_b32_e32 v5, v5, v9, vcc_lo
	v_dual_cndmask_b32 v9, v2, v4 :: v_dual_cndmask_b32 v4, v4, v2
	v_dual_mov_b32 v2, 0 :: v_dual_mov_b32 v11, v0
	v_mov_b32_e32 v1, 0
.LBB124_6:                              ; =>This Inner Loop Header: Depth=1
	v_cmp_eq_u32_e32 vcc_lo, 1, v10
	v_cmp_gt_u32_e64 s2, 2, v10
	v_cndmask_b32_e32 v12, v5, v8, vcc_lo
	s_delay_alu instid0(VALU_DEP_1)
	v_cndmask_b32_e64 v12, 0xff800000, v12, s2
	;;#ASMSTART
	v_max_f32 v13, v12, v12 quad_perm:[1,0,3,2] row_mask:0xf bank_mask:0xf bound_ctrl:1
	;;#ASMEND
	;;#ASMSTART
	v_max_f32 v14, v13, v13 quad_perm:[2,3,0,1] row_mask:0xf bank_mask:0xf bound_ctrl:1
	;;#ASMEND
	;;#ASMSTART
	v_max_f32 v13, v14, v14 row_half_mirror row_mask:0xf bank_mask:0xf bound_ctrl:1
	;;#ASMEND
	;;#ASMSTART
	v_max_f32 v14, v13, v13 row_mirror row_mask:0xf bank_mask:0xf bound_ctrl:1
	;;#ASMEND
	v_permlanex16_b32 v13, v14, s9, 0xfedcba98 op_sel:[1,1]
	s_delay_alu instid0(VALU_DEP_1) | instskip(NEXT) | instid1(VALU_DEP_1)
	v_dual_max_f32 v14, v14, v14 :: v_dual_max_f32 v13, v13, v13
	v_dual_max_f32 v13, v14, v13 :: v_dual_cndmask_b32 v14, v7, v6
	s_delay_alu instid0(VALU_DEP_1) | instskip(NEXT) | instid1(VALU_DEP_2)
	v_cmp_eq_f32_e64 s3, v12, v13
	v_cndmask_b32_e64 v12, 0, v14, s2
	s_delay_alu instid0(VALU_DEP_2)
	s_ctz_i32_b32 s11, s3
	s_cmp_lg_u32 s3, 0
	s_cselect_b32 s3, s11, 0
	s_add_i32 s10, s10, -1
	v_readlane_b32 s3, v12, s3
	v_cndmask_b32_e32 v12, v4, v9, vcc_lo
	s_delay_alu instid0(VALU_DEP_2) | instskip(SKIP_2) | instid1(VALU_DEP_2)
	v_cmp_eq_u32_e32 vcc_lo, s3, v14
	s_and_b32 vcc_lo, s2, vcc_lo
	s_and_b32 s2, s3, 31
	v_cndmask_b32_e32 v12, 0, v12, vcc_lo
	v_add_co_ci_u32_e32 v10, vcc_lo, 0, v10, vcc_lo
	s_cmp_eq_u32 s10, 0
	s_delay_alu instid0(VALU_DEP_2) | instskip(SKIP_2) | instid1(VALU_DEP_2)
	v_readlane_b32 s11, v12, s2
	v_cmp_eq_u32_e64 s2, 0, v11
	v_add_nc_u32_e32 v11, -1, v11
	v_cndmask_b32_e64 v2, v2, s11, s2
	v_cndmask_b32_e64 v1, v1, s3, s2
	s_cbranch_scc0 .LBB124_6
; %bb.7:
	s_mov_b32 s2, exec_lo
	v_cmpx_gt_i32_e64 s8, v0
	s_cbranch_execz .LBB124_9
.LBB124_8:
	s_clause 0x1
	s_load_b64 s[2:3], s[0:1], 0x20
	s_load_b32 s8, s[0:1], 0x30
	s_ashr_i32 s0, s15, 31
	s_waitcnt lgkmcnt(0)
	s_mul_i32 s1, s15, s3
	s_mul_hi_u32 s3, s15, s2
	s_mul_i32 s0, s0, s2
	s_add_i32 s1, s3, s1
	v_mul_f32_e32 v0, s8, v2
	s_add_i32 s1, s1, s0
	s_mul_i32 s0, s15, s2
	s_delay_alu instid0(SALU_CYCLE_1) | instskip(NEXT) | instid1(SALU_CYCLE_1)
	s_lshl_b64 s[0:1], s[0:1], 2
	s_add_u32 s2, s4, s0
	s_addc_u32 s3, s5, s1
	s_add_u32 s0, s6, s0
	s_addc_u32 s1, s7, s1
	s_clause 0x1
	global_store_b32 v3, v0, s[2:3]
	global_store_b32 v3, v1, s[0:1]
.LBB124_9:
	s_nop 0
	s_sendmsg sendmsg(MSG_DEALLOC_VGPRS)
	s_endpgm
.LBB124_10:
	v_mov_b32_e32 v2, 0
	s_mov_b32 s2, exec_lo
	v_cmpx_gt_i32_e64 s8, v0
	s_cbranch_execnz .LBB124_8
	s_branch .LBB124_9
	.section	.rodata,"a",@progbits
	.p2align	6, 0x0
	.amdhsa_kernel _ZN5aiter24topk_softplus_kernel_optI6__halffLi64ELb0ELi0EEEvPKT_PKT0_PfPimiif
		.amdhsa_group_segment_fixed_size 0
		.amdhsa_private_segment_fixed_size 0
		.amdhsa_kernarg_size 52
		.amdhsa_user_sgpr_count 15
		.amdhsa_user_sgpr_dispatch_ptr 0
		.amdhsa_user_sgpr_queue_ptr 0
		.amdhsa_user_sgpr_kernarg_segment_ptr 1
		.amdhsa_user_sgpr_dispatch_id 0
		.amdhsa_user_sgpr_private_segment_size 0
		.amdhsa_wavefront_size32 1
		.amdhsa_uses_dynamic_stack 0
		.amdhsa_enable_private_segment 0
		.amdhsa_system_sgpr_workgroup_id_x 1
		.amdhsa_system_sgpr_workgroup_id_y 0
		.amdhsa_system_sgpr_workgroup_id_z 0
		.amdhsa_system_sgpr_workgroup_info 0
		.amdhsa_system_vgpr_workitem_id 0
		.amdhsa_next_free_vgpr 15
		.amdhsa_next_free_sgpr 16
		.amdhsa_reserve_vcc 1
		.amdhsa_float_round_mode_32 0
		.amdhsa_float_round_mode_16_64 0
		.amdhsa_float_denorm_mode_32 3
		.amdhsa_float_denorm_mode_16_64 3
		.amdhsa_dx10_clamp 1
		.amdhsa_ieee_mode 1
		.amdhsa_fp16_overflow 0
		.amdhsa_workgroup_processor_mode 1
		.amdhsa_memory_ordered 1
		.amdhsa_forward_progress 0
		.amdhsa_shared_vgpr_count 0
		.amdhsa_exception_fp_ieee_invalid_op 0
		.amdhsa_exception_fp_denorm_src 0
		.amdhsa_exception_fp_ieee_div_zero 0
		.amdhsa_exception_fp_ieee_overflow 0
		.amdhsa_exception_fp_ieee_underflow 0
		.amdhsa_exception_fp_ieee_inexact 0
		.amdhsa_exception_int_div_zero 0
	.end_amdhsa_kernel
	.section	.text._ZN5aiter24topk_softplus_kernel_optI6__halffLi64ELb0ELi0EEEvPKT_PKT0_PfPimiif,"axG",@progbits,_ZN5aiter24topk_softplus_kernel_optI6__halffLi64ELb0ELi0EEEvPKT_PKT0_PfPimiif,comdat
.Lfunc_end124:
	.size	_ZN5aiter24topk_softplus_kernel_optI6__halffLi64ELb0ELi0EEEvPKT_PKT0_PfPimiif, .Lfunc_end124-_ZN5aiter24topk_softplus_kernel_optI6__halffLi64ELb0ELi0EEEvPKT_PKT0_PfPimiif
                                        ; -- End function
	.section	.AMDGPU.csdata,"",@progbits
; Kernel info:
; codeLenInByte = 1256
; NumSgprs: 18
; NumVgprs: 15
; ScratchSize: 0
; MemoryBound: 0
; FloatMode: 240
; IeeeMode: 1
; LDSByteSize: 0 bytes/workgroup (compile time only)
; SGPRBlocks: 2
; VGPRBlocks: 1
; NumSGPRsForWavesPerEU: 18
; NumVGPRsForWavesPerEU: 15
; Occupancy: 16
; WaveLimiterHint : 0
; COMPUTE_PGM_RSRC2:SCRATCH_EN: 0
; COMPUTE_PGM_RSRC2:USER_SGPR: 15
; COMPUTE_PGM_RSRC2:TRAP_HANDLER: 0
; COMPUTE_PGM_RSRC2:TGID_X_EN: 1
; COMPUTE_PGM_RSRC2:TGID_Y_EN: 0
; COMPUTE_PGM_RSRC2:TGID_Z_EN: 0
; COMPUTE_PGM_RSRC2:TIDIG_COMP_CNT: 0
	.section	.text._ZN5aiter24topk_softplus_kernel_optI6__halffLi128ELb1ELi0EEEvPKT_PKT0_PfPimiif,"axG",@progbits,_ZN5aiter24topk_softplus_kernel_optI6__halffLi128ELb1ELi0EEEvPKT_PKT0_PfPimiif,comdat
	.protected	_ZN5aiter24topk_softplus_kernel_optI6__halffLi128ELb1ELi0EEEvPKT_PKT0_PfPimiif ; -- Begin function _ZN5aiter24topk_softplus_kernel_optI6__halffLi128ELb1ELi0EEEvPKT_PKT0_PfPimiif
	.globl	_ZN5aiter24topk_softplus_kernel_optI6__halffLi128ELb1ELi0EEEvPKT_PKT0_PfPimiif
	.p2align	8
	.type	_ZN5aiter24topk_softplus_kernel_optI6__halffLi128ELb1ELi0EEEvPKT_PKT0_PfPimiif,@function
_ZN5aiter24topk_softplus_kernel_optI6__halffLi128ELb1ELi0EEEvPKT_PKT0_PfPimiif: ; @_ZN5aiter24topk_softplus_kernel_optI6__halffLi128ELb1ELi0EEEvPKT_PKT0_PfPimiif
; %bb.0:
	s_load_b128 s[4:7], s[0:1], 0x0
	s_lshl_b32 s2, s15, 7
	v_lshlrev_b32_e32 v1, 1, v0
	s_ashr_i32 s3, s2, 31
	s_delay_alu instid0(SALU_CYCLE_1)
	s_lshl_b64 s[2:3], s[2:3], 1
	s_waitcnt lgkmcnt(0)
	s_add_u32 s8, s4, s2
	s_addc_u32 s9, s5, s3
	s_mov_b32 s4, 0x3fb8aa3b
	global_load_u16 v2, v1, s[8:9]
	s_cmp_lg_u64 s[6:7], 0
	s_cselect_b32 s3, -1, 0
	s_waitcnt vmcnt(0)
	v_cvt_f32_f16_e32 v3, v2
	s_delay_alu instid0(VALU_DEP_1) | instskip(NEXT) | instid1(VALU_DEP_1)
	v_mul_f32_e32 v4, 0x3fb8aa3b, v3
	v_cmp_gt_f32_e32 vcc_lo, 0xc2fc0000, v4
	v_cndmask_b32_e64 v4, 0, 0x42800000, vcc_lo
	v_cndmask_b32_e64 v5, 1.0, 0x1f800000, vcc_lo
	s_delay_alu instid0(VALU_DEP_2) | instskip(NEXT) | instid1(VALU_DEP_1)
	v_fma_mix_f32 v4, v2, s4, v4 op_sel_hi:[1,0,0]
	v_exp_f32_e32 v4, v4
	s_waitcnt_depctr 0xfff
	v_fma_f32 v4, v4, v5, 1.0
	s_delay_alu instid0(VALU_DEP_1) | instskip(SKIP_1) | instid1(VALU_DEP_1)
	v_cmp_gt_f32_e32 vcc_lo, 0x800000, v4
	v_cndmask_b32_e64 v5, 1.0, 0x4f800000, vcc_lo
	v_mul_f32_e32 v4, v4, v5
	v_cndmask_b32_e64 v5, 0, 0x42000000, vcc_lo
	v_cmp_lt_f16_e32 vcc_lo, 0x4d00, v2
	s_delay_alu instid0(VALU_DEP_3) | instskip(SKIP_2) | instid1(VALU_DEP_1)
	v_log_f32_e32 v4, v4
	s_waitcnt_depctr 0xfff
	v_sub_f32_e32 v4, v4, v5
	v_mul_f32_e32 v4, 0x3f317218, v4
	s_delay_alu instid0(VALU_DEP_1) | instskip(NEXT) | instid1(VALU_DEP_1)
	v_cndmask_b32_e32 v2, v4, v3, vcc_lo
	v_mul_f32_e32 v3, 0x4f800000, v2
	v_cmp_gt_f32_e32 vcc_lo, 0xf800000, v2
	s_delay_alu instid0(VALU_DEP_2) | instskip(NEXT) | instid1(VALU_DEP_1)
	v_cndmask_b32_e32 v2, v2, v3, vcc_lo
	v_sqrt_f32_e32 v3, v2
	s_waitcnt_depctr 0xfff
	v_add_nc_u32_e32 v4, -1, v3
	v_add_nc_u32_e32 v5, 1, v3
	s_delay_alu instid0(VALU_DEP_2) | instskip(NEXT) | instid1(VALU_DEP_2)
	v_fma_f32 v6, -v4, v3, v2
	v_fma_f32 v7, -v5, v3, v2
	s_delay_alu instid0(VALU_DEP_2) | instskip(NEXT) | instid1(VALU_DEP_1)
	v_cmp_ge_f32_e64 s2, 0, v6
	v_cndmask_b32_e64 v3, v3, v4, s2
	s_delay_alu instid0(VALU_DEP_3) | instskip(NEXT) | instid1(VALU_DEP_1)
	v_cmp_lt_f32_e64 s2, 0, v7
	v_cndmask_b32_e64 v3, v3, v5, s2
	v_add_co_u32 v1, s2, s8, v1
	s_delay_alu instid0(VALU_DEP_2) | instskip(NEXT) | instid1(VALU_DEP_1)
	v_mul_f32_e32 v4, 0x37800000, v3
	v_cndmask_b32_e32 v3, v3, v4, vcc_lo
	v_cmp_class_f32_e64 vcc_lo, v2, 0x260
	s_delay_alu instid0(VALU_DEP_2) | instskip(SKIP_3) | instid1(VALU_DEP_3)
	v_cndmask_b32_e32 v5, v3, v2, vcc_lo
	v_lshlrev_b32_e32 v3, 2, v0
	v_add_co_ci_u32_e64 v2, null, s9, 0, s2
	s_and_b32 vcc_lo, exec_lo, s3
	v_mov_b32_e32 v6, v5
	s_cbranch_vccz .LBB125_2
; %bb.1:
	global_load_b32 v4, v3, s[6:7]
	s_waitcnt vmcnt(0)
	v_add_f32_e32 v6, v5, v4
.LBB125_2:
	global_load_u16 v4, v[1:2], off offset:64
	s_waitcnt vmcnt(0)
	v_cvt_f32_f16_e32 v7, v4
	s_delay_alu instid0(VALU_DEP_1) | instskip(NEXT) | instid1(VALU_DEP_1)
	v_mul_f32_e32 v8, 0x3fb8aa3b, v7
	v_cmp_gt_f32_e32 vcc_lo, 0xc2fc0000, v8
	v_cndmask_b32_e64 v9, 0, 0x42800000, vcc_lo
	v_cndmask_b32_e64 v8, 1.0, 0x1f800000, vcc_lo
	s_delay_alu instid0(VALU_DEP_2) | instskip(NEXT) | instid1(VALU_DEP_1)
	v_fma_mix_f32 v9, v4, s4, v9 op_sel_hi:[1,0,0]
	v_exp_f32_e32 v9, v9
	s_waitcnt_depctr 0xfff
	v_fma_f32 v8, v9, v8, 1.0
	s_delay_alu instid0(VALU_DEP_1) | instskip(SKIP_1) | instid1(VALU_DEP_1)
	v_cmp_gt_f32_e32 vcc_lo, 0x800000, v8
	v_cndmask_b32_e64 v9, 1.0, 0x4f800000, vcc_lo
	v_mul_f32_e32 v8, v8, v9
	v_cndmask_b32_e64 v9, 0, 0x42000000, vcc_lo
	v_cmp_lt_f16_e32 vcc_lo, 0x4d00, v4
	s_delay_alu instid0(VALU_DEP_3) | instskip(SKIP_2) | instid1(VALU_DEP_1)
	v_log_f32_e32 v8, v8
	s_waitcnt_depctr 0xfff
	v_sub_f32_e32 v8, v8, v9
	v_mul_f32_e32 v8, 0x3f317218, v8
	s_delay_alu instid0(VALU_DEP_1) | instskip(NEXT) | instid1(VALU_DEP_1)
	v_cndmask_b32_e32 v4, v8, v7, vcc_lo
	v_mul_f32_e32 v7, 0x4f800000, v4
	v_cmp_gt_f32_e32 vcc_lo, 0xf800000, v4
	s_delay_alu instid0(VALU_DEP_2) | instskip(NEXT) | instid1(VALU_DEP_1)
	v_cndmask_b32_e32 v7, v4, v7, vcc_lo
	v_sqrt_f32_e32 v4, v7
	s_waitcnt_depctr 0xfff
	v_add_nc_u32_e32 v8, -1, v4
	v_add_nc_u32_e32 v9, 1, v4
	s_delay_alu instid0(VALU_DEP_2) | instskip(NEXT) | instid1(VALU_DEP_2)
	v_fma_f32 v10, -v8, v4, v7
	v_fma_f32 v11, -v9, v4, v7
	s_delay_alu instid0(VALU_DEP_2) | instskip(NEXT) | instid1(VALU_DEP_1)
	v_cmp_ge_f32_e64 s2, 0, v10
	v_cndmask_b32_e64 v4, v4, v8, s2
	s_delay_alu instid0(VALU_DEP_3) | instskip(NEXT) | instid1(VALU_DEP_1)
	v_cmp_lt_f32_e64 s2, 0, v11
	v_cndmask_b32_e64 v4, v4, v9, s2
	s_delay_alu instid0(VALU_DEP_1) | instskip(NEXT) | instid1(VALU_DEP_1)
	v_mul_f32_e32 v8, 0x37800000, v4
	v_cndmask_b32_e32 v8, v4, v8, vcc_lo
	v_cmp_class_f32_e64 vcc_lo, v7, 0x260
	v_cndmask_b32_e64 v4, 0, 1, s3
	s_delay_alu instid0(VALU_DEP_3) | instskip(SKIP_1) | instid1(VALU_DEP_1)
	v_cndmask_b32_e32 v9, v8, v7, vcc_lo
	s_and_not1_b32 vcc_lo, exec_lo, s3
	v_mov_b32_e32 v12, v9
	s_cbranch_vccnz .LBB125_4
; %bb.3:
	global_load_b32 v7, v3, s[6:7] offset:128
	s_waitcnt vmcnt(0)
	v_add_f32_e32 v12, v9, v7
.LBB125_4:
	global_load_u16 v7, v[1:2], off offset:128
	s_mov_b32 s3, 0x3fb8aa3b
	s_waitcnt vmcnt(0)
	v_cvt_f32_f16_e32 v8, v7
	s_delay_alu instid0(VALU_DEP_1) | instskip(NEXT) | instid1(VALU_DEP_1)
	v_mul_f32_e32 v10, 0x3fb8aa3b, v8
	v_cmp_gt_f32_e32 vcc_lo, 0xc2fc0000, v10
	v_cndmask_b32_e64 v11, 0, 0x42800000, vcc_lo
	v_cndmask_b32_e64 v10, 1.0, 0x1f800000, vcc_lo
	s_delay_alu instid0(VALU_DEP_2) | instskip(NEXT) | instid1(VALU_DEP_1)
	v_fma_mix_f32 v11, v7, s3, v11 op_sel_hi:[1,0,0]
	v_exp_f32_e32 v11, v11
	s_waitcnt_depctr 0xfff
	v_fma_f32 v10, v11, v10, 1.0
	s_delay_alu instid0(VALU_DEP_1) | instskip(SKIP_1) | instid1(VALU_DEP_1)
	v_cmp_gt_f32_e32 vcc_lo, 0x800000, v10
	v_cndmask_b32_e64 v11, 1.0, 0x4f800000, vcc_lo
	v_mul_f32_e32 v10, v10, v11
	v_cndmask_b32_e64 v11, 0, 0x42000000, vcc_lo
	v_cmp_lt_f16_e32 vcc_lo, 0x4d00, v7
	s_delay_alu instid0(VALU_DEP_3) | instskip(SKIP_2) | instid1(VALU_DEP_1)
	v_log_f32_e32 v10, v10
	s_waitcnt_depctr 0xfff
	v_sub_f32_e32 v10, v10, v11
	v_mul_f32_e32 v10, 0x3f317218, v10
	s_delay_alu instid0(VALU_DEP_1) | instskip(NEXT) | instid1(VALU_DEP_1)
	v_cndmask_b32_e32 v7, v10, v8, vcc_lo
	v_mul_f32_e32 v8, 0x4f800000, v7
	v_cmp_gt_f32_e32 vcc_lo, 0xf800000, v7
	s_delay_alu instid0(VALU_DEP_2) | instskip(NEXT) | instid1(VALU_DEP_1)
	v_cndmask_b32_e32 v7, v7, v8, vcc_lo
	v_sqrt_f32_e32 v8, v7
	s_waitcnt_depctr 0xfff
	v_add_nc_u32_e32 v10, -1, v8
	v_add_nc_u32_e32 v11, 1, v8
	s_delay_alu instid0(VALU_DEP_2) | instskip(NEXT) | instid1(VALU_DEP_2)
	v_fma_f32 v13, -v10, v8, v7
	v_fma_f32 v14, -v11, v8, v7
	s_delay_alu instid0(VALU_DEP_2) | instskip(NEXT) | instid1(VALU_DEP_1)
	v_cmp_ge_f32_e64 s2, 0, v13
	v_cndmask_b32_e64 v8, v8, v10, s2
	s_delay_alu instid0(VALU_DEP_3) | instskip(NEXT) | instid1(VALU_DEP_1)
	v_cmp_lt_f32_e64 s2, 0, v14
	v_cndmask_b32_e64 v8, v8, v11, s2
	s_delay_alu instid0(VALU_DEP_1) | instskip(NEXT) | instid1(VALU_DEP_1)
	v_mul_f32_e32 v10, 0x37800000, v8
	v_cndmask_b32_e32 v8, v8, v10, vcc_lo
	v_cmp_class_f32_e64 vcc_lo, v7, 0x260
	s_delay_alu instid0(VALU_DEP_2) | instskip(SKIP_1) | instid1(VALU_DEP_2)
	v_cndmask_b32_e32 v11, v8, v7, vcc_lo
	v_cmp_ne_u32_e32 vcc_lo, 1, v4
	v_mov_b32_e32 v7, v11
	s_cbranch_vccnz .LBB125_6
; %bb.5:
	global_load_b32 v7, v3, s[6:7] offset:256
	s_waitcnt vmcnt(0)
	v_add_f32_e32 v7, v11, v7
.LBB125_6:
	global_load_u16 v1, v[1:2], off offset:192
	s_waitcnt vmcnt(0)
	v_cvt_f32_f16_e32 v2, v1
	s_delay_alu instid0(VALU_DEP_1) | instskip(NEXT) | instid1(VALU_DEP_1)
	v_mul_f32_e32 v8, 0x3fb8aa3b, v2
	v_cmp_gt_f32_e32 vcc_lo, 0xc2fc0000, v8
	v_cndmask_b32_e64 v10, 0, 0x42800000, vcc_lo
	v_cndmask_b32_e64 v8, 1.0, 0x1f800000, vcc_lo
	s_delay_alu instid0(VALU_DEP_2) | instskip(NEXT) | instid1(VALU_DEP_1)
	v_fma_mix_f32 v10, v1, s3, v10 op_sel_hi:[1,0,0]
	v_exp_f32_e32 v10, v10
	s_waitcnt_depctr 0xfff
	v_fma_f32 v8, v10, v8, 1.0
	s_delay_alu instid0(VALU_DEP_1) | instskip(SKIP_1) | instid1(VALU_DEP_1)
	v_cmp_gt_f32_e32 vcc_lo, 0x800000, v8
	v_cndmask_b32_e64 v10, 1.0, 0x4f800000, vcc_lo
	v_mul_f32_e32 v8, v8, v10
	v_cndmask_b32_e64 v10, 0, 0x42000000, vcc_lo
	v_cmp_lt_f16_e32 vcc_lo, 0x4d00, v1
	s_delay_alu instid0(VALU_DEP_3) | instskip(SKIP_2) | instid1(VALU_DEP_1)
	v_log_f32_e32 v8, v8
	s_waitcnt_depctr 0xfff
	v_sub_f32_e32 v8, v8, v10
	v_mul_f32_e32 v8, 0x3f317218, v8
	s_delay_alu instid0(VALU_DEP_1) | instskip(NEXT) | instid1(VALU_DEP_1)
	v_cndmask_b32_e32 v1, v8, v2, vcc_lo
	v_mul_f32_e32 v2, 0x4f800000, v1
	v_cmp_gt_f32_e32 vcc_lo, 0xf800000, v1
	s_delay_alu instid0(VALU_DEP_2) | instskip(NEXT) | instid1(VALU_DEP_1)
	v_cndmask_b32_e32 v1, v1, v2, vcc_lo
	v_sqrt_f32_e32 v2, v1
	s_waitcnt_depctr 0xfff
	v_add_nc_u32_e32 v8, -1, v2
	v_add_nc_u32_e32 v10, 1, v2
	s_delay_alu instid0(VALU_DEP_2) | instskip(NEXT) | instid1(VALU_DEP_2)
	v_fma_f32 v13, -v8, v2, v1
	v_fma_f32 v14, -v10, v2, v1
	s_delay_alu instid0(VALU_DEP_2) | instskip(NEXT) | instid1(VALU_DEP_1)
	v_cmp_ge_f32_e64 s2, 0, v13
	v_cndmask_b32_e64 v2, v2, v8, s2
	s_delay_alu instid0(VALU_DEP_3) | instskip(NEXT) | instid1(VALU_DEP_1)
	v_cmp_lt_f32_e64 s2, 0, v14
	v_cndmask_b32_e64 v2, v2, v10, s2
	s_delay_alu instid0(VALU_DEP_1) | instskip(NEXT) | instid1(VALU_DEP_1)
	v_mul_f32_e32 v8, 0x37800000, v2
	v_cndmask_b32_e32 v2, v2, v8, vcc_lo
	v_cmp_class_f32_e64 vcc_lo, v1, 0x260
	s_delay_alu instid0(VALU_DEP_2) | instskip(SKIP_1) | instid1(VALU_DEP_2)
	v_cndmask_b32_e32 v1, v2, v1, vcc_lo
	v_cmp_ne_u32_e32 vcc_lo, 1, v4
	v_mov_b32_e32 v2, v1
	s_cbranch_vccnz .LBB125_8
; %bb.7:
	global_load_b32 v2, v3, s[6:7] offset:384
	s_waitcnt vmcnt(0)
	v_add_f32_e32 v2, v1, v2
.LBB125_8:
	v_cmp_lt_f32_e32 vcc_lo, v6, v12
	v_add_nc_u32_e32 v13, 32, v0
	v_add_nc_u32_e32 v4, 0x60, v0
	s_mov_b32 s2, exec_lo
	v_dual_mov_b32 v17, v7 :: v_dual_cndmask_b32 v8, v9, v5
	v_cndmask_b32_e32 v5, v5, v9, vcc_lo
	v_dual_cndmask_b32 v14, v0, v13 :: v_dual_add_nc_u32 v15, 64, v0
	v_dual_cndmask_b32 v10, v13, v0 :: v_dual_cndmask_b32 v9, v12, v6
	v_cndmask_b32_e32 v12, v6, v12, vcc_lo
	v_cmpx_lt_f32_e32 v7, v2
	s_xor_b32 s2, exec_lo, s2
; %bb.9:
	v_dual_mov_b32 v16, v7 :: v_dual_mov_b32 v17, v2
	v_dual_mov_b32 v6, v11 :: v_dual_mov_b32 v7, v2
	s_delay_alu instid0(VALU_DEP_2)
	v_dual_mov_b32 v13, v15 :: v_dual_mov_b32 v2, v16
	v_swap_b32 v11, v1
	v_swap_b32 v15, v4
; %bb.10:
	s_or_b32 exec_lo, exec_lo, s2
	v_cmp_lt_f32_e32 vcc_lo, v12, v7
	s_mov_b32 s2, exec_lo
	s_delay_alu instid0(VALU_DEP_3) | instskip(NEXT) | instid1(VALU_DEP_3)
	v_dual_cndmask_b32 v16, v11, v5 :: v_dual_cndmask_b32 v5, v5, v11
	v_dual_cndmask_b32 v13, v15, v14 :: v_dual_cndmask_b32 v6, v14, v15
	;; [unrolled: 1-line block ×3, first 2 shown]
	v_mov_b32_e32 v15, v9
	v_cmpx_lt_f32_e32 v9, v2
; %bb.11:
	v_mov_b32_e32 v17, v9
	v_dual_mov_b32 v11, v8 :: v_dual_mov_b32 v12, v10
	v_swap_b32 v8, v1
	v_swap_b32 v10, v4
	v_mov_b32_e32 v9, v2
	v_dual_mov_b32 v15, v2 :: v_dual_mov_b32 v2, v17
; %bb.12:
	s_or_b32 exec_lo, exec_lo, s2
	s_clause 0x1
	s_load_b32 s8, s[0:1], 0x28
	s_load_b128 s[4:7], s[0:1], 0x10
	v_mov_b32_e32 v11, 0
	s_waitcnt lgkmcnt(0)
	s_cmp_lt_i32 s8, 1
	s_cbranch_scc1 .LBB125_18
; %bb.13:
	v_cmp_lt_f32_e32 vcc_lo, v9, v14
	v_mov_b32_e32 v18, v0
	s_mov_b32 s9, 0x76543210
	s_mov_b32 s10, s8
	v_dual_mov_b32 v11, 0 :: v_dual_cndmask_b32 v12, v13, v10
	v_cndmask_b32_e32 v10, v10, v13, vcc_lo
	v_dual_cndmask_b32 v13, v14, v9 :: v_dual_cndmask_b32 v14, v15, v14
	v_cndmask_b32_e32 v15, v16, v8, vcc_lo
	v_dual_cndmask_b32 v16, v8, v16 :: v_dual_mov_b32 v17, 0
	v_dual_mov_b32 v8, 0 :: v_dual_mov_b32 v9, 0
.LBB125_14:                             ; =>This Inner Loop Header: Depth=1
	s_delay_alu instid0(VALU_DEP_2) | instskip(SKIP_1) | instid1(VALU_DEP_4)
	v_cmp_eq_u32_e32 vcc_lo, 1, v17
	v_cmp_eq_u32_e64 s2, 2, v17
	v_dual_cndmask_b32 v20, v6, v10 :: v_dual_cndmask_b32 v21, v5, v16
	s_delay_alu instid0(VALU_DEP_1) | instskip(SKIP_2) | instid1(VALU_DEP_4)
	v_cndmask_b32_e64 v20, v20, v12, s2
	v_cndmask_b32_e32 v19, v7, v14, vcc_lo
	v_cmp_eq_u32_e32 vcc_lo, 3, v17
	v_cndmask_b32_e64 v21, v21, v15, s2
	s_delay_alu instid0(VALU_DEP_4) | instskip(NEXT) | instid1(VALU_DEP_4)
	v_cndmask_b32_e32 v20, v20, v4, vcc_lo
	v_cndmask_b32_e64 v19, v19, v13, s2
	v_cmp_gt_u32_e64 s2, 4, v17
	s_delay_alu instid0(VALU_DEP_2) | instskip(NEXT) | instid1(VALU_DEP_2)
	v_cndmask_b32_e32 v19, v19, v2, vcc_lo
	v_cndmask_b32_e64 v22, 0, v20, s2
	s_delay_alu instid0(VALU_DEP_2)
	v_cndmask_b32_e64 v19, 0xff800000, v19, s2
	;;#ASMSTART
	v_max_f32 v23, v19, v19 quad_perm:[1,0,3,2] row_mask:0xf bank_mask:0xf bound_ctrl:1
	;;#ASMEND
	;;#ASMSTART
	v_max_f32 v24, v23, v23 quad_perm:[2,3,0,1] row_mask:0xf bank_mask:0xf bound_ctrl:1
	;;#ASMEND
	;;#ASMSTART
	v_max_f32 v23, v24, v24 row_half_mirror row_mask:0xf bank_mask:0xf bound_ctrl:1
	;;#ASMEND
	;;#ASMSTART
	v_max_f32 v24, v23, v23 row_mirror row_mask:0xf bank_mask:0xf bound_ctrl:1
	;;#ASMEND
	v_permlanex16_b32 v23, v24, s9, 0xfedcba98 op_sel:[1,1]
	s_delay_alu instid0(VALU_DEP_1) | instskip(NEXT) | instid1(VALU_DEP_1)
	v_dual_max_f32 v24, v24, v24 :: v_dual_max_f32 v23, v23, v23
	v_max_f32_e32 v23, v24, v23
	s_delay_alu instid0(VALU_DEP_1) | instskip(SKIP_1) | instid1(VALU_DEP_2)
	v_cmp_eq_f32_e64 s3, v19, v23
	v_cndmask_b32_e32 v19, v21, v1, vcc_lo
	s_ctz_i32_b32 s11, s3
	s_cmp_lg_u32 s3, 0
	s_cselect_b32 s3, s11, 0
	s_add_i32 s10, s10, -1
	v_readlane_b32 s3, v22, s3
	s_delay_alu instid0(VALU_DEP_1)
	v_cmp_eq_u32_e32 vcc_lo, s3, v20
	s_and_b32 vcc_lo, s2, vcc_lo
	s_and_b32 s2, s3, 31
	v_cndmask_b32_e32 v19, 0, v19, vcc_lo
	v_add_co_ci_u32_e32 v17, vcc_lo, 0, v17, vcc_lo
	s_cmp_eq_u32 s10, 0
	s_delay_alu instid0(VALU_DEP_2) | instskip(SKIP_1) | instid1(VALU_DEP_2)
	v_readlane_b32 s11, v19, s2
	v_cmp_eq_u32_e64 s2, 0, v18
	v_dual_add_f32 v11, s11, v11 :: v_dual_add_nc_u32 v18, -1, v18
	s_delay_alu instid0(VALU_DEP_2)
	v_cndmask_b32_e64 v9, v9, s11, s2
	v_cndmask_b32_e64 v8, v8, s3, s2
	s_cbranch_scc0 .LBB125_14
; %bb.15:
	s_mov_b32 s2, exec_lo
	v_cmpx_gt_i32_e64 s8, v0
	s_cbranch_execz .LBB125_17
.LBB125_16:
	s_load_b32 s2, s[0:1], 0x30
	v_max_f32_e32 v0, v11, v11
	s_load_b64 s[0:1], s[0:1], 0x20
	s_ashr_i32 s3, s15, 31
	s_delay_alu instid0(VALU_DEP_1) | instskip(SKIP_1) | instid1(VALU_DEP_1)
	v_max_f32_e32 v0, 0x1e3ce508, v0
	s_waitcnt lgkmcnt(0)
	v_div_scale_f32 v1, null, v0, v0, s2
	v_div_scale_f32 v5, vcc_lo, s2, v0, s2
	s_mul_i32 s1, s15, s1
	s_delay_alu instid0(VALU_DEP_2)
	v_rcp_f32_e32 v2, v1
	s_mul_hi_u32 s8, s15, s0
	s_mul_i32 s3, s3, s0
	s_add_i32 s1, s8, s1
	s_mul_i32 s0, s15, s0
	s_add_i32 s1, s1, s3
	s_delay_alu instid0(SALU_CYCLE_1) | instskip(SKIP_2) | instid1(VALU_DEP_1)
	s_lshl_b64 s[0:1], s[0:1], 2
	s_waitcnt_depctr 0xfff
	v_fma_f32 v4, -v1, v2, 1.0
	v_fmac_f32_e32 v2, v4, v2
	s_delay_alu instid0(VALU_DEP_1) | instskip(NEXT) | instid1(VALU_DEP_1)
	v_mul_f32_e32 v4, v5, v2
	v_fma_f32 v6, -v1, v4, v5
	s_delay_alu instid0(VALU_DEP_1) | instskip(NEXT) | instid1(VALU_DEP_1)
	v_fmac_f32_e32 v4, v6, v2
	v_fma_f32 v1, -v1, v4, v5
	s_delay_alu instid0(VALU_DEP_1) | instskip(NEXT) | instid1(VALU_DEP_1)
	v_div_fmas_f32 v1, v1, v2, v4
	v_div_fixup_f32 v0, v1, v0, s2
	s_add_u32 s2, s4, s0
	s_addc_u32 s3, s5, s1
	s_add_u32 s0, s6, s0
	s_addc_u32 s1, s7, s1
	v_mul_f32_e32 v0, v9, v0
	s_clause 0x1
	global_store_b32 v3, v0, s[2:3]
	global_store_b32 v3, v8, s[0:1]
.LBB125_17:
	s_nop 0
	s_sendmsg sendmsg(MSG_DEALLOC_VGPRS)
	s_endpgm
.LBB125_18:
	v_dual_mov_b32 v8, 0 :: v_dual_mov_b32 v9, 0
	s_mov_b32 s2, exec_lo
	v_cmpx_gt_i32_e64 s8, v0
	s_cbranch_execnz .LBB125_16
	s_branch .LBB125_17
	.section	.rodata,"a",@progbits
	.p2align	6, 0x0
	.amdhsa_kernel _ZN5aiter24topk_softplus_kernel_optI6__halffLi128ELb1ELi0EEEvPKT_PKT0_PfPimiif
		.amdhsa_group_segment_fixed_size 0
		.amdhsa_private_segment_fixed_size 0
		.amdhsa_kernarg_size 52
		.amdhsa_user_sgpr_count 15
		.amdhsa_user_sgpr_dispatch_ptr 0
		.amdhsa_user_sgpr_queue_ptr 0
		.amdhsa_user_sgpr_kernarg_segment_ptr 1
		.amdhsa_user_sgpr_dispatch_id 0
		.amdhsa_user_sgpr_private_segment_size 0
		.amdhsa_wavefront_size32 1
		.amdhsa_uses_dynamic_stack 0
		.amdhsa_enable_private_segment 0
		.amdhsa_system_sgpr_workgroup_id_x 1
		.amdhsa_system_sgpr_workgroup_id_y 0
		.amdhsa_system_sgpr_workgroup_id_z 0
		.amdhsa_system_sgpr_workgroup_info 0
		.amdhsa_system_vgpr_workitem_id 0
		.amdhsa_next_free_vgpr 25
		.amdhsa_next_free_sgpr 16
		.amdhsa_reserve_vcc 1
		.amdhsa_float_round_mode_32 0
		.amdhsa_float_round_mode_16_64 0
		.amdhsa_float_denorm_mode_32 3
		.amdhsa_float_denorm_mode_16_64 3
		.amdhsa_dx10_clamp 1
		.amdhsa_ieee_mode 1
		.amdhsa_fp16_overflow 0
		.amdhsa_workgroup_processor_mode 1
		.amdhsa_memory_ordered 1
		.amdhsa_forward_progress 0
		.amdhsa_shared_vgpr_count 0
		.amdhsa_exception_fp_ieee_invalid_op 0
		.amdhsa_exception_fp_denorm_src 0
		.amdhsa_exception_fp_ieee_div_zero 0
		.amdhsa_exception_fp_ieee_overflow 0
		.amdhsa_exception_fp_ieee_underflow 0
		.amdhsa_exception_fp_ieee_inexact 0
		.amdhsa_exception_int_div_zero 0
	.end_amdhsa_kernel
	.section	.text._ZN5aiter24topk_softplus_kernel_optI6__halffLi128ELb1ELi0EEEvPKT_PKT0_PfPimiif,"axG",@progbits,_ZN5aiter24topk_softplus_kernel_optI6__halffLi128ELb1ELi0EEEvPKT_PKT0_PfPimiif,comdat
.Lfunc_end125:
	.size	_ZN5aiter24topk_softplus_kernel_optI6__halffLi128ELb1ELi0EEEvPKT_PKT0_PfPimiif, .Lfunc_end125-_ZN5aiter24topk_softplus_kernel_optI6__halffLi128ELb1ELi0EEEvPKT_PKT0_PfPimiif
                                        ; -- End function
	.section	.AMDGPU.csdata,"",@progbits
; Kernel info:
; codeLenInByte = 2292
; NumSgprs: 18
; NumVgprs: 25
; ScratchSize: 0
; MemoryBound: 0
; FloatMode: 240
; IeeeMode: 1
; LDSByteSize: 0 bytes/workgroup (compile time only)
; SGPRBlocks: 2
; VGPRBlocks: 3
; NumSGPRsForWavesPerEU: 18
; NumVGPRsForWavesPerEU: 25
; Occupancy: 16
; WaveLimiterHint : 0
; COMPUTE_PGM_RSRC2:SCRATCH_EN: 0
; COMPUTE_PGM_RSRC2:USER_SGPR: 15
; COMPUTE_PGM_RSRC2:TRAP_HANDLER: 0
; COMPUTE_PGM_RSRC2:TGID_X_EN: 1
; COMPUTE_PGM_RSRC2:TGID_Y_EN: 0
; COMPUTE_PGM_RSRC2:TGID_Z_EN: 0
; COMPUTE_PGM_RSRC2:TIDIG_COMP_CNT: 0
	.section	.text._ZN5aiter24topk_softplus_kernel_optI6__halffLi128ELb0ELi0EEEvPKT_PKT0_PfPimiif,"axG",@progbits,_ZN5aiter24topk_softplus_kernel_optI6__halffLi128ELb0ELi0EEEvPKT_PKT0_PfPimiif,comdat
	.protected	_ZN5aiter24topk_softplus_kernel_optI6__halffLi128ELb0ELi0EEEvPKT_PKT0_PfPimiif ; -- Begin function _ZN5aiter24topk_softplus_kernel_optI6__halffLi128ELb0ELi0EEEvPKT_PKT0_PfPimiif
	.globl	_ZN5aiter24topk_softplus_kernel_optI6__halffLi128ELb0ELi0EEEvPKT_PKT0_PfPimiif
	.p2align	8
	.type	_ZN5aiter24topk_softplus_kernel_optI6__halffLi128ELb0ELi0EEEvPKT_PKT0_PfPimiif,@function
_ZN5aiter24topk_softplus_kernel_optI6__halffLi128ELb0ELi0EEEvPKT_PKT0_PfPimiif: ; @_ZN5aiter24topk_softplus_kernel_optI6__halffLi128ELb0ELi0EEEvPKT_PKT0_PfPimiif
; %bb.0:
	s_load_b128 s[4:7], s[0:1], 0x0
	s_lshl_b32 s2, s15, 7
	v_lshlrev_b32_e32 v1, 1, v0
	s_ashr_i32 s3, s2, 31
	s_delay_alu instid0(SALU_CYCLE_1)
	s_lshl_b64 s[2:3], s[2:3], 1
	s_waitcnt lgkmcnt(0)
	s_add_u32 s8, s4, s2
	s_addc_u32 s9, s5, s3
	s_mov_b32 s4, 0x3fb8aa3b
	global_load_u16 v2, v1, s[8:9]
	s_cmp_lg_u64 s[6:7], 0
	s_cselect_b32 s3, -1, 0
	s_waitcnt vmcnt(0)
	v_cvt_f32_f16_e32 v3, v2
	s_delay_alu instid0(VALU_DEP_1) | instskip(NEXT) | instid1(VALU_DEP_1)
	v_mul_f32_e32 v4, 0x3fb8aa3b, v3
	v_cmp_gt_f32_e32 vcc_lo, 0xc2fc0000, v4
	v_cndmask_b32_e64 v4, 0, 0x42800000, vcc_lo
	v_cndmask_b32_e64 v5, 1.0, 0x1f800000, vcc_lo
	s_delay_alu instid0(VALU_DEP_2) | instskip(NEXT) | instid1(VALU_DEP_1)
	v_fma_mix_f32 v4, v2, s4, v4 op_sel_hi:[1,0,0]
	v_exp_f32_e32 v4, v4
	s_waitcnt_depctr 0xfff
	v_fma_f32 v4, v4, v5, 1.0
	s_delay_alu instid0(VALU_DEP_1) | instskip(SKIP_1) | instid1(VALU_DEP_1)
	v_cmp_gt_f32_e32 vcc_lo, 0x800000, v4
	v_cndmask_b32_e64 v5, 1.0, 0x4f800000, vcc_lo
	v_mul_f32_e32 v4, v4, v5
	v_cndmask_b32_e64 v5, 0, 0x42000000, vcc_lo
	v_cmp_lt_f16_e32 vcc_lo, 0x4d00, v2
	s_delay_alu instid0(VALU_DEP_3) | instskip(SKIP_2) | instid1(VALU_DEP_1)
	v_log_f32_e32 v4, v4
	s_waitcnt_depctr 0xfff
	v_sub_f32_e32 v4, v4, v5
	v_mul_f32_e32 v4, 0x3f317218, v4
	s_delay_alu instid0(VALU_DEP_1) | instskip(NEXT) | instid1(VALU_DEP_1)
	v_cndmask_b32_e32 v2, v4, v3, vcc_lo
	v_mul_f32_e32 v3, 0x4f800000, v2
	v_cmp_gt_f32_e32 vcc_lo, 0xf800000, v2
	s_delay_alu instid0(VALU_DEP_2) | instskip(NEXT) | instid1(VALU_DEP_1)
	v_cndmask_b32_e32 v2, v2, v3, vcc_lo
	v_sqrt_f32_e32 v3, v2
	s_waitcnt_depctr 0xfff
	v_add_nc_u32_e32 v4, -1, v3
	v_add_nc_u32_e32 v5, 1, v3
	s_delay_alu instid0(VALU_DEP_2) | instskip(NEXT) | instid1(VALU_DEP_2)
	v_fma_f32 v6, -v4, v3, v2
	v_fma_f32 v7, -v5, v3, v2
	s_delay_alu instid0(VALU_DEP_2) | instskip(NEXT) | instid1(VALU_DEP_1)
	v_cmp_ge_f32_e64 s2, 0, v6
	v_cndmask_b32_e64 v3, v3, v4, s2
	s_delay_alu instid0(VALU_DEP_3) | instskip(NEXT) | instid1(VALU_DEP_1)
	v_cmp_lt_f32_e64 s2, 0, v7
	v_cndmask_b32_e64 v3, v3, v5, s2
	v_add_co_u32 v1, s2, s8, v1
	s_delay_alu instid0(VALU_DEP_2) | instskip(NEXT) | instid1(VALU_DEP_1)
	v_mul_f32_e32 v4, 0x37800000, v3
	v_cndmask_b32_e32 v3, v3, v4, vcc_lo
	v_cmp_class_f32_e64 vcc_lo, v2, 0x260
	s_delay_alu instid0(VALU_DEP_2) | instskip(SKIP_3) | instid1(VALU_DEP_3)
	v_cndmask_b32_e32 v5, v3, v2, vcc_lo
	v_lshlrev_b32_e32 v3, 2, v0
	v_add_co_ci_u32_e64 v2, null, s9, 0, s2
	s_and_b32 vcc_lo, exec_lo, s3
	v_mov_b32_e32 v6, v5
	s_cbranch_vccz .LBB126_2
; %bb.1:
	global_load_b32 v4, v3, s[6:7]
	s_waitcnt vmcnt(0)
	v_add_f32_e32 v6, v5, v4
.LBB126_2:
	global_load_u16 v4, v[1:2], off offset:64
	s_waitcnt vmcnt(0)
	v_cvt_f32_f16_e32 v7, v4
	s_delay_alu instid0(VALU_DEP_1) | instskip(NEXT) | instid1(VALU_DEP_1)
	v_mul_f32_e32 v8, 0x3fb8aa3b, v7
	v_cmp_gt_f32_e32 vcc_lo, 0xc2fc0000, v8
	v_cndmask_b32_e64 v9, 0, 0x42800000, vcc_lo
	v_cndmask_b32_e64 v8, 1.0, 0x1f800000, vcc_lo
	s_delay_alu instid0(VALU_DEP_2) | instskip(NEXT) | instid1(VALU_DEP_1)
	v_fma_mix_f32 v9, v4, s4, v9 op_sel_hi:[1,0,0]
	v_exp_f32_e32 v9, v9
	s_waitcnt_depctr 0xfff
	v_fma_f32 v8, v9, v8, 1.0
	s_delay_alu instid0(VALU_DEP_1) | instskip(SKIP_1) | instid1(VALU_DEP_1)
	v_cmp_gt_f32_e32 vcc_lo, 0x800000, v8
	v_cndmask_b32_e64 v9, 1.0, 0x4f800000, vcc_lo
	v_mul_f32_e32 v8, v8, v9
	v_cndmask_b32_e64 v9, 0, 0x42000000, vcc_lo
	v_cmp_lt_f16_e32 vcc_lo, 0x4d00, v4
	s_delay_alu instid0(VALU_DEP_3) | instskip(SKIP_2) | instid1(VALU_DEP_1)
	v_log_f32_e32 v8, v8
	s_waitcnt_depctr 0xfff
	v_sub_f32_e32 v8, v8, v9
	v_mul_f32_e32 v8, 0x3f317218, v8
	s_delay_alu instid0(VALU_DEP_1) | instskip(NEXT) | instid1(VALU_DEP_1)
	v_cndmask_b32_e32 v4, v8, v7, vcc_lo
	v_mul_f32_e32 v7, 0x4f800000, v4
	v_cmp_gt_f32_e32 vcc_lo, 0xf800000, v4
	s_delay_alu instid0(VALU_DEP_2) | instskip(NEXT) | instid1(VALU_DEP_1)
	v_cndmask_b32_e32 v7, v4, v7, vcc_lo
	v_sqrt_f32_e32 v4, v7
	s_waitcnt_depctr 0xfff
	v_add_nc_u32_e32 v8, -1, v4
	v_add_nc_u32_e32 v9, 1, v4
	s_delay_alu instid0(VALU_DEP_2) | instskip(NEXT) | instid1(VALU_DEP_2)
	v_fma_f32 v10, -v8, v4, v7
	v_fma_f32 v11, -v9, v4, v7
	s_delay_alu instid0(VALU_DEP_2) | instskip(NEXT) | instid1(VALU_DEP_1)
	v_cmp_ge_f32_e64 s2, 0, v10
	v_cndmask_b32_e64 v4, v4, v8, s2
	s_delay_alu instid0(VALU_DEP_3) | instskip(NEXT) | instid1(VALU_DEP_1)
	v_cmp_lt_f32_e64 s2, 0, v11
	v_cndmask_b32_e64 v4, v4, v9, s2
	s_delay_alu instid0(VALU_DEP_1) | instskip(NEXT) | instid1(VALU_DEP_1)
	v_mul_f32_e32 v8, 0x37800000, v4
	v_cndmask_b32_e32 v8, v4, v8, vcc_lo
	v_cmp_class_f32_e64 vcc_lo, v7, 0x260
	v_cndmask_b32_e64 v4, 0, 1, s3
	s_delay_alu instid0(VALU_DEP_3) | instskip(SKIP_1) | instid1(VALU_DEP_1)
	v_cndmask_b32_e32 v9, v8, v7, vcc_lo
	s_and_not1_b32 vcc_lo, exec_lo, s3
	v_mov_b32_e32 v12, v9
	s_cbranch_vccnz .LBB126_4
; %bb.3:
	global_load_b32 v7, v3, s[6:7] offset:128
	s_waitcnt vmcnt(0)
	v_add_f32_e32 v12, v9, v7
.LBB126_4:
	global_load_u16 v7, v[1:2], off offset:128
	s_mov_b32 s3, 0x3fb8aa3b
	s_waitcnt vmcnt(0)
	v_cvt_f32_f16_e32 v8, v7
	s_delay_alu instid0(VALU_DEP_1) | instskip(NEXT) | instid1(VALU_DEP_1)
	v_mul_f32_e32 v10, 0x3fb8aa3b, v8
	v_cmp_gt_f32_e32 vcc_lo, 0xc2fc0000, v10
	v_cndmask_b32_e64 v11, 0, 0x42800000, vcc_lo
	v_cndmask_b32_e64 v10, 1.0, 0x1f800000, vcc_lo
	s_delay_alu instid0(VALU_DEP_2) | instskip(NEXT) | instid1(VALU_DEP_1)
	v_fma_mix_f32 v11, v7, s3, v11 op_sel_hi:[1,0,0]
	v_exp_f32_e32 v11, v11
	s_waitcnt_depctr 0xfff
	v_fma_f32 v10, v11, v10, 1.0
	s_delay_alu instid0(VALU_DEP_1) | instskip(SKIP_1) | instid1(VALU_DEP_1)
	v_cmp_gt_f32_e32 vcc_lo, 0x800000, v10
	v_cndmask_b32_e64 v11, 1.0, 0x4f800000, vcc_lo
	v_mul_f32_e32 v10, v10, v11
	v_cndmask_b32_e64 v11, 0, 0x42000000, vcc_lo
	v_cmp_lt_f16_e32 vcc_lo, 0x4d00, v7
	s_delay_alu instid0(VALU_DEP_3) | instskip(SKIP_2) | instid1(VALU_DEP_1)
	v_log_f32_e32 v10, v10
	s_waitcnt_depctr 0xfff
	v_sub_f32_e32 v10, v10, v11
	v_mul_f32_e32 v10, 0x3f317218, v10
	s_delay_alu instid0(VALU_DEP_1) | instskip(NEXT) | instid1(VALU_DEP_1)
	v_cndmask_b32_e32 v7, v10, v8, vcc_lo
	v_mul_f32_e32 v8, 0x4f800000, v7
	v_cmp_gt_f32_e32 vcc_lo, 0xf800000, v7
	s_delay_alu instid0(VALU_DEP_2) | instskip(NEXT) | instid1(VALU_DEP_1)
	v_cndmask_b32_e32 v7, v7, v8, vcc_lo
	v_sqrt_f32_e32 v8, v7
	s_waitcnt_depctr 0xfff
	v_add_nc_u32_e32 v10, -1, v8
	v_add_nc_u32_e32 v11, 1, v8
	s_delay_alu instid0(VALU_DEP_2) | instskip(NEXT) | instid1(VALU_DEP_2)
	v_fma_f32 v13, -v10, v8, v7
	v_fma_f32 v14, -v11, v8, v7
	s_delay_alu instid0(VALU_DEP_2) | instskip(NEXT) | instid1(VALU_DEP_1)
	v_cmp_ge_f32_e64 s2, 0, v13
	v_cndmask_b32_e64 v8, v8, v10, s2
	s_delay_alu instid0(VALU_DEP_3) | instskip(NEXT) | instid1(VALU_DEP_1)
	v_cmp_lt_f32_e64 s2, 0, v14
	v_cndmask_b32_e64 v8, v8, v11, s2
	s_delay_alu instid0(VALU_DEP_1) | instskip(NEXT) | instid1(VALU_DEP_1)
	v_mul_f32_e32 v10, 0x37800000, v8
	v_cndmask_b32_e32 v8, v8, v10, vcc_lo
	v_cmp_class_f32_e64 vcc_lo, v7, 0x260
	s_delay_alu instid0(VALU_DEP_2) | instskip(SKIP_1) | instid1(VALU_DEP_2)
	v_cndmask_b32_e32 v11, v8, v7, vcc_lo
	v_cmp_ne_u32_e32 vcc_lo, 1, v4
	v_mov_b32_e32 v7, v11
	s_cbranch_vccnz .LBB126_6
; %bb.5:
	global_load_b32 v7, v3, s[6:7] offset:256
	s_waitcnt vmcnt(0)
	v_add_f32_e32 v7, v11, v7
.LBB126_6:
	global_load_u16 v1, v[1:2], off offset:192
	s_waitcnt vmcnt(0)
	v_cvt_f32_f16_e32 v2, v1
	s_delay_alu instid0(VALU_DEP_1) | instskip(NEXT) | instid1(VALU_DEP_1)
	v_mul_f32_e32 v8, 0x3fb8aa3b, v2
	v_cmp_gt_f32_e32 vcc_lo, 0xc2fc0000, v8
	v_cndmask_b32_e64 v10, 0, 0x42800000, vcc_lo
	v_cndmask_b32_e64 v8, 1.0, 0x1f800000, vcc_lo
	s_delay_alu instid0(VALU_DEP_2) | instskip(NEXT) | instid1(VALU_DEP_1)
	v_fma_mix_f32 v10, v1, s3, v10 op_sel_hi:[1,0,0]
	v_exp_f32_e32 v10, v10
	s_waitcnt_depctr 0xfff
	v_fma_f32 v8, v10, v8, 1.0
	s_delay_alu instid0(VALU_DEP_1) | instskip(SKIP_1) | instid1(VALU_DEP_1)
	v_cmp_gt_f32_e32 vcc_lo, 0x800000, v8
	v_cndmask_b32_e64 v10, 1.0, 0x4f800000, vcc_lo
	v_mul_f32_e32 v8, v8, v10
	v_cndmask_b32_e64 v10, 0, 0x42000000, vcc_lo
	v_cmp_lt_f16_e32 vcc_lo, 0x4d00, v1
	s_delay_alu instid0(VALU_DEP_3) | instskip(SKIP_2) | instid1(VALU_DEP_1)
	v_log_f32_e32 v8, v8
	s_waitcnt_depctr 0xfff
	v_sub_f32_e32 v8, v8, v10
	v_mul_f32_e32 v8, 0x3f317218, v8
	s_delay_alu instid0(VALU_DEP_1) | instskip(NEXT) | instid1(VALU_DEP_1)
	v_cndmask_b32_e32 v1, v8, v2, vcc_lo
	v_mul_f32_e32 v2, 0x4f800000, v1
	v_cmp_gt_f32_e32 vcc_lo, 0xf800000, v1
	s_delay_alu instid0(VALU_DEP_2) | instskip(NEXT) | instid1(VALU_DEP_1)
	v_cndmask_b32_e32 v1, v1, v2, vcc_lo
	v_sqrt_f32_e32 v2, v1
	s_waitcnt_depctr 0xfff
	v_add_nc_u32_e32 v8, -1, v2
	v_add_nc_u32_e32 v10, 1, v2
	s_delay_alu instid0(VALU_DEP_2) | instskip(NEXT) | instid1(VALU_DEP_2)
	v_fma_f32 v13, -v8, v2, v1
	v_fma_f32 v14, -v10, v2, v1
	s_delay_alu instid0(VALU_DEP_2) | instskip(NEXT) | instid1(VALU_DEP_1)
	v_cmp_ge_f32_e64 s2, 0, v13
	v_cndmask_b32_e64 v2, v2, v8, s2
	s_delay_alu instid0(VALU_DEP_3) | instskip(NEXT) | instid1(VALU_DEP_1)
	v_cmp_lt_f32_e64 s2, 0, v14
	v_cndmask_b32_e64 v2, v2, v10, s2
	s_delay_alu instid0(VALU_DEP_1) | instskip(NEXT) | instid1(VALU_DEP_1)
	v_mul_f32_e32 v8, 0x37800000, v2
	v_cndmask_b32_e32 v2, v2, v8, vcc_lo
	v_cmp_class_f32_e64 vcc_lo, v1, 0x260
	s_delay_alu instid0(VALU_DEP_2) | instskip(SKIP_1) | instid1(VALU_DEP_2)
	v_cndmask_b32_e32 v1, v2, v1, vcc_lo
	v_cmp_ne_u32_e32 vcc_lo, 1, v4
	v_mov_b32_e32 v2, v1
	s_cbranch_vccnz .LBB126_8
; %bb.7:
	global_load_b32 v2, v3, s[6:7] offset:384
	s_waitcnt vmcnt(0)
	v_add_f32_e32 v2, v1, v2
.LBB126_8:
	v_cmp_lt_f32_e32 vcc_lo, v6, v12
	v_add_nc_u32_e32 v13, 32, v0
	v_add_nc_u32_e32 v16, 64, v0
	s_mov_b32 s2, exec_lo
	v_dual_mov_b32 v17, v7 :: v_dual_cndmask_b32 v8, v9, v5
	v_dual_cndmask_b32 v5, v5, v9 :: v_dual_add_nc_u32 v4, 0x60, v0
	v_dual_cndmask_b32 v10, v13, v0 :: v_dual_cndmask_b32 v9, v12, v6
	v_dual_cndmask_b32 v13, v0, v13 :: v_dual_cndmask_b32 v14, v6, v12
	v_cmpx_lt_f32_e32 v7, v2
	s_xor_b32 s2, exec_lo, s2
; %bb.9:
	v_dual_mov_b32 v12, v16 :: v_dual_mov_b32 v15, v7
	v_dual_mov_b32 v6, v11 :: v_dual_mov_b32 v7, v2
	v_swap_b32 v11, v1
	v_swap_b32 v16, v4
	s_delay_alu instid0(VALU_DEP_4)
	v_dual_mov_b32 v17, v2 :: v_dual_mov_b32 v2, v15
; %bb.10:
	s_or_b32 exec_lo, exec_lo, s2
	v_cmp_lt_f32_e32 vcc_lo, v14, v7
	s_mov_b32 s2, exec_lo
	s_delay_alu instid0(VALU_DEP_3)
	v_dual_cndmask_b32 v15, v11, v5 :: v_dual_cndmask_b32 v6, v13, v16
	v_dual_cndmask_b32 v5, v5, v11 :: v_dual_cndmask_b32 v12, v16, v13
	v_cndmask_b32_e32 v13, v17, v14, vcc_lo
	v_dual_cndmask_b32 v7, v14, v7 :: v_dual_mov_b32 v14, v9
	v_cmpx_lt_f32_e32 v9, v2
; %bb.11:
	v_dual_mov_b32 v16, v9 :: v_dual_mov_b32 v9, v2
	v_dual_mov_b32 v11, v8 :: v_dual_mov_b32 v14, v10
	v_swap_b32 v8, v1
	v_swap_b32 v10, v4
	v_mov_b32_e32 v14, v2
	v_mov_b32_e32 v2, v16
; %bb.12:
	s_or_b32 exec_lo, exec_lo, s2
	s_clause 0x1
	s_load_b32 s8, s[0:1], 0x28
	s_load_b128 s[4:7], s[0:1], 0x10
	s_waitcnt lgkmcnt(0)
	s_cmp_lt_i32 s8, 1
	s_cbranch_scc1 .LBB126_18
; %bb.13:
	v_cmp_lt_f32_e32 vcc_lo, v9, v13
	v_dual_mov_b32 v16, 0 :: v_dual_mov_b32 v17, v0
	s_mov_b32 s9, 0x76543210
	s_mov_b32 s10, s8
	v_dual_cndmask_b32 v11, v12, v10 :: v_dual_cndmask_b32 v10, v10, v12
	v_cndmask_b32_e32 v12, v13, v9, vcc_lo
	v_dual_cndmask_b32 v13, v14, v13 :: v_dual_cndmask_b32 v14, v15, v8
	v_cndmask_b32_e32 v15, v8, v15, vcc_lo
	v_dual_mov_b32 v9, 0 :: v_dual_mov_b32 v8, 0
.LBB126_14:                             ; =>This Inner Loop Header: Depth=1
	v_cmp_eq_u32_e32 vcc_lo, 1, v16
	v_cmp_eq_u32_e64 s2, 2, v16
	v_cmp_gt_u32_e64 s3, 4, v16
	v_dual_cndmask_b32 v18, v7, v13 :: v_dual_cndmask_b32 v19, v6, v10
	v_cndmask_b32_e32 v20, v5, v15, vcc_lo
	v_cmp_eq_u32_e32 vcc_lo, 3, v16
	s_delay_alu instid0(VALU_DEP_3) | instskip(NEXT) | instid1(VALU_DEP_4)
	v_cndmask_b32_e64 v18, v18, v12, s2
	v_cndmask_b32_e64 v19, v19, v11, s2
	s_delay_alu instid0(VALU_DEP_1) | instskip(NEXT) | instid1(VALU_DEP_1)
	v_dual_cndmask_b32 v18, v18, v2 :: v_dual_cndmask_b32 v19, v19, v4
	v_cndmask_b32_e64 v18, 0xff800000, v18, s3
	;;#ASMSTART
	v_max_f32 v21, v18, v18 quad_perm:[1,0,3,2] row_mask:0xf bank_mask:0xf bound_ctrl:1
	;;#ASMEND
	;;#ASMSTART
	v_max_f32 v22, v21, v21 quad_perm:[2,3,0,1] row_mask:0xf bank_mask:0xf bound_ctrl:1
	;;#ASMEND
	;;#ASMSTART
	v_max_f32 v21, v22, v22 row_half_mirror row_mask:0xf bank_mask:0xf bound_ctrl:1
	;;#ASMEND
	;;#ASMSTART
	v_max_f32 v22, v21, v21 row_mirror row_mask:0xf bank_mask:0xf bound_ctrl:1
	;;#ASMEND
	v_permlanex16_b32 v21, v22, s9, 0xfedcba98 op_sel:[1,1]
	s_delay_alu instid0(VALU_DEP_1) | instskip(NEXT) | instid1(VALU_DEP_1)
	v_dual_max_f32 v22, v22, v22 :: v_dual_max_f32 v21, v21, v21
	v_max_f32_e32 v21, v22, v21
	v_cndmask_b32_e64 v20, v20, v14, s2
	s_delay_alu instid0(VALU_DEP_2) | instskip(SKIP_1) | instid1(VALU_DEP_2)
	v_cmp_eq_f32_e64 s2, v18, v21
	v_cndmask_b32_e64 v18, 0, v19, s3
	s_ctz_i32_b32 s11, s2
	s_cmp_lg_u32 s2, 0
	s_cselect_b32 s2, s11, 0
	s_add_i32 s10, s10, -1
	v_readlane_b32 s11, v18, s2
	v_cndmask_b32_e32 v18, v20, v1, vcc_lo
	s_delay_alu instid0(VALU_DEP_2)
	v_cmp_eq_u32_e32 vcc_lo, s11, v19
	s_and_b32 s2, s11, 31
	s_and_b32 vcc_lo, s3, vcc_lo
	s_cmp_eq_u32 s10, 0
	v_cndmask_b32_e32 v18, 0, v18, vcc_lo
	v_add_co_ci_u32_e32 v16, vcc_lo, 0, v16, vcc_lo
	s_delay_alu instid0(VALU_DEP_2) | instskip(SKIP_2) | instid1(VALU_DEP_2)
	v_readlane_b32 s3, v18, s2
	v_cmp_eq_u32_e64 s2, 0, v17
	v_add_nc_u32_e32 v17, -1, v17
	v_cndmask_b32_e64 v9, v9, s3, s2
	v_cndmask_b32_e64 v8, v8, s11, s2
	s_cbranch_scc0 .LBB126_14
; %bb.15:
	s_mov_b32 s2, exec_lo
	v_cmpx_gt_i32_e64 s8, v0
	s_cbranch_execz .LBB126_17
.LBB126_16:
	s_clause 0x1
	s_load_b64 s[2:3], s[0:1], 0x20
	s_load_b32 s8, s[0:1], 0x30
	s_ashr_i32 s0, s15, 31
	s_waitcnt lgkmcnt(0)
	s_mul_i32 s1, s15, s3
	s_mul_hi_u32 s3, s15, s2
	s_mul_i32 s0, s0, s2
	s_add_i32 s1, s3, s1
	v_mul_f32_e32 v0, s8, v9
	s_add_i32 s1, s1, s0
	s_mul_i32 s0, s15, s2
	s_delay_alu instid0(SALU_CYCLE_1) | instskip(NEXT) | instid1(SALU_CYCLE_1)
	s_lshl_b64 s[0:1], s[0:1], 2
	s_add_u32 s2, s4, s0
	s_addc_u32 s3, s5, s1
	s_add_u32 s0, s6, s0
	s_addc_u32 s1, s7, s1
	s_clause 0x1
	global_store_b32 v3, v0, s[2:3]
	global_store_b32 v3, v8, s[0:1]
.LBB126_17:
	s_nop 0
	s_sendmsg sendmsg(MSG_DEALLOC_VGPRS)
	s_endpgm
.LBB126_18:
	v_dual_mov_b32 v8, 0 :: v_dual_mov_b32 v9, 0
	s_mov_b32 s2, exec_lo
	v_cmpx_gt_i32_e64 s8, v0
	s_cbranch_execnz .LBB126_16
	s_branch .LBB126_17
	.section	.rodata,"a",@progbits
	.p2align	6, 0x0
	.amdhsa_kernel _ZN5aiter24topk_softplus_kernel_optI6__halffLi128ELb0ELi0EEEvPKT_PKT0_PfPimiif
		.amdhsa_group_segment_fixed_size 0
		.amdhsa_private_segment_fixed_size 0
		.amdhsa_kernarg_size 52
		.amdhsa_user_sgpr_count 15
		.amdhsa_user_sgpr_dispatch_ptr 0
		.amdhsa_user_sgpr_queue_ptr 0
		.amdhsa_user_sgpr_kernarg_segment_ptr 1
		.amdhsa_user_sgpr_dispatch_id 0
		.amdhsa_user_sgpr_private_segment_size 0
		.amdhsa_wavefront_size32 1
		.amdhsa_uses_dynamic_stack 0
		.amdhsa_enable_private_segment 0
		.amdhsa_system_sgpr_workgroup_id_x 1
		.amdhsa_system_sgpr_workgroup_id_y 0
		.amdhsa_system_sgpr_workgroup_id_z 0
		.amdhsa_system_sgpr_workgroup_info 0
		.amdhsa_system_vgpr_workitem_id 0
		.amdhsa_next_free_vgpr 23
		.amdhsa_next_free_sgpr 16
		.amdhsa_reserve_vcc 1
		.amdhsa_float_round_mode_32 0
		.amdhsa_float_round_mode_16_64 0
		.amdhsa_float_denorm_mode_32 3
		.amdhsa_float_denorm_mode_16_64 3
		.amdhsa_dx10_clamp 1
		.amdhsa_ieee_mode 1
		.amdhsa_fp16_overflow 0
		.amdhsa_workgroup_processor_mode 1
		.amdhsa_memory_ordered 1
		.amdhsa_forward_progress 0
		.amdhsa_shared_vgpr_count 0
		.amdhsa_exception_fp_ieee_invalid_op 0
		.amdhsa_exception_fp_denorm_src 0
		.amdhsa_exception_fp_ieee_div_zero 0
		.amdhsa_exception_fp_ieee_overflow 0
		.amdhsa_exception_fp_ieee_underflow 0
		.amdhsa_exception_fp_ieee_inexact 0
		.amdhsa_exception_int_div_zero 0
	.end_amdhsa_kernel
	.section	.text._ZN5aiter24topk_softplus_kernel_optI6__halffLi128ELb0ELi0EEEvPKT_PKT0_PfPimiif,"axG",@progbits,_ZN5aiter24topk_softplus_kernel_optI6__halffLi128ELb0ELi0EEEvPKT_PKT0_PfPimiif,comdat
.Lfunc_end126:
	.size	_ZN5aiter24topk_softplus_kernel_optI6__halffLi128ELb0ELi0EEEvPKT_PKT0_PfPimiif, .Lfunc_end126-_ZN5aiter24topk_softplus_kernel_optI6__halffLi128ELb0ELi0EEEvPKT_PKT0_PfPimiif
                                        ; -- End function
	.section	.AMDGPU.csdata,"",@progbits
; Kernel info:
; codeLenInByte = 2160
; NumSgprs: 18
; NumVgprs: 23
; ScratchSize: 0
; MemoryBound: 0
; FloatMode: 240
; IeeeMode: 1
; LDSByteSize: 0 bytes/workgroup (compile time only)
; SGPRBlocks: 2
; VGPRBlocks: 2
; NumSGPRsForWavesPerEU: 18
; NumVGPRsForWavesPerEU: 23
; Occupancy: 16
; WaveLimiterHint : 0
; COMPUTE_PGM_RSRC2:SCRATCH_EN: 0
; COMPUTE_PGM_RSRC2:USER_SGPR: 15
; COMPUTE_PGM_RSRC2:TRAP_HANDLER: 0
; COMPUTE_PGM_RSRC2:TGID_X_EN: 1
; COMPUTE_PGM_RSRC2:TGID_Y_EN: 0
; COMPUTE_PGM_RSRC2:TGID_Z_EN: 0
; COMPUTE_PGM_RSRC2:TIDIG_COMP_CNT: 0
	.section	.text._ZN5aiter24topk_softplus_kernel_optI6__halffLi256ELb1ELi0EEEvPKT_PKT0_PfPimiif,"axG",@progbits,_ZN5aiter24topk_softplus_kernel_optI6__halffLi256ELb1ELi0EEEvPKT_PKT0_PfPimiif,comdat
	.protected	_ZN5aiter24topk_softplus_kernel_optI6__halffLi256ELb1ELi0EEEvPKT_PKT0_PfPimiif ; -- Begin function _ZN5aiter24topk_softplus_kernel_optI6__halffLi256ELb1ELi0EEEvPKT_PKT0_PfPimiif
	.globl	_ZN5aiter24topk_softplus_kernel_optI6__halffLi256ELb1ELi0EEEvPKT_PKT0_PfPimiif
	.p2align	8
	.type	_ZN5aiter24topk_softplus_kernel_optI6__halffLi256ELb1ELi0EEEvPKT_PKT0_PfPimiif,@function
_ZN5aiter24topk_softplus_kernel_optI6__halffLi256ELb1ELi0EEEvPKT_PKT0_PfPimiif: ; @_ZN5aiter24topk_softplus_kernel_optI6__halffLi256ELb1ELi0EEEvPKT_PKT0_PfPimiif
; %bb.0:
	s_load_b128 s[4:7], s[0:1], 0x0
	s_lshl_b32 s2, s15, 8
	v_lshlrev_b32_e32 v1, 1, v0
	s_ashr_i32 s3, s2, 31
	v_lshlrev_b32_e32 v96, 2, v0
	s_lshl_b64 s[2:3], s[2:3], 1
	s_waitcnt lgkmcnt(0)
	s_add_u32 s8, s4, s2
	s_addc_u32 s9, s5, s3
	s_mov_b32 s4, 0x3fb8aa3b
	global_load_u16 v2, v1, s[8:9]
	s_cmp_lg_u64 s[6:7], 0
	s_cselect_b32 s3, -1, 0
	s_waitcnt vmcnt(0)
	v_cvt_f32_f16_e32 v3, v2
	s_delay_alu instid0(VALU_DEP_1) | instskip(NEXT) | instid1(VALU_DEP_1)
	v_mul_f32_e32 v4, 0x3fb8aa3b, v3
	v_cmp_gt_f32_e32 vcc_lo, 0xc2fc0000, v4
	v_cndmask_b32_e64 v4, 0, 0x42800000, vcc_lo
	v_cndmask_b32_e64 v5, 1.0, 0x1f800000, vcc_lo
	s_delay_alu instid0(VALU_DEP_2) | instskip(NEXT) | instid1(VALU_DEP_1)
	v_fma_mix_f32 v4, v2, s4, v4 op_sel_hi:[1,0,0]
	v_exp_f32_e32 v4, v4
	s_waitcnt_depctr 0xfff
	v_fma_f32 v4, v4, v5, 1.0
	s_delay_alu instid0(VALU_DEP_1) | instskip(SKIP_1) | instid1(VALU_DEP_1)
	v_cmp_gt_f32_e32 vcc_lo, 0x800000, v4
	v_cndmask_b32_e64 v5, 1.0, 0x4f800000, vcc_lo
	v_mul_f32_e32 v4, v4, v5
	v_cndmask_b32_e64 v5, 0, 0x42000000, vcc_lo
	v_cmp_lt_f16_e32 vcc_lo, 0x4d00, v2
	s_delay_alu instid0(VALU_DEP_3) | instskip(SKIP_2) | instid1(VALU_DEP_1)
	v_log_f32_e32 v4, v4
	s_waitcnt_depctr 0xfff
	v_sub_f32_e32 v4, v4, v5
	v_mul_f32_e32 v4, 0x3f317218, v4
	s_delay_alu instid0(VALU_DEP_1) | instskip(NEXT) | instid1(VALU_DEP_1)
	v_cndmask_b32_e32 v2, v4, v3, vcc_lo
	v_mul_f32_e32 v3, 0x4f800000, v2
	v_cmp_gt_f32_e32 vcc_lo, 0xf800000, v2
	s_delay_alu instid0(VALU_DEP_2) | instskip(NEXT) | instid1(VALU_DEP_1)
	v_cndmask_b32_e32 v2, v2, v3, vcc_lo
	v_sqrt_f32_e32 v3, v2
	s_waitcnt_depctr 0xfff
	v_add_nc_u32_e32 v4, -1, v3
	v_add_nc_u32_e32 v5, 1, v3
	s_delay_alu instid0(VALU_DEP_2) | instskip(NEXT) | instid1(VALU_DEP_2)
	v_fma_f32 v6, -v4, v3, v2
	v_fma_f32 v7, -v5, v3, v2
	s_delay_alu instid0(VALU_DEP_2) | instskip(NEXT) | instid1(VALU_DEP_1)
	v_cmp_ge_f32_e64 s2, 0, v6
	v_cndmask_b32_e64 v3, v3, v4, s2
	s_delay_alu instid0(VALU_DEP_3) | instskip(NEXT) | instid1(VALU_DEP_1)
	v_cmp_lt_f32_e64 s2, 0, v7
	v_cndmask_b32_e64 v3, v3, v5, s2
	v_add_co_u32 v1, s2, s8, v1
	s_delay_alu instid0(VALU_DEP_2) | instskip(NEXT) | instid1(VALU_DEP_1)
	v_mul_f32_e32 v4, 0x37800000, v3
	v_cndmask_b32_e32 v3, v3, v4, vcc_lo
	v_cmp_class_f32_e64 vcc_lo, v2, 0x260
	s_delay_alu instid0(VALU_DEP_2) | instskip(SKIP_2) | instid1(VALU_DEP_2)
	v_cndmask_b32_e32 v56, v3, v2, vcc_lo
	v_add_co_ci_u32_e64 v2, null, s9, 0, s2
	s_and_b32 vcc_lo, exec_lo, s3
	v_mov_b32_e32 v24, v56
	s_cbranch_vccz .LBB127_2
; %bb.1:
	global_load_b32 v3, v96, s[6:7]
	s_waitcnt vmcnt(0)
	v_add_f32_e32 v24, v56, v3
.LBB127_2:
	global_load_u16 v3, v[1:2], off offset:64
	s_waitcnt vmcnt(0)
	v_cvt_f32_f16_e32 v4, v3
	s_delay_alu instid0(VALU_DEP_1) | instskip(NEXT) | instid1(VALU_DEP_1)
	v_mul_f32_e32 v5, 0x3fb8aa3b, v4
	v_cmp_gt_f32_e32 vcc_lo, 0xc2fc0000, v5
	v_cndmask_b32_e64 v6, 0, 0x42800000, vcc_lo
	v_cndmask_b32_e64 v5, 1.0, 0x1f800000, vcc_lo
	s_delay_alu instid0(VALU_DEP_2) | instskip(NEXT) | instid1(VALU_DEP_1)
	v_fma_mix_f32 v6, v3, s4, v6 op_sel_hi:[1,0,0]
	v_exp_f32_e32 v6, v6
	s_waitcnt_depctr 0xfff
	v_fma_f32 v5, v6, v5, 1.0
	s_delay_alu instid0(VALU_DEP_1) | instskip(SKIP_1) | instid1(VALU_DEP_1)
	v_cmp_gt_f32_e32 vcc_lo, 0x800000, v5
	v_cndmask_b32_e64 v6, 1.0, 0x4f800000, vcc_lo
	v_mul_f32_e32 v5, v5, v6
	v_cndmask_b32_e64 v6, 0, 0x42000000, vcc_lo
	v_cmp_lt_f16_e32 vcc_lo, 0x4d00, v3
	s_delay_alu instid0(VALU_DEP_3) | instskip(SKIP_2) | instid1(VALU_DEP_1)
	v_log_f32_e32 v5, v5
	s_waitcnt_depctr 0xfff
	v_sub_f32_e32 v5, v5, v6
	v_mul_f32_e32 v5, 0x3f317218, v5
	s_delay_alu instid0(VALU_DEP_1) | instskip(NEXT) | instid1(VALU_DEP_1)
	v_cndmask_b32_e32 v3, v5, v4, vcc_lo
	v_mul_f32_e32 v4, 0x4f800000, v3
	v_cmp_gt_f32_e32 vcc_lo, 0xf800000, v3
	s_delay_alu instid0(VALU_DEP_2) | instskip(NEXT) | instid1(VALU_DEP_1)
	v_cndmask_b32_e32 v4, v3, v4, vcc_lo
	v_sqrt_f32_e32 v3, v4
	s_waitcnt_depctr 0xfff
	v_add_nc_u32_e32 v5, -1, v3
	v_add_nc_u32_e32 v6, 1, v3
	s_delay_alu instid0(VALU_DEP_2) | instskip(NEXT) | instid1(VALU_DEP_2)
	v_fma_f32 v7, -v5, v3, v4
	v_fma_f32 v8, -v6, v3, v4
	s_delay_alu instid0(VALU_DEP_2) | instskip(NEXT) | instid1(VALU_DEP_1)
	v_cmp_ge_f32_e64 s2, 0, v7
	v_cndmask_b32_e64 v3, v3, v5, s2
	s_delay_alu instid0(VALU_DEP_3) | instskip(NEXT) | instid1(VALU_DEP_1)
	v_cmp_lt_f32_e64 s2, 0, v8
	v_cndmask_b32_e64 v3, v3, v6, s2
	s_delay_alu instid0(VALU_DEP_1) | instskip(NEXT) | instid1(VALU_DEP_1)
	v_mul_f32_e32 v5, 0x37800000, v3
	v_cndmask_b32_e32 v5, v3, v5, vcc_lo
	v_cmp_class_f32_e64 vcc_lo, v4, 0x260
	v_cndmask_b32_e64 v3, 0, 1, s3
	s_delay_alu instid0(VALU_DEP_3) | instskip(SKIP_1) | instid1(VALU_DEP_1)
	v_cndmask_b32_e32 v9, v5, v4, vcc_lo
	s_and_not1_b32 vcc_lo, exec_lo, s3
	v_mov_b32_e32 v25, v9
	s_cbranch_vccnz .LBB127_4
; %bb.3:
	global_load_b32 v4, v96, s[6:7] offset:128
	s_waitcnt vmcnt(0)
	v_add_f32_e32 v25, v9, v4
.LBB127_4:
	global_load_u16 v4, v[1:2], off offset:128
	s_mov_b32 s3, 0x3fb8aa3b
	s_waitcnt vmcnt(0)
	v_cvt_f32_f16_e32 v5, v4
	s_delay_alu instid0(VALU_DEP_1) | instskip(NEXT) | instid1(VALU_DEP_1)
	v_mul_f32_e32 v6, 0x3fb8aa3b, v5
	v_cmp_gt_f32_e32 vcc_lo, 0xc2fc0000, v6
	v_cndmask_b32_e64 v7, 0, 0x42800000, vcc_lo
	v_cndmask_b32_e64 v6, 1.0, 0x1f800000, vcc_lo
	s_delay_alu instid0(VALU_DEP_2) | instskip(NEXT) | instid1(VALU_DEP_1)
	v_fma_mix_f32 v7, v4, s3, v7 op_sel_hi:[1,0,0]
	v_exp_f32_e32 v7, v7
	s_waitcnt_depctr 0xfff
	v_fma_f32 v6, v7, v6, 1.0
	s_delay_alu instid0(VALU_DEP_1) | instskip(SKIP_1) | instid1(VALU_DEP_1)
	v_cmp_gt_f32_e32 vcc_lo, 0x800000, v6
	v_cndmask_b32_e64 v7, 1.0, 0x4f800000, vcc_lo
	v_mul_f32_e32 v6, v6, v7
	v_cndmask_b32_e64 v7, 0, 0x42000000, vcc_lo
	v_cmp_lt_f16_e32 vcc_lo, 0x4d00, v4
	s_delay_alu instid0(VALU_DEP_3) | instskip(SKIP_2) | instid1(VALU_DEP_1)
	v_log_f32_e32 v6, v6
	s_waitcnt_depctr 0xfff
	v_sub_f32_e32 v6, v6, v7
	v_mul_f32_e32 v6, 0x3f317218, v6
	s_delay_alu instid0(VALU_DEP_1) | instskip(NEXT) | instid1(VALU_DEP_1)
	v_cndmask_b32_e32 v4, v6, v5, vcc_lo
	v_mul_f32_e32 v5, 0x4f800000, v4
	v_cmp_gt_f32_e32 vcc_lo, 0xf800000, v4
	s_delay_alu instid0(VALU_DEP_2) | instskip(NEXT) | instid1(VALU_DEP_1)
	v_cndmask_b32_e32 v4, v4, v5, vcc_lo
	v_sqrt_f32_e32 v5, v4
	s_waitcnt_depctr 0xfff
	v_add_nc_u32_e32 v6, -1, v5
	v_add_nc_u32_e32 v7, 1, v5
	s_delay_alu instid0(VALU_DEP_2) | instskip(NEXT) | instid1(VALU_DEP_2)
	v_fma_f32 v8, -v6, v5, v4
	v_fma_f32 v10, -v7, v5, v4
	s_delay_alu instid0(VALU_DEP_2) | instskip(NEXT) | instid1(VALU_DEP_1)
	v_cmp_ge_f32_e64 s2, 0, v8
	v_cndmask_b32_e64 v5, v5, v6, s2
	s_delay_alu instid0(VALU_DEP_3) | instskip(NEXT) | instid1(VALU_DEP_1)
	v_cmp_lt_f32_e64 s2, 0, v10
	v_cndmask_b32_e64 v5, v5, v7, s2
	s_delay_alu instid0(VALU_DEP_1) | instskip(NEXT) | instid1(VALU_DEP_1)
	v_mul_f32_e32 v6, 0x37800000, v5
	v_cndmask_b32_e32 v5, v5, v6, vcc_lo
	v_cmp_class_f32_e64 vcc_lo, v4, 0x260
	s_delay_alu instid0(VALU_DEP_2) | instskip(SKIP_1) | instid1(VALU_DEP_2)
	v_cndmask_b32_e32 v10, v5, v4, vcc_lo
	v_cmp_ne_u32_e32 vcc_lo, 1, v3
	v_mov_b32_e32 v26, v10
	s_cbranch_vccnz .LBB127_6
; %bb.5:
	global_load_b32 v4, v96, s[6:7] offset:256
	s_waitcnt vmcnt(0)
	v_add_f32_e32 v26, v10, v4
.LBB127_6:
	global_load_u16 v4, v[1:2], off offset:192
	s_waitcnt vmcnt(0)
	v_cvt_f32_f16_e32 v5, v4
	s_delay_alu instid0(VALU_DEP_1) | instskip(NEXT) | instid1(VALU_DEP_1)
	v_mul_f32_e32 v6, 0x3fb8aa3b, v5
	v_cmp_gt_f32_e32 vcc_lo, 0xc2fc0000, v6
	v_cndmask_b32_e64 v7, 0, 0x42800000, vcc_lo
	v_cndmask_b32_e64 v6, 1.0, 0x1f800000, vcc_lo
	s_delay_alu instid0(VALU_DEP_2) | instskip(NEXT) | instid1(VALU_DEP_1)
	v_fma_mix_f32 v7, v4, s3, v7 op_sel_hi:[1,0,0]
	v_exp_f32_e32 v7, v7
	s_waitcnt_depctr 0xfff
	v_fma_f32 v6, v7, v6, 1.0
	s_delay_alu instid0(VALU_DEP_1) | instskip(SKIP_1) | instid1(VALU_DEP_1)
	v_cmp_gt_f32_e32 vcc_lo, 0x800000, v6
	v_cndmask_b32_e64 v7, 1.0, 0x4f800000, vcc_lo
	v_mul_f32_e32 v6, v6, v7
	v_cndmask_b32_e64 v7, 0, 0x42000000, vcc_lo
	v_cmp_lt_f16_e32 vcc_lo, 0x4d00, v4
	s_delay_alu instid0(VALU_DEP_3) | instskip(SKIP_2) | instid1(VALU_DEP_1)
	v_log_f32_e32 v6, v6
	s_waitcnt_depctr 0xfff
	v_sub_f32_e32 v6, v6, v7
	v_mul_f32_e32 v6, 0x3f317218, v6
	s_delay_alu instid0(VALU_DEP_1) | instskip(NEXT) | instid1(VALU_DEP_1)
	v_cndmask_b32_e32 v4, v6, v5, vcc_lo
	v_mul_f32_e32 v5, 0x4f800000, v4
	v_cmp_gt_f32_e32 vcc_lo, 0xf800000, v4
	s_delay_alu instid0(VALU_DEP_2) | instskip(NEXT) | instid1(VALU_DEP_1)
	v_cndmask_b32_e32 v4, v4, v5, vcc_lo
	v_sqrt_f32_e32 v5, v4
	s_waitcnt_depctr 0xfff
	v_add_nc_u32_e32 v6, -1, v5
	v_add_nc_u32_e32 v7, 1, v5
	s_delay_alu instid0(VALU_DEP_2) | instskip(NEXT) | instid1(VALU_DEP_2)
	v_fma_f32 v8, -v6, v5, v4
	v_fma_f32 v11, -v7, v5, v4
	s_delay_alu instid0(VALU_DEP_2) | instskip(NEXT) | instid1(VALU_DEP_1)
	v_cmp_ge_f32_e64 s2, 0, v8
	v_cndmask_b32_e64 v5, v5, v6, s2
	s_delay_alu instid0(VALU_DEP_3) | instskip(NEXT) | instid1(VALU_DEP_1)
	v_cmp_lt_f32_e64 s2, 0, v11
	v_cndmask_b32_e64 v5, v5, v7, s2
	s_delay_alu instid0(VALU_DEP_1) | instskip(NEXT) | instid1(VALU_DEP_1)
	v_mul_f32_e32 v6, 0x37800000, v5
	v_cndmask_b32_e32 v5, v5, v6, vcc_lo
	v_cmp_class_f32_e64 vcc_lo, v4, 0x260
	s_delay_alu instid0(VALU_DEP_2) | instskip(SKIP_1) | instid1(VALU_DEP_2)
	v_cndmask_b32_e32 v11, v5, v4, vcc_lo
	v_cmp_ne_u32_e32 vcc_lo, 1, v3
	v_mov_b32_e32 v27, v11
	s_cbranch_vccnz .LBB127_8
; %bb.7:
	global_load_b32 v4, v96, s[6:7] offset:384
	s_waitcnt vmcnt(0)
	v_add_f32_e32 v27, v11, v4
.LBB127_8:
	global_load_u16 v4, v[1:2], off offset:256
	;; [unrolled: 57-line block ×5, first 2 shown]
	s_waitcnt vmcnt(0)
	v_cvt_f32_f16_e32 v2, v1
	s_delay_alu instid0(VALU_DEP_1) | instskip(NEXT) | instid1(VALU_DEP_1)
	v_mul_f32_e32 v4, 0x3fb8aa3b, v2
	v_cmp_gt_f32_e32 vcc_lo, 0xc2fc0000, v4
	v_cndmask_b32_e64 v5, 0, 0x42800000, vcc_lo
	v_cndmask_b32_e64 v4, 1.0, 0x1f800000, vcc_lo
	s_delay_alu instid0(VALU_DEP_2) | instskip(NEXT) | instid1(VALU_DEP_1)
	v_fma_mix_f32 v5, v1, s3, v5 op_sel_hi:[1,0,0]
	v_exp_f32_e32 v5, v5
	s_waitcnt_depctr 0xfff
	v_fma_f32 v4, v5, v4, 1.0
	s_delay_alu instid0(VALU_DEP_1) | instskip(SKIP_1) | instid1(VALU_DEP_1)
	v_cmp_gt_f32_e32 vcc_lo, 0x800000, v4
	v_cndmask_b32_e64 v5, 1.0, 0x4f800000, vcc_lo
	v_mul_f32_e32 v4, v4, v5
	v_cndmask_b32_e64 v5, 0, 0x42000000, vcc_lo
	v_cmp_lt_f16_e32 vcc_lo, 0x4d00, v1
	s_delay_alu instid0(VALU_DEP_3) | instskip(SKIP_2) | instid1(VALU_DEP_1)
	v_log_f32_e32 v4, v4
	s_waitcnt_depctr 0xfff
	v_sub_f32_e32 v4, v4, v5
	v_mul_f32_e32 v4, 0x3f317218, v4
	s_delay_alu instid0(VALU_DEP_1) | instskip(NEXT) | instid1(VALU_DEP_1)
	v_cndmask_b32_e32 v1, v4, v2, vcc_lo
	v_mul_f32_e32 v2, 0x4f800000, v1
	v_cmp_gt_f32_e32 vcc_lo, 0xf800000, v1
	s_delay_alu instid0(VALU_DEP_2) | instskip(NEXT) | instid1(VALU_DEP_1)
	v_cndmask_b32_e32 v1, v1, v2, vcc_lo
	v_sqrt_f32_e32 v2, v1
	s_waitcnt_depctr 0xfff
	v_add_nc_u32_e32 v4, -1, v2
	v_add_nc_u32_e32 v5, 1, v2
	s_delay_alu instid0(VALU_DEP_2) | instskip(NEXT) | instid1(VALU_DEP_2)
	v_fma_f32 v6, -v4, v2, v1
	v_fma_f32 v7, -v5, v2, v1
	s_delay_alu instid0(VALU_DEP_2) | instskip(NEXT) | instid1(VALU_DEP_1)
	v_cmp_ge_f32_e64 s2, 0, v6
	v_cndmask_b32_e64 v2, v2, v4, s2
	s_delay_alu instid0(VALU_DEP_3) | instskip(NEXT) | instid1(VALU_DEP_1)
	v_cmp_lt_f32_e64 s2, 0, v7
	v_cndmask_b32_e64 v2, v2, v5, s2
	s_delay_alu instid0(VALU_DEP_1) | instskip(NEXT) | instid1(VALU_DEP_1)
	v_mul_f32_e32 v4, 0x37800000, v2
	v_cndmask_b32_e32 v2, v2, v4, vcc_lo
	v_cmp_class_f32_e64 vcc_lo, v1, 0x260
	s_delay_alu instid0(VALU_DEP_2)
	v_cndmask_b32_e32 v15, v2, v1, vcc_lo
	v_cmp_ne_u32_e32 vcc_lo, 1, v3
	s_cbranch_vccnz .LBB127_16
; %bb.15:
	global_load_b32 v1, v96, s[6:7] offset:896
	s_waitcnt vmcnt(0)
	v_add_f32_e32 v31, v15, v1
	s_branch .LBB127_17
.LBB127_16:
	s_delay_alu instid0(VALU_DEP_2)
	v_mov_b32_e32 v31, v15
.LBB127_17:
	v_add_nc_u32_e32 v7, 0xe0, v0
	v_dual_mov_b32 v16, v24 :: v_dual_add_nc_u32 v1, 32, v0
	v_dual_mov_b32 v17, v25 :: v_dual_add_nc_u32 v2, 64, v0
	;; [unrolled: 1-line block ×6, first 2 shown]
	v_dual_mov_b32 v22, v30 :: v_dual_mov_b32 v39, v7
	s_delay_alu instid0(VALU_DEP_2)
	v_dual_mov_b32 v47, v7 :: v_dual_mov_b32 v46, v6
	v_dual_mov_b32 v71, v7 :: v_dual_mov_b32 v70, v6
	v_dual_mov_b32 v55, v7 :: v_dual_mov_b32 v54, v6
	v_dual_mov_b32 v38, v6 :: v_dual_mov_b32 v37, v5
	v_dual_mov_b32 v36, v4 :: v_dual_mov_b32 v35, v3
	v_dual_mov_b32 v34, v2 :: v_dual_mov_b32 v33, v1
	v_dual_mov_b32 v32, v0 :: v_dual_mov_b32 v45, v5
	v_dual_mov_b32 v44, v4 :: v_dual_mov_b32 v43, v3
	v_dual_mov_b32 v42, v2 :: v_dual_mov_b32 v41, v1
	v_dual_mov_b32 v40, v0 :: v_dual_mov_b32 v69, v5
	v_dual_mov_b32 v68, v4 :: v_dual_mov_b32 v67, v3
	v_dual_mov_b32 v66, v2 :: v_dual_mov_b32 v65, v1
	v_dual_mov_b32 v64, v0 :: v_dual_mov_b32 v53, v5
	v_dual_mov_b32 v52, v4 :: v_dual_mov_b32 v51, v3
	v_dual_mov_b32 v50, v2 :: v_dual_mov_b32 v49, v1
	v_dual_mov_b32 v48, v0 :: v_dual_mov_b32 v23, v31
	v_mov_b32_e32 v8, v56
	s_mov_b32 s2, exec_lo
	v_cmpx_lt_f32_e32 v24, v25
	s_xor_b32 s2, exec_lo, s2
	s_cbranch_execz .LBB127_19
; %bb.18:
	v_dual_mov_b32 v38, v6 :: v_dual_mov_b32 v39, v7
	v_dual_mov_b32 v32, v1 :: v_dual_mov_b32 v33, v0
	v_dual_mov_b32 v34, v2 :: v_dual_mov_b32 v35, v3
	v_dual_mov_b32 v36, v4 :: v_dual_mov_b32 v37, v5
	s_delay_alu instid0(VALU_DEP_4)
	v_dual_mov_b32 v47, v39 :: v_dual_mov_b32 v46, v38
	v_dual_mov_b32 v71, v39 :: v_dual_mov_b32 v70, v38
	;; [unrolled: 1-line block ×17, first 2 shown]
	v_mov_b32_e32 v9, v56
	v_mov_b32_e32 v1, v0
.LBB127_19:
	s_or_b32 exec_lo, exec_lo, s2
	v_dual_mov_b32 v63, v15 :: v_dual_mov_b32 v62, v14
	v_dual_mov_b32 v79, v15 :: v_dual_mov_b32 v78, v14
	;; [unrolled: 1-line block ×16, first 2 shown]
	v_mov_b32_e32 v24, v18
	s_mov_b32 s2, exec_lo
	v_cmpx_lt_f32_e32 v25, v18
	s_cbranch_execz .LBB127_21
; %bb.20:
	v_dual_mov_b32 v55, v39 :: v_dual_mov_b32 v54, v38
	v_dual_mov_b32 v51, v35 :: v_dual_mov_b32 v50, v34
	;; [unrolled: 1-line block ×16, first 2 shown]
	v_mov_b32_e32 v83, v11
	v_dual_mov_b32 v85, v93 :: v_dual_mov_b32 v86, v94
	v_dual_mov_b32 v87, v95 :: v_dual_mov_b32 v40, v64
	;; [unrolled: 1-line block ×3, first 2 shown]
	v_mov_b32_e32 v42, v66
	v_dual_mov_b32 v17, v18 :: v_dual_mov_b32 v72, v80
	v_dual_mov_b32 v41, v65 :: v_dual_mov_b32 v44, v68
	;; [unrolled: 1-line block ×10, first 2 shown]
	s_delay_alu instid0(VALU_DEP_2)
	v_dual_mov_b32 v56, v72 :: v_dual_mov_b32 v57, v73
	v_dual_mov_b32 v36, v44 :: v_dual_mov_b32 v37, v45
	;; [unrolled: 1-line block ×11, first 2 shown]
	v_mov_b32_e32 v2, v1
.LBB127_21:
	s_or_b32 exec_lo, exec_lo, s2
	v_mov_b32_e32 v1, v19
	s_mov_b32 s2, exec_lo
	v_cmpx_lt_f32_e32 v24, v19
	s_cbranch_execz .LBB127_23
; %bb.22:
	v_mov_b32_e32 v90, v11
	v_mov_b32_e32 v50, v3
	v_dual_mov_b32 v80, v88 :: v_dual_mov_b32 v81, v89
	v_dual_mov_b32 v71, v55 :: v_dual_mov_b32 v70, v54
	;; [unrolled: 1-line block ×3, first 2 shown]
	s_delay_alu instid0(VALU_DEP_4)
	v_dual_mov_b32 v83, v91 :: v_dual_mov_b32 v66, v50
	v_dual_mov_b32 v65, v49 :: v_dual_mov_b32 v68, v52
	;; [unrolled: 1-line block ×3, first 2 shown]
	v_mov_b32_e32 v67, v2
	v_dual_mov_b32 v82, v90 :: v_dual_mov_b32 v87, v95
	v_dual_mov_b32 v85, v93 :: v_dual_mov_b32 v86, v94
	;; [unrolled: 1-line block ×11, first 2 shown]
	v_mov_b32_e32 v44, v4
	v_dual_mov_b32 v56, v72 :: v_dual_mov_b32 v57, v73
	v_dual_mov_b32 v32, v40 :: v_dual_mov_b32 v35, v43
	;; [unrolled: 1-line block ×3, first 2 shown]
	s_delay_alu instid0(VALU_DEP_4)
	v_dual_mov_b32 v37, v45 :: v_dual_mov_b32 v36, v44
	v_dual_mov_b32 v39, v47 :: v_dual_mov_b32 v38, v46
	;; [unrolled: 1-line block ×3, first 2 shown]
	v_mov_b32_e32 v63, v79
	v_dual_mov_b32 v61, v77 :: v_dual_mov_b32 v62, v78
	v_mov_b32_e32 v39, v7
	v_dual_mov_b32 v18, v19 :: v_dual_mov_b32 v19, v24
	v_dual_mov_b32 v60, v76 :: v_dual_mov_b32 v37, v5
	;; [unrolled: 1-line block ×4, first 2 shown]
	v_mov_b32_e32 v1, v24
	v_mov_b32_e32 v11, v10
	;; [unrolled: 1-line block ×3, first 2 shown]
.LBB127_23:
	s_or_b32 exec_lo, exec_lo, s2
	v_mov_b32_e32 v2, v20
	s_mov_b32 s2, exec_lo
	v_cmpx_lt_f32_e32 v1, v20
	s_cbranch_execz .LBB127_25
; %bb.24:
	v_mov_b32_e32 v91, v12
	v_mov_b32_e32 v51, v4
	;; [unrolled: 1-line block ×4, first 2 shown]
	v_dual_mov_b32 v40, v48 :: v_dual_mov_b32 v41, v49
	v_dual_mov_b32 v42, v50 :: v_dual_mov_b32 v47, v55
	;; [unrolled: 1-line block ×4, first 2 shown]
	v_mov_b32_e32 v44, v3
	v_dual_mov_b32 v76, v11 :: v_dual_mov_b32 v19, v20
	v_dual_mov_b32 v45, v53 :: v_dual_mov_b32 v46, v54
	;; [unrolled: 1-line block ×4, first 2 shown]
	v_mov_b32_e32 v73, v89
	v_mov_b32_e32 v56, v72
	v_dual_mov_b32 v32, v40 :: v_dual_mov_b32 v33, v41
	v_dual_mov_b32 v60, v76 :: v_dual_mov_b32 v61, v77
	;; [unrolled: 1-line block ×9, first 2 shown]
	v_mov_b32_e32 v59, v75
	v_dual_mov_b32 v37, v5 :: v_dual_mov_b32 v38, v6
	v_dual_mov_b32 v39, v7 :: v_dual_mov_b32 v62, v14
	;; [unrolled: 1-line block ×10, first 2 shown]
	v_mov_b32_e32 v4, v3
.LBB127_25:
	s_or_b32 exec_lo, exec_lo, s2
	v_mov_b32_e32 v1, v21
	s_mov_b32 s2, exec_lo
	v_cmpx_lt_f32_e32 v2, v21
	s_cbranch_execz .LBB127_27
; %bb.26:
	v_mov_b32_e32 v68, v5
	v_dual_mov_b32 v20, v21 :: v_dual_mov_b32 v21, v2
	v_mov_b32_e32 v84, v13
	v_dual_mov_b32 v32, v64 :: v_dual_mov_b32 v33, v65
	v_dual_mov_b32 v39, v71 :: v_dual_mov_b32 v56, v80
	;; [unrolled: 1-line block ×7, first 2 shown]
	v_mov_b32_e32 v61, v12
	v_dual_mov_b32 v72, v80 :: v_dual_mov_b32 v73, v81
	v_dual_mov_b32 v40, v64 :: v_dual_mov_b32 v41, v65
	v_dual_mov_b32 v35, v67 :: v_dual_mov_b32 v36, v68
	v_dual_mov_b32 v39, v7 :: v_dual_mov_b32 v38, v6
	v_dual_mov_b32 v57, v81 :: v_dual_mov_b32 v62, v14
	v_dual_mov_b32 v63, v15 :: v_dual_mov_b32 v74, v82
	v_dual_mov_b32 v75, v83 :: v_dual_mov_b32 v76, v84
	v_dual_mov_b32 v77, v85 :: v_dual_mov_b32 v42, v66
	v_dual_mov_b32 v43, v67 :: v_dual_mov_b32 v44, v68
	v_mov_b32_e32 v45, v69
	v_mov_b32_e32 v1, v2
	;; [unrolled: 1-line block ×3, first 2 shown]
	v_dual_mov_b32 v5, v4 :: v_dual_mov_b32 v78, v86
	v_dual_mov_b32 v79, v87 :: v_dual_mov_b32 v46, v70
	v_mov_b32_e32 v47, v71
.LBB127_27:
	s_or_b32 exec_lo, exec_lo, s2
	v_mov_b32_e32 v2, v22
	s_mov_b32 s2, exec_lo
	v_cmpx_lt_f32_e32 v1, v22
	s_cbranch_execz .LBB127_29
; %bb.28:
	v_dual_mov_b32 v77, v14 :: v_dual_mov_b32 v78, v13
	v_dual_mov_b32 v45, v6 :: v_dual_mov_b32 v46, v5
	v_mov_b32_e32 v79, v15
	v_dual_mov_b32 v21, v22 :: v_dual_mov_b32 v22, v1
	v_dual_mov_b32 v47, v7 :: v_dual_mov_b32 v56, v72
	v_dual_mov_b32 v61, v77 :: v_dual_mov_b32 v32, v40
	v_dual_mov_b32 v57, v73 :: v_dual_mov_b32 v58, v74
	v_dual_mov_b32 v59, v75 :: v_dual_mov_b32 v62, v78
	v_dual_mov_b32 v60, v76 :: v_dual_mov_b32 v63, v79
	v_dual_mov_b32 v34, v42 :: v_dual_mov_b32 v33, v41
	v_dual_mov_b32 v36, v44 :: v_dual_mov_b32 v35, v43
	v_dual_mov_b32 v38, v46 :: v_dual_mov_b32 v37, v45
	v_dual_mov_b32 v39, v47 :: v_dual_mov_b32 v2, v1
.LBB127_29:
	s_or_b32 exec_lo, exec_lo, s2
	s_delay_alu instid0(VALU_DEP_1)
	v_cmp_lt_f32_e32 vcc_lo, v2, v23
	v_mov_b32_e32 v43, v59
	v_cmp_lt_f32_e64 s2, v16, v17
	v_dual_mov_b32 v41, v57 :: v_dual_mov_b32 v42, v58
	v_dual_cndmask_b32 v9, v23, v2 :: v_dual_mov_b32 v44, v60
	v_dual_cndmask_b32 v22, v22, v23 :: v_dual_cndmask_b32 v47, v63, v62
	s_delay_alu instid0(VALU_DEP_2)
	v_dual_mov_b32 v40, v56 :: v_dual_mov_b32 v23, v9
	v_dual_cndmask_b32 v46, v62, v63 :: v_dual_mov_b32 v1, v16
	v_dual_mov_b32 v4, v19 :: v_dual_mov_b32 v45, v61
	v_dual_cndmask_b32 v54, v38, v39 :: v_dual_cndmask_b32 v55, v39, v38
	v_dual_mov_b32 v2, v17 :: v_dual_mov_b32 v3, v18
	v_dual_mov_b32 v6, v21 :: v_dual_mov_b32 v5, v20
	;; [unrolled: 1-line block ×6, first 2 shown]
	s_and_saveexec_b32 s3, s2
	s_delay_alu instid0(SALU_CYCLE_1)
	s_xor_b32 s2, exec_lo, s3
	s_cbranch_execz .LBB127_31
; %bb.30:
	v_dual_mov_b32 v2, v17 :: v_dual_mov_b32 v3, v16
	v_dual_mov_b32 v4, v18 :: v_dual_mov_b32 v5, v19
	;; [unrolled: 1-line block ×4, first 2 shown]
	s_delay_alu instid0(VALU_DEP_4)
	v_dual_mov_b32 v1, v2 :: v_dual_mov_b32 v40, v57
	v_dual_mov_b32 v2, v3 :: v_dual_mov_b32 v41, v56
	;; [unrolled: 1-line block ×10, first 2 shown]
.LBB127_31:
	s_or_b32 exec_lo, exec_lo, s2
	v_dual_mov_b32 v26, v40 :: v_dual_mov_b32 v27, v41
	v_dual_mov_b32 v79, v47 :: v_dual_mov_b32 v78, v46
	;; [unrolled: 1-line block ×22, first 2 shown]
	v_mov_b32_e32 v34, v3
	s_mov_b32 s2, exec_lo
	v_dual_mov_b32 v77, v45 :: v_dual_mov_b32 v76, v44
	v_dual_mov_b32 v69, v53 :: v_dual_mov_b32 v68, v52
	v_cmpx_lt_f32_e32 v17, v3
	s_cbranch_execz .LBB127_33
; %bb.32:
	v_dual_mov_b32 v9, v48 :: v_dual_mov_b32 v10, v49
	v_dual_mov_b32 v15, v54 :: v_dual_mov_b32 v16, v55
	v_mov_b32_e32 v10, v50
	v_dual_mov_b32 v11, v50 :: v_dual_mov_b32 v12, v51
	v_dual_mov_b32 v13, v52 :: v_dual_mov_b32 v14, v53
	;; [unrolled: 1-line block ×3, first 2 shown]
	v_mov_b32_e32 v11, v49
	v_dual_mov_b32 v59, v43 :: v_dual_mov_b32 v58, v42
	v_dual_mov_b32 v57, v41 :: v_dual_mov_b32 v56, v40
	;; [unrolled: 1-line block ×14, first 2 shown]
	v_mov_b32_e32 v23, v69
	v_dual_mov_b32 v23, v53 :: v_dual_mov_b32 v26, v72
	v_dual_mov_b32 v19, v65 :: v_dual_mov_b32 v22, v68
	;; [unrolled: 1-line block ×12, first 2 shown]
	v_mov_b32_e32 v42, v41
	v_mov_b32_e32 v50, v49
.LBB127_33:
	s_or_b32 exec_lo, exec_lo, s2
	v_mov_b32_e32 v17, v4
	s_mov_b32 s2, exec_lo
	v_cmpx_lt_f32_e32 v34, v4
	s_cbranch_execz .LBB127_35
; %bb.34:
	v_mov_b32_e32 v11, v51
	v_dual_mov_b32 v3, v4 :: v_dual_mov_b32 v4, v34
	v_dual_mov_b32 v58, v43 :: v_dual_mov_b32 v71, v16
	v_mov_b32_e32 v64, v9
	v_dual_mov_b32 v70, v15 :: v_dual_mov_b32 v69, v14
	v_dual_mov_b32 v79, v63 :: v_dual_mov_b32 v76, v60
	;; [unrolled: 1-line block ×5, first 2 shown]
	v_mov_b32_e32 v67, v50
	v_dual_mov_b32 v78, v62 :: v_dual_mov_b32 v77, v61
	v_dual_mov_b32 v74, v58 :: v_dual_mov_b32 v73, v57
	;; [unrolled: 1-line block ×14, first 2 shown]
	v_mov_b32_e32 v33, v47
	v_mov_b32_e32 v17, v34
	;; [unrolled: 1-line block ×4, first 2 shown]
.LBB127_35:
	s_or_b32 exec_lo, exec_lo, s2
	v_mov_b32_e32 v12, v5
	s_mov_b32 s2, exec_lo
	v_cmpx_lt_f32_e32 v17, v5
	s_cbranch_execz .LBB127_37
; %bb.36:
	v_mov_b32_e32 v12, v52
	v_dual_mov_b32 v4, v5 :: v_dual_mov_b32 v59, v44
	v_mov_b32_e32 v5, v17
	v_dual_mov_b32 v25, v16 :: v_dual_mov_b32 v24, v15
	v_dual_mov_b32 v26, v56 :: v_dual_mov_b32 v27, v57
	;; [unrolled: 1-line block ×19, first 2 shown]
	v_mov_b32_e32 v12, v17
	v_mov_b32_e32 v44, v43
	v_dual_mov_b32 v52, v51 :: v_dual_mov_b32 v77, v61
	v_mov_b32_e32 v76, v60
.LBB127_37:
	s_or_b32 exec_lo, exec_lo, s2
	v_mov_b32_e32 v9, v6
	s_mov_b32 s2, exec_lo
	v_cmpx_lt_f32_e32 v12, v6
	s_cbranch_execz .LBB127_39
; %bb.38:
	v_dual_mov_b32 v68, v53 :: v_dual_mov_b32 v69, v52
	v_dual_mov_b32 v70, v54 :: v_dual_mov_b32 v77, v44
	;; [unrolled: 1-line block ×13, first 2 shown]
	v_mov_b32_e32 v9, v12
.LBB127_39:
	s_or_b32 exec_lo, exec_lo, s2
	s_delay_alu instid0(VALU_DEP_1)
	v_cmp_lt_f32_e32 vcc_lo, v9, v7
	v_mov_b32_e32 v11, v3
	v_mov_b32_e32 v13, v5
	s_mov_b32 s2, exec_lo
	v_dual_mov_b32 v10, v2 :: v_dual_cndmask_b32 v17, v32, v31
	v_dual_cndmask_b32 v31, v31, v32 :: v_dual_cndmask_b32 v66, v24, v23
	v_dual_cndmask_b32 v23, v23, v24 :: v_dual_cndmask_b32 v14, v6, v7
	v_dual_cndmask_b32 v15, v7, v9 :: v_dual_mov_b32 v12, v4
	v_dual_mov_b32 v9, v1 :: v_dual_mov_b32 v16, v8
	v_cmpx_lt_f32_e32 v1, v2
	s_cbranch_execz .LBB127_41
; %bb.40:
	s_delay_alu instid0(VALU_DEP_2) | instskip(NEXT) | instid1(VALU_DEP_3)
	v_dual_mov_b32 v2, v10 :: v_dual_mov_b32 v3, v9
	v_dual_mov_b32 v8, v15 :: v_dual_mov_b32 v9, v16
	;; [unrolled: 1-line block ×4, first 2 shown]
	s_delay_alu instid0(VALU_DEP_3) | instskip(NEXT) | instid1(VALU_DEP_4)
	v_mov_b32_e32 v16, v9
	v_dual_mov_b32 v24, v26 :: v_dual_mov_b32 v15, v8
	s_delay_alu instid0(VALU_DEP_4)
	v_dual_mov_b32 v32, v18 :: v_dual_mov_b32 v11, v4
	v_swap_b32 v26, v27
	v_swap_b32 v18, v19
	v_dual_mov_b32 v14, v7 :: v_dual_mov_b32 v13, v6
	v_mov_b32_e32 v12, v5
	v_dual_mov_b32 v10, v3 :: v_dual_mov_b32 v9, v2
	v_mov_b32_e32 v2, v1
.LBB127_41:
	s_or_b32 exec_lo, exec_lo, s2
	v_mov_b32_e32 v24, v66
	v_mov_b32_e32 v32, v17
	;; [unrolled: 1-line block ×4, first 2 shown]
	s_delay_alu instid0(VALU_DEP_4)
	v_dual_mov_b32 v41, v33 :: v_dual_mov_b32 v48, v24
	v_dual_mov_b32 v34, v26 :: v_dual_mov_b32 v65, v33
	v_dual_mov_b32 v44, v20 :: v_dual_mov_b32 v57, v25
	v_dual_mov_b32 v40, v32 :: v_dual_mov_b32 v39, v31
	v_dual_mov_b32 v38, v30 :: v_dual_mov_b32 v37, v29
	v_dual_mov_b32 v36, v28 :: v_dual_mov_b32 v35, v27
	v_dual_mov_b32 v64, v32 :: v_dual_mov_b32 v63, v31
	v_dual_mov_b32 v62, v30 :: v_dual_mov_b32 v61, v29
	v_dual_mov_b32 v60, v28 :: v_dual_mov_b32 v59, v27
	v_dual_mov_b32 v58, v26 :: v_dual_mov_b32 v45, v21
	v_dual_mov_b32 v46, v22 :: v_dual_mov_b32 v43, v19
	v_dual_mov_b32 v42, v18 :: v_dual_mov_b32 v55, v23
	v_dual_mov_b32 v56, v24 :: v_dual_mov_b32 v53, v21
	v_dual_mov_b32 v54, v22 :: v_dual_mov_b32 v51, v19
	v_dual_mov_b32 v52, v20 :: v_dual_mov_b32 v1, v11
	v_mov_b32_e32 v50, v18
	s_mov_b32 s2, exec_lo
	v_cmpx_lt_f32_e32 v2, v11
	s_cbranch_execz .LBB127_43
; %bb.42:
	v_dual_mov_b32 v57, v25 :: v_dual_mov_b32 v56, v24
	v_dual_mov_b32 v53, v21 :: v_dual_mov_b32 v52, v20
	;; [unrolled: 1-line block ×7, first 2 shown]
	s_delay_alu instid0(VALU_DEP_4)
	v_dual_mov_b32 v42, v50 :: v_dual_mov_b32 v43, v51
	v_dual_mov_b32 v63, v31 :: v_dual_mov_b32 v62, v30
	;; [unrolled: 1-line block ×18, first 2 shown]
	v_mov_b32_e32 v1, v2
.LBB127_43:
	s_or_b32 exec_lo, exec_lo, s2
	v_mov_b32_e32 v2, v12
	s_mov_b32 s2, exec_lo
	s_delay_alu instid0(VALU_DEP_2)
	v_cmpx_lt_f32_e32 v1, v12
	s_cbranch_execz .LBB127_45
; %bb.44:
	v_dual_mov_b32 v52, v21 :: v_dual_mov_b32 v11, v12
	v_mov_b32_e32 v60, v29
	v_dual_mov_b32 v42, v50 :: v_dual_mov_b32 v45, v53
	v_dual_mov_b32 v47, v55 :: v_dual_mov_b32 v34, v58
	s_delay_alu instid0(VALU_DEP_4)
	v_dual_mov_b32 v37, v61 :: v_dual_mov_b32 v44, v52
	v_dual_mov_b32 v49, v57 :: v_dual_mov_b32 v46, v54
	v_mov_b32_e32 v45, v20
	v_dual_mov_b32 v48, v56 :: v_dual_mov_b32 v47, v23
	v_dual_mov_b32 v36, v60 :: v_dual_mov_b32 v39, v63
	;; [unrolled: 1-line block ×9, first 2 shown]
	v_mov_b32_e32 v41, v33
	v_dual_mov_b32 v2, v1 :: v_dual_mov_b32 v21, v20
.LBB127_45:
	s_or_b32 exec_lo, exec_lo, s2
	v_mov_b32_e32 v1, v13
	s_mov_b32 s2, exec_lo
	s_delay_alu instid0(VALU_DEP_2)
	v_cmpx_lt_f32_e32 v2, v13
	s_cbranch_execz .LBB127_47
; %bb.46:
	v_dual_mov_b32 v53, v22 :: v_dual_mov_b32 v54, v21
	v_dual_mov_b32 v55, v23 :: v_dual_mov_b32 v56, v66
	;; [unrolled: 1-line block ×4, first 2 shown]
	v_mov_b32_e32 v57, v25
	v_dual_mov_b32 v65, v33 :: v_dual_mov_b32 v42, v50
	v_mov_b32_e32 v34, v58
	v_dual_mov_b32 v12, v13 :: v_dual_mov_b32 v13, v2
	v_dual_mov_b32 v35, v59 :: v_dual_mov_b32 v36, v60
	;; [unrolled: 1-line block ×7, first 2 shown]
	v_mov_b32_e32 v47, v55
	v_mov_b32_e32 v49, v57
	;; [unrolled: 1-line block ×3, first 2 shown]
.LBB127_47:
	s_or_b32 exec_lo, exec_lo, s2
	s_delay_alu instid0(VALU_DEP_1)
	v_cmp_lt_f32_e32 vcc_lo, v1, v14
	v_dual_mov_b32 v20, v10 :: v_dual_mov_b32 v25, v15
	v_mov_b32_e32 v22, v12
	v_dual_mov_b32 v26, v16 :: v_dual_cndmask_b32 v27, v39, v38
	v_cndmask_b32_e32 v38, v38, v39, vcc_lo
	v_dual_cndmask_b32 v28, v47, v46 :: v_dual_mov_b32 v19, v9
	v_dual_cndmask_b32 v46, v46, v47 :: v_dual_cndmask_b32 v23, v13, v14
	v_dual_cndmask_b32 v24, v14, v1 :: v_dual_mov_b32 v21, v11
	s_mov_b32 s2, exec_lo
	v_cmpx_lt_f32_e32 v9, v10
	s_cbranch_execz .LBB127_49
; %bb.48:
	v_dual_mov_b32 v7, v25 :: v_dual_mov_b32 v8, v26
	v_dual_mov_b32 v1, v20 :: v_dual_mov_b32 v2, v19
	;; [unrolled: 1-line block ×4, first 2 shown]
	s_delay_alu instid0(VALU_DEP_4)
	v_dual_mov_b32 v11, v34 :: v_dual_mov_b32 v26, v8
	v_dual_mov_b32 v12, v42 :: v_dual_mov_b32 v25, v7
	v_swap_b32 v34, v35
	v_swap_b32 v42, v43
	v_dual_mov_b32 v24, v6 :: v_dual_mov_b32 v23, v5
	v_dual_mov_b32 v22, v4 :: v_dual_mov_b32 v21, v3
	;; [unrolled: 1-line block ×3, first 2 shown]
	v_mov_b32_e32 v10, v9
.LBB127_49:
	s_or_b32 exec_lo, exec_lo, s2
	v_mov_b32_e32 v47, v28
	v_mov_b32_e32 v39, v27
	v_dual_mov_b32 v1, v42 :: v_dual_mov_b32 v4, v45
	v_dual_mov_b32 v11, v34 :: v_dual_mov_b32 v14, v37
	;; [unrolled: 1-line block ×3, first 2 shown]
	s_delay_alu instid0(VALU_DEP_4)
	v_dual_mov_b32 v16, v39 :: v_dual_mov_b32 v15, v38
	v_dual_mov_b32 v18, v41 :: v_dual_mov_b32 v17, v40
	v_dual_mov_b32 v2, v43 :: v_dual_mov_b32 v3, v44
	v_dual_mov_b32 v8, v49 :: v_dual_mov_b32 v5, v46
	v_dual_mov_b32 v6, v47 :: v_dual_mov_b32 v7, v48
	v_mov_b32_e32 v9, v21
	s_mov_b32 s2, exec_lo
	v_cmpx_lt_f32_e32 v10, v21
	s_cbranch_execz .LBB127_51
; %bb.50:
	v_dual_mov_b32 v1, v42 :: v_dual_mov_b32 v2, v43
	v_dual_mov_b32 v5, v46 :: v_dual_mov_b32 v6, v47
	;; [unrolled: 1-line block ×16, first 2 shown]
	v_mov_b32_e32 v18, v41
	v_mov_b32_e32 v36, v35
	;; [unrolled: 1-line block ×3, first 2 shown]
.LBB127_51:
	s_or_b32 exec_lo, exec_lo, s2
	v_mov_b32_e32 v29, v22
	s_mov_b32 s2, exec_lo
	v_cmpx_lt_f32_e32 v9, v22
; %bb.52:
	v_dual_mov_b32 v21, v22 :: v_dual_mov_b32 v22, v9
	v_dual_mov_b32 v3, v45 :: v_dual_mov_b32 v4, v44
	;; [unrolled: 1-line block ×7, first 2 shown]
	v_mov_b32_e32 v29, v9
; %bb.53:
	s_or_b32 exec_lo, exec_lo, s2
	s_delay_alu instid0(VALU_DEP_1)
	v_cmp_lt_f32_e32 vcc_lo, v29, v23
	v_dual_mov_b32 v28, v20 :: v_dual_mov_b32 v33, v25
	v_mov_b32_e32 v32, v24
	v_dual_mov_b32 v34, v26 :: v_dual_cndmask_b32 v9, v15, v14
	v_cndmask_b32_e32 v14, v14, v15, vcc_lo
	v_dual_cndmask_b32 v10, v5, v4 :: v_dual_cndmask_b32 v31, v23, v29
	v_dual_cndmask_b32 v4, v4, v5 :: v_dual_mov_b32 v27, v19
	v_dual_cndmask_b32 v30, v22, v23 :: v_dual_mov_b32 v29, v21
	s_mov_b32 s2, exec_lo
	v_cmpx_lt_f32_e32 v19, v20
	s_cbranch_execz .LBB127_55
; %bb.54:
	v_dual_mov_b32 v20, v28 :: v_dual_mov_b32 v21, v27
	v_dual_mov_b32 v26, v33 :: v_dual_mov_b32 v27, v34
	;; [unrolled: 1-line block ×4, first 2 shown]
	s_delay_alu instid0(VALU_DEP_3) | instskip(SKIP_2) | instid1(VALU_DEP_4)
	v_dual_mov_b32 v15, v1 :: v_dual_mov_b32 v34, v27
	v_mov_b32_e32 v5, v11
	v_swap_b32 v11, v12
	v_mov_b32_e32 v32, v25
	v_swap_b32 v1, v2
	v_dual_mov_b32 v33, v26 :: v_dual_mov_b32 v30, v23
	v_dual_mov_b32 v31, v24 :: v_dual_mov_b32 v28, v21
	v_mov_b32_e32 v29, v22
	v_dual_mov_b32 v27, v20 :: v_dual_mov_b32 v20, v19
.LBB127_55:
	s_or_b32 exec_lo, exec_lo, s2
	v_mov_b32_e32 v5, v10
	v_mov_b32_e32 v15, v9
	;; [unrolled: 1-line block ×3, first 2 shown]
	s_mov_b32 s2, exec_lo
	v_cmpx_lt_f32_e32 v20, v29
	s_cbranch_execz .LBB127_57
; %bb.56:
	v_dual_mov_b32 v50, v18 :: v_dual_mov_b32 v49, v17
	v_dual_mov_b32 v42, v8 :: v_dual_mov_b32 v41, v7
	;; [unrolled: 1-line block ×14, first 2 shown]
	v_mov_b32_e32 v50, v18
	v_dual_mov_b32 v28, v29 :: v_dual_mov_b32 v29, v20
	v_dual_mov_b32 v42, v8 :: v_dual_mov_b32 v11, v43
	;; [unrolled: 1-line block ×10, first 2 shown]
.LBB127_57:
	s_or_b32 exec_lo, exec_lo, s2
	s_delay_alu instid0(VALU_DEP_1) | instskip(NEXT) | instid1(VALU_DEP_3)
	v_cmp_lt_f32_e32 vcc_lo, v19, v30
	v_dual_mov_b32 v20, v5 :: v_dual_mov_b32 v21, v6
	s_delay_alu instid0(VALU_DEP_3)
	v_dual_mov_b32 v22, v7 :: v_dual_mov_b32 v23, v8
	v_dual_cndmask_b32 v9, v14, v13 :: v_dual_cndmask_b32 v10, v4, v3
	v_dual_cndmask_b32 v35, v13, v14 :: v_dual_cndmask_b32 v36, v3, v4
	;; [unrolled: 1-line block ×3, first 2 shown]
	v_dual_mov_b32 v4, v15 :: v_dual_mov_b32 v13, v16
	v_dual_mov_b32 v14, v17 :: v_dual_mov_b32 v19, v18
	;; [unrolled: 1-line block ×4, first 2 shown]
	v_mov_b32_e32 v29, v34
	s_mov_b32 s2, exec_lo
	v_cmpx_lt_f32_e32 v27, v28
	s_cbranch_execz .LBB127_59
; %bb.58:
	v_dual_mov_b32 v24, v28 :: v_dual_mov_b32 v19, v18
	v_dual_mov_b32 v4, v11 :: v_dual_mov_b32 v13, v16
	;; [unrolled: 1-line block ×3, first 2 shown]
	v_swap_b32 v11, v12
	v_swap_b32 v1, v2
	v_dual_mov_b32 v28, v27 :: v_dual_mov_b32 v21, v6
	v_dual_mov_b32 v4, v15 :: v_dual_mov_b32 v23, v8
	v_dual_mov_b32 v14, v17 :: v_dual_mov_b32 v27, v24
	v_dual_mov_b32 v20, v5 :: v_dual_mov_b32 v25, v32
	v_dual_mov_b32 v22, v7 :: v_dual_mov_b32 v29, v34
	v_mov_b32_e32 v24, v31
	v_mov_b32_e32 v26, v33
.LBB127_59:
	s_or_b32 exec_lo, exec_lo, s2
	s_clause 0x1
	s_load_b32 s8, s[0:1], 0x28
	s_load_b128 s[4:7], s[0:1], 0x10
	v_mov_b32_e32 v6, 0
	s_waitcnt lgkmcnt(0)
	s_cmp_lt_i32 s8, 1
	s_cbranch_scc1 .LBB127_65
; %bb.60:
	v_cmp_lt_f32_e32 vcc_lo, v28, v30
	s_mov_b32 s9, 0x76543210
	s_mov_b32 s10, s8
	v_dual_mov_b32 v7, 0 :: v_dual_mov_b32 v6, 0
	v_cndmask_b32_e32 v18, v37, v30, vcc_lo
	v_dual_cndmask_b32 v5, v36, v2 :: v_dual_cndmask_b32 v2, v2, v36
	v_cndmask_b32_e32 v8, v30, v28, vcc_lo
	v_dual_cndmask_b32 v15, v35, v12 :: v_dual_cndmask_b32 v28, v12, v35
	s_delay_alu instid0(VALU_DEP_4) | instskip(NEXT) | instid1(VALU_DEP_1)
	v_cmp_lt_f32_e64 s2, v27, v18
	v_cndmask_b32_e64 v12, v2, v1, s2
	v_cndmask_b32_e64 v16, v1, v2, s2
	;; [unrolled: 1-line block ×6, first 2 shown]
	v_dual_mov_b32 v28, v0 :: v_dual_mov_b32 v1, 0
	v_mov_b32_e32 v2, 0
.LBB127_61:                             ; =>This Inner Loop Header: Depth=1
	v_cmp_eq_u32_e32 vcc_lo, 1, v7
	v_cmp_eq_u32_e64 s2, 2, v7
	v_dual_cndmask_b32 v30, v18, v17 :: v_dual_cndmask_b32 v31, v16, v12
	v_cndmask_b32_e32 v32, v11, v27, vcc_lo
	v_cmp_eq_u32_e32 vcc_lo, 3, v7
	s_delay_alu instid0(VALU_DEP_3) | instskip(NEXT) | instid1(VALU_DEP_4)
	v_cndmask_b32_e64 v30, v30, v8, s2
	v_cndmask_b32_e64 v31, v31, v5, s2
	s_delay_alu instid0(VALU_DEP_4) | instskip(SKIP_1) | instid1(VALU_DEP_3)
	v_cndmask_b32_e64 v32, v32, v15, s2
	v_cmp_eq_u32_e64 s2, 4, v7
	v_dual_cndmask_b32 v30, v30, v3 :: v_dual_cndmask_b32 v31, v31, v10
	s_delay_alu instid0(VALU_DEP_3) | instskip(SKIP_1) | instid1(VALU_DEP_3)
	v_cndmask_b32_e32 v32, v32, v9, vcc_lo
	v_cmp_eq_u32_e32 vcc_lo, 5, v7
	v_cndmask_b32_e64 v30, v30, v24, s2
	s_delay_alu instid0(VALU_DEP_4) | instskip(NEXT) | instid1(VALU_DEP_4)
	v_cndmask_b32_e64 v31, v31, v20, s2
	v_cndmask_b32_e64 v32, v32, v4, s2
	v_cmp_eq_u32_e64 s2, 6, v7
	s_delay_alu instid0(VALU_DEP_4) | instskip(NEXT) | instid1(VALU_DEP_4)
	v_cndmask_b32_e32 v30, v30, v25, vcc_lo
	v_cndmask_b32_e32 v31, v31, v21, vcc_lo
	s_delay_alu instid0(VALU_DEP_4) | instskip(SKIP_1) | instid1(VALU_DEP_4)
	v_cndmask_b32_e32 v32, v32, v13, vcc_lo
	v_cmp_eq_u32_e32 vcc_lo, 7, v7
	v_cndmask_b32_e64 v30, v30, v26, s2
	s_delay_alu instid0(VALU_DEP_4) | instskip(NEXT) | instid1(VALU_DEP_4)
	v_cndmask_b32_e64 v31, v31, v22, s2
	v_cndmask_b32_e64 v32, v32, v14, s2
	v_cmp_gt_u32_e64 s2, 8, v7
	s_delay_alu instid0(VALU_DEP_3) | instskip(NEXT) | instid1(VALU_DEP_1)
	v_dual_cndmask_b32 v30, v30, v29 :: v_dual_cndmask_b32 v31, v31, v23
	v_cndmask_b32_e64 v30, 0xff800000, v30, s2
	;;#ASMSTART
	v_max_f32 v34, v30, v30 quad_perm:[1,0,3,2] row_mask:0xf bank_mask:0xf bound_ctrl:1
	;;#ASMEND
	;;#ASMSTART
	v_max_f32 v35, v34, v34 quad_perm:[2,3,0,1] row_mask:0xf bank_mask:0xf bound_ctrl:1
	;;#ASMEND
	;;#ASMSTART
	v_max_f32 v34, v35, v35 row_half_mirror row_mask:0xf bank_mask:0xf bound_ctrl:1
	;;#ASMEND
	;;#ASMSTART
	v_max_f32 v35, v34, v34 row_mirror row_mask:0xf bank_mask:0xf bound_ctrl:1
	;;#ASMEND
	v_permlanex16_b32 v34, v35, s9, 0xfedcba98 op_sel:[1,1]
	v_max_f32_e32 v35, v35, v35
	v_cndmask_b32_e64 v33, 0, v31, s2
	s_delay_alu instid0(VALU_DEP_3) | instskip(NEXT) | instid1(VALU_DEP_1)
	v_max_f32_e32 v34, v34, v34
	v_max_f32_e32 v34, v35, v34
	s_delay_alu instid0(VALU_DEP_1) | instskip(SKIP_1) | instid1(VALU_DEP_2)
	v_cmp_eq_f32_e64 s3, v30, v34
	v_cndmask_b32_e32 v30, v32, v19, vcc_lo
	s_ctz_i32_b32 s11, s3
	s_cmp_lg_u32 s3, 0
	s_cselect_b32 s3, s11, 0
	s_add_i32 s10, s10, -1
	v_readlane_b32 s3, v33, s3
	s_delay_alu instid0(VALU_DEP_1)
	v_cmp_eq_u32_e32 vcc_lo, s3, v31
	s_and_b32 vcc_lo, s2, vcc_lo
	s_and_b32 s2, s3, 31
	v_cndmask_b32_e32 v30, 0, v30, vcc_lo
	v_add_co_ci_u32_e32 v7, vcc_lo, 0, v7, vcc_lo
	s_cmp_eq_u32 s10, 0
	s_delay_alu instid0(VALU_DEP_2) | instskip(SKIP_2) | instid1(VALU_DEP_3)
	v_readlane_b32 s11, v30, s2
	v_cmp_eq_u32_e64 s2, 0, v28
	v_add_nc_u32_e32 v28, -1, v28
	v_add_f32_e32 v6, s11, v6
	s_delay_alu instid0(VALU_DEP_3)
	v_cndmask_b32_e64 v2, v2, s11, s2
	v_cndmask_b32_e64 v1, v1, s3, s2
	s_cbranch_scc0 .LBB127_61
; %bb.62:
	s_mov_b32 s2, exec_lo
	v_cmpx_gt_i32_e64 s8, v0
	s_cbranch_execz .LBB127_64
.LBB127_63:
	s_load_b32 s2, s[0:1], 0x30
	v_max_f32_e32 v0, v6, v6
	s_load_b64 s[0:1], s[0:1], 0x20
	s_ashr_i32 s3, s15, 31
	s_delay_alu instid0(VALU_DEP_1) | instskip(SKIP_1) | instid1(VALU_DEP_1)
	v_max_f32_e32 v0, 0x1e3ce508, v0
	s_waitcnt lgkmcnt(0)
	v_div_scale_f32 v3, null, v0, v0, s2
	v_div_scale_f32 v6, vcc_lo, s2, v0, s2
	s_mul_i32 s1, s15, s1
	s_delay_alu instid0(VALU_DEP_2)
	v_rcp_f32_e32 v4, v3
	s_mul_hi_u32 s8, s15, s0
	s_mul_i32 s3, s3, s0
	s_add_i32 s1, s8, s1
	s_mul_i32 s0, s15, s0
	s_add_i32 s1, s1, s3
	s_delay_alu instid0(SALU_CYCLE_1) | instskip(SKIP_2) | instid1(VALU_DEP_1)
	s_lshl_b64 s[0:1], s[0:1], 2
	s_waitcnt_depctr 0xfff
	v_fma_f32 v5, -v3, v4, 1.0
	v_fmac_f32_e32 v4, v5, v4
	s_delay_alu instid0(VALU_DEP_1) | instskip(NEXT) | instid1(VALU_DEP_1)
	v_mul_f32_e32 v5, v6, v4
	v_fma_f32 v7, -v3, v5, v6
	s_delay_alu instid0(VALU_DEP_1) | instskip(NEXT) | instid1(VALU_DEP_1)
	v_fmac_f32_e32 v5, v7, v4
	v_fma_f32 v3, -v3, v5, v6
	s_delay_alu instid0(VALU_DEP_1) | instskip(NEXT) | instid1(VALU_DEP_1)
	v_div_fmas_f32 v3, v3, v4, v5
	v_div_fixup_f32 v0, v3, v0, s2
	s_add_u32 s2, s4, s0
	s_addc_u32 s3, s5, s1
	s_add_u32 s0, s6, s0
	s_addc_u32 s1, s7, s1
	v_mul_f32_e32 v0, v2, v0
	s_clause 0x1
	global_store_b32 v96, v0, s[2:3]
	global_store_b32 v96, v1, s[0:1]
.LBB127_64:
	s_nop 0
	s_sendmsg sendmsg(MSG_DEALLOC_VGPRS)
	s_endpgm
.LBB127_65:
	v_dual_mov_b32 v1, 0 :: v_dual_mov_b32 v2, 0
	s_mov_b32 s2, exec_lo
	v_cmpx_gt_i32_e64 s8, v0
	s_cbranch_execnz .LBB127_63
	s_branch .LBB127_64
	.section	.rodata,"a",@progbits
	.p2align	6, 0x0
	.amdhsa_kernel _ZN5aiter24topk_softplus_kernel_optI6__halffLi256ELb1ELi0EEEvPKT_PKT0_PfPimiif
		.amdhsa_group_segment_fixed_size 0
		.amdhsa_private_segment_fixed_size 0
		.amdhsa_kernarg_size 52
		.amdhsa_user_sgpr_count 15
		.amdhsa_user_sgpr_dispatch_ptr 0
		.amdhsa_user_sgpr_queue_ptr 0
		.amdhsa_user_sgpr_kernarg_segment_ptr 1
		.amdhsa_user_sgpr_dispatch_id 0
		.amdhsa_user_sgpr_private_segment_size 0
		.amdhsa_wavefront_size32 1
		.amdhsa_uses_dynamic_stack 0
		.amdhsa_enable_private_segment 0
		.amdhsa_system_sgpr_workgroup_id_x 1
		.amdhsa_system_sgpr_workgroup_id_y 0
		.amdhsa_system_sgpr_workgroup_id_z 0
		.amdhsa_system_sgpr_workgroup_info 0
		.amdhsa_system_vgpr_workitem_id 0
		.amdhsa_next_free_vgpr 97
		.amdhsa_next_free_sgpr 16
		.amdhsa_reserve_vcc 1
		.amdhsa_float_round_mode_32 0
		.amdhsa_float_round_mode_16_64 0
		.amdhsa_float_denorm_mode_32 3
		.amdhsa_float_denorm_mode_16_64 3
		.amdhsa_dx10_clamp 1
		.amdhsa_ieee_mode 1
		.amdhsa_fp16_overflow 0
		.amdhsa_workgroup_processor_mode 1
		.amdhsa_memory_ordered 1
		.amdhsa_forward_progress 0
		.amdhsa_shared_vgpr_count 0
		.amdhsa_exception_fp_ieee_invalid_op 0
		.amdhsa_exception_fp_denorm_src 0
		.amdhsa_exception_fp_ieee_div_zero 0
		.amdhsa_exception_fp_ieee_overflow 0
		.amdhsa_exception_fp_ieee_underflow 0
		.amdhsa_exception_fp_ieee_inexact 0
		.amdhsa_exception_int_div_zero 0
	.end_amdhsa_kernel
	.section	.text._ZN5aiter24topk_softplus_kernel_optI6__halffLi256ELb1ELi0EEEvPKT_PKT0_PfPimiif,"axG",@progbits,_ZN5aiter24topk_softplus_kernel_optI6__halffLi256ELb1ELi0EEEvPKT_PKT0_PfPimiif,comdat
.Lfunc_end127:
	.size	_ZN5aiter24topk_softplus_kernel_optI6__halffLi256ELb1ELi0EEEvPKT_PKT0_PfPimiif, .Lfunc_end127-_ZN5aiter24topk_softplus_kernel_optI6__halffLi256ELb1ELi0EEEvPKT_PKT0_PfPimiif
                                        ; -- End function
	.section	.AMDGPU.csdata,"",@progbits
; Kernel info:
; codeLenInByte = 8564
; NumSgprs: 18
; NumVgprs: 97
; ScratchSize: 0
; MemoryBound: 0
; FloatMode: 240
; IeeeMode: 1
; LDSByteSize: 0 bytes/workgroup (compile time only)
; SGPRBlocks: 2
; VGPRBlocks: 12
; NumSGPRsForWavesPerEU: 18
; NumVGPRsForWavesPerEU: 97
; Occupancy: 12
; WaveLimiterHint : 0
; COMPUTE_PGM_RSRC2:SCRATCH_EN: 0
; COMPUTE_PGM_RSRC2:USER_SGPR: 15
; COMPUTE_PGM_RSRC2:TRAP_HANDLER: 0
; COMPUTE_PGM_RSRC2:TGID_X_EN: 1
; COMPUTE_PGM_RSRC2:TGID_Y_EN: 0
; COMPUTE_PGM_RSRC2:TGID_Z_EN: 0
; COMPUTE_PGM_RSRC2:TIDIG_COMP_CNT: 0
	.section	.text._ZN5aiter24topk_softplus_kernel_optI6__halffLi256ELb0ELi0EEEvPKT_PKT0_PfPimiif,"axG",@progbits,_ZN5aiter24topk_softplus_kernel_optI6__halffLi256ELb0ELi0EEEvPKT_PKT0_PfPimiif,comdat
	.protected	_ZN5aiter24topk_softplus_kernel_optI6__halffLi256ELb0ELi0EEEvPKT_PKT0_PfPimiif ; -- Begin function _ZN5aiter24topk_softplus_kernel_optI6__halffLi256ELb0ELi0EEEvPKT_PKT0_PfPimiif
	.globl	_ZN5aiter24topk_softplus_kernel_optI6__halffLi256ELb0ELi0EEEvPKT_PKT0_PfPimiif
	.p2align	8
	.type	_ZN5aiter24topk_softplus_kernel_optI6__halffLi256ELb0ELi0EEEvPKT_PKT0_PfPimiif,@function
_ZN5aiter24topk_softplus_kernel_optI6__halffLi256ELb0ELi0EEEvPKT_PKT0_PfPimiif: ; @_ZN5aiter24topk_softplus_kernel_optI6__halffLi256ELb0ELi0EEEvPKT_PKT0_PfPimiif
; %bb.0:
	s_load_b128 s[4:7], s[0:1], 0x0
	s_lshl_b32 s2, s15, 8
	v_lshlrev_b32_e32 v1, 1, v0
	s_ashr_i32 s3, s2, 31
	v_lshlrev_b32_e32 v96, 2, v0
	s_lshl_b64 s[2:3], s[2:3], 1
	s_waitcnt lgkmcnt(0)
	s_add_u32 s8, s4, s2
	s_addc_u32 s9, s5, s3
	s_mov_b32 s4, 0x3fb8aa3b
	global_load_u16 v2, v1, s[8:9]
	s_cmp_lg_u64 s[6:7], 0
	s_cselect_b32 s3, -1, 0
	s_waitcnt vmcnt(0)
	v_cvt_f32_f16_e32 v3, v2
	s_delay_alu instid0(VALU_DEP_1) | instskip(NEXT) | instid1(VALU_DEP_1)
	v_mul_f32_e32 v4, 0x3fb8aa3b, v3
	v_cmp_gt_f32_e32 vcc_lo, 0xc2fc0000, v4
	v_cndmask_b32_e64 v4, 0, 0x42800000, vcc_lo
	v_cndmask_b32_e64 v5, 1.0, 0x1f800000, vcc_lo
	s_delay_alu instid0(VALU_DEP_2) | instskip(NEXT) | instid1(VALU_DEP_1)
	v_fma_mix_f32 v4, v2, s4, v4 op_sel_hi:[1,0,0]
	v_exp_f32_e32 v4, v4
	s_waitcnt_depctr 0xfff
	v_fma_f32 v4, v4, v5, 1.0
	s_delay_alu instid0(VALU_DEP_1) | instskip(SKIP_1) | instid1(VALU_DEP_1)
	v_cmp_gt_f32_e32 vcc_lo, 0x800000, v4
	v_cndmask_b32_e64 v5, 1.0, 0x4f800000, vcc_lo
	v_mul_f32_e32 v4, v4, v5
	v_cndmask_b32_e64 v5, 0, 0x42000000, vcc_lo
	v_cmp_lt_f16_e32 vcc_lo, 0x4d00, v2
	s_delay_alu instid0(VALU_DEP_3) | instskip(SKIP_2) | instid1(VALU_DEP_1)
	v_log_f32_e32 v4, v4
	s_waitcnt_depctr 0xfff
	v_sub_f32_e32 v4, v4, v5
	v_mul_f32_e32 v4, 0x3f317218, v4
	s_delay_alu instid0(VALU_DEP_1) | instskip(NEXT) | instid1(VALU_DEP_1)
	v_cndmask_b32_e32 v2, v4, v3, vcc_lo
	v_mul_f32_e32 v3, 0x4f800000, v2
	v_cmp_gt_f32_e32 vcc_lo, 0xf800000, v2
	s_delay_alu instid0(VALU_DEP_2) | instskip(NEXT) | instid1(VALU_DEP_1)
	v_cndmask_b32_e32 v2, v2, v3, vcc_lo
	v_sqrt_f32_e32 v3, v2
	s_waitcnt_depctr 0xfff
	v_add_nc_u32_e32 v4, -1, v3
	v_add_nc_u32_e32 v5, 1, v3
	s_delay_alu instid0(VALU_DEP_2) | instskip(NEXT) | instid1(VALU_DEP_2)
	v_fma_f32 v6, -v4, v3, v2
	v_fma_f32 v7, -v5, v3, v2
	s_delay_alu instid0(VALU_DEP_2) | instskip(NEXT) | instid1(VALU_DEP_1)
	v_cmp_ge_f32_e64 s2, 0, v6
	v_cndmask_b32_e64 v3, v3, v4, s2
	s_delay_alu instid0(VALU_DEP_3) | instskip(NEXT) | instid1(VALU_DEP_1)
	v_cmp_lt_f32_e64 s2, 0, v7
	v_cndmask_b32_e64 v3, v3, v5, s2
	v_add_co_u32 v1, s2, s8, v1
	s_delay_alu instid0(VALU_DEP_2) | instskip(NEXT) | instid1(VALU_DEP_1)
	v_mul_f32_e32 v4, 0x37800000, v3
	v_cndmask_b32_e32 v3, v3, v4, vcc_lo
	v_cmp_class_f32_e64 vcc_lo, v2, 0x260
	s_delay_alu instid0(VALU_DEP_2) | instskip(SKIP_2) | instid1(VALU_DEP_2)
	v_cndmask_b32_e32 v56, v3, v2, vcc_lo
	v_add_co_ci_u32_e64 v2, null, s9, 0, s2
	s_and_b32 vcc_lo, exec_lo, s3
	v_mov_b32_e32 v24, v56
	s_cbranch_vccz .LBB128_2
; %bb.1:
	global_load_b32 v3, v96, s[6:7]
	s_waitcnt vmcnt(0)
	v_add_f32_e32 v24, v56, v3
.LBB128_2:
	global_load_u16 v3, v[1:2], off offset:64
	s_waitcnt vmcnt(0)
	v_cvt_f32_f16_e32 v4, v3
	s_delay_alu instid0(VALU_DEP_1) | instskip(NEXT) | instid1(VALU_DEP_1)
	v_mul_f32_e32 v5, 0x3fb8aa3b, v4
	v_cmp_gt_f32_e32 vcc_lo, 0xc2fc0000, v5
	v_cndmask_b32_e64 v6, 0, 0x42800000, vcc_lo
	v_cndmask_b32_e64 v5, 1.0, 0x1f800000, vcc_lo
	s_delay_alu instid0(VALU_DEP_2) | instskip(NEXT) | instid1(VALU_DEP_1)
	v_fma_mix_f32 v6, v3, s4, v6 op_sel_hi:[1,0,0]
	v_exp_f32_e32 v6, v6
	s_waitcnt_depctr 0xfff
	v_fma_f32 v5, v6, v5, 1.0
	s_delay_alu instid0(VALU_DEP_1) | instskip(SKIP_1) | instid1(VALU_DEP_1)
	v_cmp_gt_f32_e32 vcc_lo, 0x800000, v5
	v_cndmask_b32_e64 v6, 1.0, 0x4f800000, vcc_lo
	v_mul_f32_e32 v5, v5, v6
	v_cndmask_b32_e64 v6, 0, 0x42000000, vcc_lo
	v_cmp_lt_f16_e32 vcc_lo, 0x4d00, v3
	s_delay_alu instid0(VALU_DEP_3) | instskip(SKIP_2) | instid1(VALU_DEP_1)
	v_log_f32_e32 v5, v5
	s_waitcnt_depctr 0xfff
	v_sub_f32_e32 v5, v5, v6
	v_mul_f32_e32 v5, 0x3f317218, v5
	s_delay_alu instid0(VALU_DEP_1) | instskip(NEXT) | instid1(VALU_DEP_1)
	v_cndmask_b32_e32 v3, v5, v4, vcc_lo
	v_mul_f32_e32 v4, 0x4f800000, v3
	v_cmp_gt_f32_e32 vcc_lo, 0xf800000, v3
	s_delay_alu instid0(VALU_DEP_2) | instskip(NEXT) | instid1(VALU_DEP_1)
	v_cndmask_b32_e32 v4, v3, v4, vcc_lo
	v_sqrt_f32_e32 v3, v4
	s_waitcnt_depctr 0xfff
	v_add_nc_u32_e32 v5, -1, v3
	v_add_nc_u32_e32 v6, 1, v3
	s_delay_alu instid0(VALU_DEP_2) | instskip(NEXT) | instid1(VALU_DEP_2)
	v_fma_f32 v7, -v5, v3, v4
	v_fma_f32 v8, -v6, v3, v4
	s_delay_alu instid0(VALU_DEP_2) | instskip(NEXT) | instid1(VALU_DEP_1)
	v_cmp_ge_f32_e64 s2, 0, v7
	v_cndmask_b32_e64 v3, v3, v5, s2
	s_delay_alu instid0(VALU_DEP_3) | instskip(NEXT) | instid1(VALU_DEP_1)
	v_cmp_lt_f32_e64 s2, 0, v8
	v_cndmask_b32_e64 v3, v3, v6, s2
	s_delay_alu instid0(VALU_DEP_1) | instskip(NEXT) | instid1(VALU_DEP_1)
	v_mul_f32_e32 v5, 0x37800000, v3
	v_cndmask_b32_e32 v5, v3, v5, vcc_lo
	v_cmp_class_f32_e64 vcc_lo, v4, 0x260
	v_cndmask_b32_e64 v3, 0, 1, s3
	s_delay_alu instid0(VALU_DEP_3) | instskip(SKIP_1) | instid1(VALU_DEP_1)
	v_cndmask_b32_e32 v9, v5, v4, vcc_lo
	s_and_not1_b32 vcc_lo, exec_lo, s3
	v_mov_b32_e32 v25, v9
	s_cbranch_vccnz .LBB128_4
; %bb.3:
	global_load_b32 v4, v96, s[6:7] offset:128
	s_waitcnt vmcnt(0)
	v_add_f32_e32 v25, v9, v4
.LBB128_4:
	global_load_u16 v4, v[1:2], off offset:128
	s_mov_b32 s3, 0x3fb8aa3b
	s_waitcnt vmcnt(0)
	v_cvt_f32_f16_e32 v5, v4
	s_delay_alu instid0(VALU_DEP_1) | instskip(NEXT) | instid1(VALU_DEP_1)
	v_mul_f32_e32 v6, 0x3fb8aa3b, v5
	v_cmp_gt_f32_e32 vcc_lo, 0xc2fc0000, v6
	v_cndmask_b32_e64 v7, 0, 0x42800000, vcc_lo
	v_cndmask_b32_e64 v6, 1.0, 0x1f800000, vcc_lo
	s_delay_alu instid0(VALU_DEP_2) | instskip(NEXT) | instid1(VALU_DEP_1)
	v_fma_mix_f32 v7, v4, s3, v7 op_sel_hi:[1,0,0]
	v_exp_f32_e32 v7, v7
	s_waitcnt_depctr 0xfff
	v_fma_f32 v6, v7, v6, 1.0
	s_delay_alu instid0(VALU_DEP_1) | instskip(SKIP_1) | instid1(VALU_DEP_1)
	v_cmp_gt_f32_e32 vcc_lo, 0x800000, v6
	v_cndmask_b32_e64 v7, 1.0, 0x4f800000, vcc_lo
	v_mul_f32_e32 v6, v6, v7
	v_cndmask_b32_e64 v7, 0, 0x42000000, vcc_lo
	v_cmp_lt_f16_e32 vcc_lo, 0x4d00, v4
	s_delay_alu instid0(VALU_DEP_3) | instskip(SKIP_2) | instid1(VALU_DEP_1)
	v_log_f32_e32 v6, v6
	s_waitcnt_depctr 0xfff
	v_sub_f32_e32 v6, v6, v7
	v_mul_f32_e32 v6, 0x3f317218, v6
	s_delay_alu instid0(VALU_DEP_1) | instskip(NEXT) | instid1(VALU_DEP_1)
	v_cndmask_b32_e32 v4, v6, v5, vcc_lo
	v_mul_f32_e32 v5, 0x4f800000, v4
	v_cmp_gt_f32_e32 vcc_lo, 0xf800000, v4
	s_delay_alu instid0(VALU_DEP_2) | instskip(NEXT) | instid1(VALU_DEP_1)
	v_cndmask_b32_e32 v4, v4, v5, vcc_lo
	v_sqrt_f32_e32 v5, v4
	s_waitcnt_depctr 0xfff
	v_add_nc_u32_e32 v6, -1, v5
	v_add_nc_u32_e32 v7, 1, v5
	s_delay_alu instid0(VALU_DEP_2) | instskip(NEXT) | instid1(VALU_DEP_2)
	v_fma_f32 v8, -v6, v5, v4
	v_fma_f32 v10, -v7, v5, v4
	s_delay_alu instid0(VALU_DEP_2) | instskip(NEXT) | instid1(VALU_DEP_1)
	v_cmp_ge_f32_e64 s2, 0, v8
	v_cndmask_b32_e64 v5, v5, v6, s2
	s_delay_alu instid0(VALU_DEP_3) | instskip(NEXT) | instid1(VALU_DEP_1)
	v_cmp_lt_f32_e64 s2, 0, v10
	v_cndmask_b32_e64 v5, v5, v7, s2
	s_delay_alu instid0(VALU_DEP_1) | instskip(NEXT) | instid1(VALU_DEP_1)
	v_mul_f32_e32 v6, 0x37800000, v5
	v_cndmask_b32_e32 v5, v5, v6, vcc_lo
	v_cmp_class_f32_e64 vcc_lo, v4, 0x260
	s_delay_alu instid0(VALU_DEP_2) | instskip(SKIP_1) | instid1(VALU_DEP_2)
	v_cndmask_b32_e32 v10, v5, v4, vcc_lo
	v_cmp_ne_u32_e32 vcc_lo, 1, v3
	v_mov_b32_e32 v26, v10
	s_cbranch_vccnz .LBB128_6
; %bb.5:
	global_load_b32 v4, v96, s[6:7] offset:256
	s_waitcnt vmcnt(0)
	v_add_f32_e32 v26, v10, v4
.LBB128_6:
	global_load_u16 v4, v[1:2], off offset:192
	s_waitcnt vmcnt(0)
	v_cvt_f32_f16_e32 v5, v4
	s_delay_alu instid0(VALU_DEP_1) | instskip(NEXT) | instid1(VALU_DEP_1)
	v_mul_f32_e32 v6, 0x3fb8aa3b, v5
	v_cmp_gt_f32_e32 vcc_lo, 0xc2fc0000, v6
	v_cndmask_b32_e64 v7, 0, 0x42800000, vcc_lo
	v_cndmask_b32_e64 v6, 1.0, 0x1f800000, vcc_lo
	s_delay_alu instid0(VALU_DEP_2) | instskip(NEXT) | instid1(VALU_DEP_1)
	v_fma_mix_f32 v7, v4, s3, v7 op_sel_hi:[1,0,0]
	v_exp_f32_e32 v7, v7
	s_waitcnt_depctr 0xfff
	v_fma_f32 v6, v7, v6, 1.0
	s_delay_alu instid0(VALU_DEP_1) | instskip(SKIP_1) | instid1(VALU_DEP_1)
	v_cmp_gt_f32_e32 vcc_lo, 0x800000, v6
	v_cndmask_b32_e64 v7, 1.0, 0x4f800000, vcc_lo
	v_mul_f32_e32 v6, v6, v7
	v_cndmask_b32_e64 v7, 0, 0x42000000, vcc_lo
	v_cmp_lt_f16_e32 vcc_lo, 0x4d00, v4
	s_delay_alu instid0(VALU_DEP_3) | instskip(SKIP_2) | instid1(VALU_DEP_1)
	v_log_f32_e32 v6, v6
	s_waitcnt_depctr 0xfff
	v_sub_f32_e32 v6, v6, v7
	v_mul_f32_e32 v6, 0x3f317218, v6
	s_delay_alu instid0(VALU_DEP_1) | instskip(NEXT) | instid1(VALU_DEP_1)
	v_cndmask_b32_e32 v4, v6, v5, vcc_lo
	v_mul_f32_e32 v5, 0x4f800000, v4
	v_cmp_gt_f32_e32 vcc_lo, 0xf800000, v4
	s_delay_alu instid0(VALU_DEP_2) | instskip(NEXT) | instid1(VALU_DEP_1)
	v_cndmask_b32_e32 v4, v4, v5, vcc_lo
	v_sqrt_f32_e32 v5, v4
	s_waitcnt_depctr 0xfff
	v_add_nc_u32_e32 v6, -1, v5
	v_add_nc_u32_e32 v7, 1, v5
	s_delay_alu instid0(VALU_DEP_2) | instskip(NEXT) | instid1(VALU_DEP_2)
	v_fma_f32 v8, -v6, v5, v4
	v_fma_f32 v11, -v7, v5, v4
	s_delay_alu instid0(VALU_DEP_2) | instskip(NEXT) | instid1(VALU_DEP_1)
	v_cmp_ge_f32_e64 s2, 0, v8
	v_cndmask_b32_e64 v5, v5, v6, s2
	s_delay_alu instid0(VALU_DEP_3) | instskip(NEXT) | instid1(VALU_DEP_1)
	v_cmp_lt_f32_e64 s2, 0, v11
	v_cndmask_b32_e64 v5, v5, v7, s2
	s_delay_alu instid0(VALU_DEP_1) | instskip(NEXT) | instid1(VALU_DEP_1)
	v_mul_f32_e32 v6, 0x37800000, v5
	v_cndmask_b32_e32 v5, v5, v6, vcc_lo
	v_cmp_class_f32_e64 vcc_lo, v4, 0x260
	s_delay_alu instid0(VALU_DEP_2) | instskip(SKIP_1) | instid1(VALU_DEP_2)
	v_cndmask_b32_e32 v11, v5, v4, vcc_lo
	v_cmp_ne_u32_e32 vcc_lo, 1, v3
	v_mov_b32_e32 v27, v11
	s_cbranch_vccnz .LBB128_8
; %bb.7:
	global_load_b32 v4, v96, s[6:7] offset:384
	s_waitcnt vmcnt(0)
	v_add_f32_e32 v27, v11, v4
.LBB128_8:
	global_load_u16 v4, v[1:2], off offset:256
	;; [unrolled: 57-line block ×5, first 2 shown]
	s_waitcnt vmcnt(0)
	v_cvt_f32_f16_e32 v2, v1
	s_delay_alu instid0(VALU_DEP_1) | instskip(NEXT) | instid1(VALU_DEP_1)
	v_mul_f32_e32 v4, 0x3fb8aa3b, v2
	v_cmp_gt_f32_e32 vcc_lo, 0xc2fc0000, v4
	v_cndmask_b32_e64 v5, 0, 0x42800000, vcc_lo
	v_cndmask_b32_e64 v4, 1.0, 0x1f800000, vcc_lo
	s_delay_alu instid0(VALU_DEP_2) | instskip(NEXT) | instid1(VALU_DEP_1)
	v_fma_mix_f32 v5, v1, s3, v5 op_sel_hi:[1,0,0]
	v_exp_f32_e32 v5, v5
	s_waitcnt_depctr 0xfff
	v_fma_f32 v4, v5, v4, 1.0
	s_delay_alu instid0(VALU_DEP_1) | instskip(SKIP_1) | instid1(VALU_DEP_1)
	v_cmp_gt_f32_e32 vcc_lo, 0x800000, v4
	v_cndmask_b32_e64 v5, 1.0, 0x4f800000, vcc_lo
	v_mul_f32_e32 v4, v4, v5
	v_cndmask_b32_e64 v5, 0, 0x42000000, vcc_lo
	v_cmp_lt_f16_e32 vcc_lo, 0x4d00, v1
	s_delay_alu instid0(VALU_DEP_3) | instskip(SKIP_2) | instid1(VALU_DEP_1)
	v_log_f32_e32 v4, v4
	s_waitcnt_depctr 0xfff
	v_sub_f32_e32 v4, v4, v5
	v_mul_f32_e32 v4, 0x3f317218, v4
	s_delay_alu instid0(VALU_DEP_1) | instskip(NEXT) | instid1(VALU_DEP_1)
	v_cndmask_b32_e32 v1, v4, v2, vcc_lo
	v_mul_f32_e32 v2, 0x4f800000, v1
	v_cmp_gt_f32_e32 vcc_lo, 0xf800000, v1
	s_delay_alu instid0(VALU_DEP_2) | instskip(NEXT) | instid1(VALU_DEP_1)
	v_cndmask_b32_e32 v1, v1, v2, vcc_lo
	v_sqrt_f32_e32 v2, v1
	s_waitcnt_depctr 0xfff
	v_add_nc_u32_e32 v4, -1, v2
	v_add_nc_u32_e32 v5, 1, v2
	s_delay_alu instid0(VALU_DEP_2) | instskip(NEXT) | instid1(VALU_DEP_2)
	v_fma_f32 v6, -v4, v2, v1
	v_fma_f32 v7, -v5, v2, v1
	s_delay_alu instid0(VALU_DEP_2) | instskip(NEXT) | instid1(VALU_DEP_1)
	v_cmp_ge_f32_e64 s2, 0, v6
	v_cndmask_b32_e64 v2, v2, v4, s2
	s_delay_alu instid0(VALU_DEP_3) | instskip(NEXT) | instid1(VALU_DEP_1)
	v_cmp_lt_f32_e64 s2, 0, v7
	v_cndmask_b32_e64 v2, v2, v5, s2
	s_delay_alu instid0(VALU_DEP_1) | instskip(NEXT) | instid1(VALU_DEP_1)
	v_mul_f32_e32 v4, 0x37800000, v2
	v_cndmask_b32_e32 v2, v2, v4, vcc_lo
	v_cmp_class_f32_e64 vcc_lo, v1, 0x260
	s_delay_alu instid0(VALU_DEP_2)
	v_cndmask_b32_e32 v15, v2, v1, vcc_lo
	v_cmp_ne_u32_e32 vcc_lo, 1, v3
	s_cbranch_vccnz .LBB128_16
; %bb.15:
	global_load_b32 v1, v96, s[6:7] offset:896
	s_waitcnt vmcnt(0)
	v_add_f32_e32 v31, v15, v1
	s_branch .LBB128_17
.LBB128_16:
	s_delay_alu instid0(VALU_DEP_2)
	v_mov_b32_e32 v31, v15
.LBB128_17:
	v_add_nc_u32_e32 v7, 0xe0, v0
	v_dual_mov_b32 v16, v24 :: v_dual_add_nc_u32 v1, 32, v0
	v_dual_mov_b32 v17, v25 :: v_dual_add_nc_u32 v2, 64, v0
	v_dual_mov_b32 v18, v26 :: v_dual_add_nc_u32 v3, 0x60, v0
	v_dual_mov_b32 v19, v27 :: v_dual_add_nc_u32 v4, 0x80, v0
	v_dual_mov_b32 v20, v28 :: v_dual_add_nc_u32 v5, 0xa0, v0
	v_dual_mov_b32 v21, v29 :: v_dual_add_nc_u32 v6, 0xc0, v0
	v_dual_mov_b32 v22, v30 :: v_dual_mov_b32 v39, v7
	s_delay_alu instid0(VALU_DEP_2)
	v_dual_mov_b32 v47, v7 :: v_dual_mov_b32 v46, v6
	v_dual_mov_b32 v71, v7 :: v_dual_mov_b32 v70, v6
	v_dual_mov_b32 v55, v7 :: v_dual_mov_b32 v54, v6
	v_dual_mov_b32 v38, v6 :: v_dual_mov_b32 v37, v5
	v_dual_mov_b32 v36, v4 :: v_dual_mov_b32 v35, v3
	v_dual_mov_b32 v34, v2 :: v_dual_mov_b32 v33, v1
	v_dual_mov_b32 v32, v0 :: v_dual_mov_b32 v45, v5
	v_dual_mov_b32 v44, v4 :: v_dual_mov_b32 v43, v3
	v_dual_mov_b32 v42, v2 :: v_dual_mov_b32 v41, v1
	v_dual_mov_b32 v40, v0 :: v_dual_mov_b32 v69, v5
	v_dual_mov_b32 v68, v4 :: v_dual_mov_b32 v67, v3
	v_dual_mov_b32 v66, v2 :: v_dual_mov_b32 v65, v1
	v_dual_mov_b32 v64, v0 :: v_dual_mov_b32 v53, v5
	v_dual_mov_b32 v52, v4 :: v_dual_mov_b32 v51, v3
	v_dual_mov_b32 v50, v2 :: v_dual_mov_b32 v49, v1
	v_dual_mov_b32 v48, v0 :: v_dual_mov_b32 v23, v31
	v_mov_b32_e32 v8, v56
	s_mov_b32 s2, exec_lo
	v_cmpx_lt_f32_e32 v24, v25
	s_xor_b32 s2, exec_lo, s2
	s_cbranch_execz .LBB128_19
; %bb.18:
	v_dual_mov_b32 v38, v6 :: v_dual_mov_b32 v39, v7
	v_dual_mov_b32 v32, v1 :: v_dual_mov_b32 v33, v0
	;; [unrolled: 1-line block ×4, first 2 shown]
	s_delay_alu instid0(VALU_DEP_4)
	v_dual_mov_b32 v47, v39 :: v_dual_mov_b32 v46, v38
	v_dual_mov_b32 v71, v39 :: v_dual_mov_b32 v70, v38
	;; [unrolled: 1-line block ×17, first 2 shown]
	v_mov_b32_e32 v9, v56
	v_mov_b32_e32 v1, v0
.LBB128_19:
	s_or_b32 exec_lo, exec_lo, s2
	v_dual_mov_b32 v63, v15 :: v_dual_mov_b32 v62, v14
	v_dual_mov_b32 v79, v15 :: v_dual_mov_b32 v78, v14
	;; [unrolled: 1-line block ×16, first 2 shown]
	v_mov_b32_e32 v24, v18
	s_mov_b32 s2, exec_lo
	v_cmpx_lt_f32_e32 v25, v18
	s_cbranch_execz .LBB128_21
; %bb.20:
	v_dual_mov_b32 v55, v39 :: v_dual_mov_b32 v54, v38
	v_dual_mov_b32 v51, v35 :: v_dual_mov_b32 v50, v34
	;; [unrolled: 1-line block ×16, first 2 shown]
	v_mov_b32_e32 v83, v11
	v_dual_mov_b32 v85, v93 :: v_dual_mov_b32 v86, v94
	v_dual_mov_b32 v87, v95 :: v_dual_mov_b32 v40, v64
	;; [unrolled: 1-line block ×3, first 2 shown]
	v_mov_b32_e32 v42, v66
	v_dual_mov_b32 v17, v18 :: v_dual_mov_b32 v72, v80
	v_dual_mov_b32 v41, v65 :: v_dual_mov_b32 v44, v68
	;; [unrolled: 1-line block ×10, first 2 shown]
	s_delay_alu instid0(VALU_DEP_2)
	v_dual_mov_b32 v56, v72 :: v_dual_mov_b32 v57, v73
	v_dual_mov_b32 v36, v44 :: v_dual_mov_b32 v37, v45
	;; [unrolled: 1-line block ×11, first 2 shown]
	v_mov_b32_e32 v2, v1
.LBB128_21:
	s_or_b32 exec_lo, exec_lo, s2
	v_mov_b32_e32 v1, v19
	s_mov_b32 s2, exec_lo
	v_cmpx_lt_f32_e32 v24, v19
	s_cbranch_execz .LBB128_23
; %bb.22:
	v_mov_b32_e32 v90, v11
	v_mov_b32_e32 v50, v3
	v_dual_mov_b32 v80, v88 :: v_dual_mov_b32 v81, v89
	v_dual_mov_b32 v71, v55 :: v_dual_mov_b32 v70, v54
	;; [unrolled: 1-line block ×3, first 2 shown]
	s_delay_alu instid0(VALU_DEP_4)
	v_dual_mov_b32 v83, v91 :: v_dual_mov_b32 v66, v50
	v_dual_mov_b32 v65, v49 :: v_dual_mov_b32 v68, v52
	;; [unrolled: 1-line block ×3, first 2 shown]
	v_mov_b32_e32 v67, v2
	v_dual_mov_b32 v82, v90 :: v_dual_mov_b32 v87, v95
	v_dual_mov_b32 v85, v93 :: v_dual_mov_b32 v86, v94
	;; [unrolled: 1-line block ×11, first 2 shown]
	v_mov_b32_e32 v44, v4
	v_dual_mov_b32 v56, v72 :: v_dual_mov_b32 v57, v73
	v_dual_mov_b32 v32, v40 :: v_dual_mov_b32 v35, v43
	;; [unrolled: 1-line block ×3, first 2 shown]
	s_delay_alu instid0(VALU_DEP_4)
	v_dual_mov_b32 v37, v45 :: v_dual_mov_b32 v36, v44
	v_dual_mov_b32 v39, v47 :: v_dual_mov_b32 v38, v46
	;; [unrolled: 1-line block ×3, first 2 shown]
	v_mov_b32_e32 v63, v79
	v_dual_mov_b32 v61, v77 :: v_dual_mov_b32 v62, v78
	v_mov_b32_e32 v39, v7
	v_dual_mov_b32 v18, v19 :: v_dual_mov_b32 v19, v24
	v_dual_mov_b32 v60, v76 :: v_dual_mov_b32 v37, v5
	;; [unrolled: 1-line block ×4, first 2 shown]
	v_mov_b32_e32 v1, v24
	v_mov_b32_e32 v11, v10
	;; [unrolled: 1-line block ×3, first 2 shown]
.LBB128_23:
	s_or_b32 exec_lo, exec_lo, s2
	v_mov_b32_e32 v2, v20
	s_mov_b32 s2, exec_lo
	v_cmpx_lt_f32_e32 v1, v20
	s_cbranch_execz .LBB128_25
; %bb.24:
	v_mov_b32_e32 v91, v12
	v_mov_b32_e32 v51, v4
	;; [unrolled: 1-line block ×4, first 2 shown]
	v_dual_mov_b32 v40, v48 :: v_dual_mov_b32 v41, v49
	v_dual_mov_b32 v42, v50 :: v_dual_mov_b32 v47, v55
	;; [unrolled: 1-line block ×4, first 2 shown]
	v_mov_b32_e32 v44, v3
	v_dual_mov_b32 v76, v11 :: v_dual_mov_b32 v19, v20
	v_dual_mov_b32 v45, v53 :: v_dual_mov_b32 v46, v54
	;; [unrolled: 1-line block ×4, first 2 shown]
	v_mov_b32_e32 v73, v89
	v_mov_b32_e32 v56, v72
	v_dual_mov_b32 v32, v40 :: v_dual_mov_b32 v33, v41
	v_dual_mov_b32 v60, v76 :: v_dual_mov_b32 v61, v77
	;; [unrolled: 1-line block ×9, first 2 shown]
	v_mov_b32_e32 v59, v75
	v_dual_mov_b32 v37, v5 :: v_dual_mov_b32 v38, v6
	v_dual_mov_b32 v39, v7 :: v_dual_mov_b32 v62, v14
	;; [unrolled: 1-line block ×10, first 2 shown]
	v_mov_b32_e32 v4, v3
.LBB128_25:
	s_or_b32 exec_lo, exec_lo, s2
	v_mov_b32_e32 v1, v21
	s_mov_b32 s2, exec_lo
	v_cmpx_lt_f32_e32 v2, v21
	s_cbranch_execz .LBB128_27
; %bb.26:
	v_mov_b32_e32 v68, v5
	v_dual_mov_b32 v20, v21 :: v_dual_mov_b32 v21, v2
	v_mov_b32_e32 v84, v13
	v_dual_mov_b32 v32, v64 :: v_dual_mov_b32 v33, v65
	v_dual_mov_b32 v39, v71 :: v_dual_mov_b32 v56, v80
	;; [unrolled: 1-line block ×7, first 2 shown]
	v_mov_b32_e32 v61, v12
	v_dual_mov_b32 v72, v80 :: v_dual_mov_b32 v73, v81
	v_dual_mov_b32 v40, v64 :: v_dual_mov_b32 v41, v65
	;; [unrolled: 1-line block ×9, first 2 shown]
	v_mov_b32_e32 v45, v69
	v_mov_b32_e32 v1, v2
	;; [unrolled: 1-line block ×3, first 2 shown]
	v_dual_mov_b32 v5, v4 :: v_dual_mov_b32 v78, v86
	v_dual_mov_b32 v79, v87 :: v_dual_mov_b32 v46, v70
	v_mov_b32_e32 v47, v71
.LBB128_27:
	s_or_b32 exec_lo, exec_lo, s2
	v_mov_b32_e32 v2, v22
	s_mov_b32 s2, exec_lo
	v_cmpx_lt_f32_e32 v1, v22
	s_cbranch_execz .LBB128_29
; %bb.28:
	v_dual_mov_b32 v77, v14 :: v_dual_mov_b32 v78, v13
	v_dual_mov_b32 v45, v6 :: v_dual_mov_b32 v46, v5
	v_mov_b32_e32 v79, v15
	v_dual_mov_b32 v21, v22 :: v_dual_mov_b32 v22, v1
	v_dual_mov_b32 v47, v7 :: v_dual_mov_b32 v56, v72
	;; [unrolled: 1-line block ×10, first 2 shown]
.LBB128_29:
	s_or_b32 exec_lo, exec_lo, s2
	s_delay_alu instid0(VALU_DEP_1)
	v_cmp_lt_f32_e32 vcc_lo, v2, v23
	v_mov_b32_e32 v43, v59
	v_cmp_lt_f32_e64 s2, v16, v17
	v_dual_mov_b32 v41, v57 :: v_dual_mov_b32 v42, v58
	v_dual_cndmask_b32 v9, v23, v2 :: v_dual_mov_b32 v44, v60
	v_dual_cndmask_b32 v22, v22, v23 :: v_dual_cndmask_b32 v47, v63, v62
	s_delay_alu instid0(VALU_DEP_2)
	v_dual_mov_b32 v40, v56 :: v_dual_mov_b32 v23, v9
	v_dual_cndmask_b32 v46, v62, v63 :: v_dual_mov_b32 v1, v16
	v_dual_mov_b32 v4, v19 :: v_dual_mov_b32 v45, v61
	v_dual_cndmask_b32 v54, v38, v39 :: v_dual_cndmask_b32 v55, v39, v38
	v_dual_mov_b32 v2, v17 :: v_dual_mov_b32 v3, v18
	v_dual_mov_b32 v6, v21 :: v_dual_mov_b32 v5, v20
	;; [unrolled: 1-line block ×6, first 2 shown]
	s_and_saveexec_b32 s3, s2
	s_delay_alu instid0(SALU_CYCLE_1)
	s_xor_b32 s2, exec_lo, s3
	s_cbranch_execz .LBB128_31
; %bb.30:
	v_dual_mov_b32 v2, v17 :: v_dual_mov_b32 v3, v16
	v_dual_mov_b32 v4, v18 :: v_dual_mov_b32 v5, v19
	;; [unrolled: 1-line block ×4, first 2 shown]
	s_delay_alu instid0(VALU_DEP_4)
	v_dual_mov_b32 v1, v2 :: v_dual_mov_b32 v40, v57
	v_dual_mov_b32 v2, v3 :: v_dual_mov_b32 v41, v56
	;; [unrolled: 1-line block ×10, first 2 shown]
.LBB128_31:
	s_or_b32 exec_lo, exec_lo, s2
	v_dual_mov_b32 v26, v40 :: v_dual_mov_b32 v27, v41
	v_dual_mov_b32 v79, v47 :: v_dual_mov_b32 v78, v46
	;; [unrolled: 1-line block ×22, first 2 shown]
	v_mov_b32_e32 v34, v3
	s_mov_b32 s2, exec_lo
	v_dual_mov_b32 v77, v45 :: v_dual_mov_b32 v76, v44
	v_dual_mov_b32 v69, v53 :: v_dual_mov_b32 v68, v52
	v_cmpx_lt_f32_e32 v17, v3
	s_cbranch_execz .LBB128_33
; %bb.32:
	v_dual_mov_b32 v9, v48 :: v_dual_mov_b32 v10, v49
	v_dual_mov_b32 v15, v54 :: v_dual_mov_b32 v16, v55
	v_mov_b32_e32 v10, v50
	v_dual_mov_b32 v11, v50 :: v_dual_mov_b32 v12, v51
	v_dual_mov_b32 v13, v52 :: v_dual_mov_b32 v14, v53
	;; [unrolled: 1-line block ×3, first 2 shown]
	v_mov_b32_e32 v11, v49
	v_dual_mov_b32 v59, v43 :: v_dual_mov_b32 v58, v42
	v_dual_mov_b32 v57, v41 :: v_dual_mov_b32 v56, v40
	;; [unrolled: 1-line block ×14, first 2 shown]
	v_mov_b32_e32 v23, v69
	v_dual_mov_b32 v23, v53 :: v_dual_mov_b32 v26, v72
	v_dual_mov_b32 v19, v65 :: v_dual_mov_b32 v22, v68
	;; [unrolled: 1-line block ×12, first 2 shown]
	v_mov_b32_e32 v42, v41
	v_mov_b32_e32 v50, v49
.LBB128_33:
	s_or_b32 exec_lo, exec_lo, s2
	v_mov_b32_e32 v17, v4
	s_mov_b32 s2, exec_lo
	v_cmpx_lt_f32_e32 v34, v4
	s_cbranch_execz .LBB128_35
; %bb.34:
	v_mov_b32_e32 v11, v51
	v_dual_mov_b32 v3, v4 :: v_dual_mov_b32 v4, v34
	v_dual_mov_b32 v58, v43 :: v_dual_mov_b32 v71, v16
	v_mov_b32_e32 v64, v9
	v_dual_mov_b32 v70, v15 :: v_dual_mov_b32 v69, v14
	v_dual_mov_b32 v79, v63 :: v_dual_mov_b32 v76, v60
	;; [unrolled: 1-line block ×5, first 2 shown]
	v_mov_b32_e32 v67, v50
	v_dual_mov_b32 v78, v62 :: v_dual_mov_b32 v77, v61
	v_dual_mov_b32 v74, v58 :: v_dual_mov_b32 v73, v57
	;; [unrolled: 1-line block ×14, first 2 shown]
	v_mov_b32_e32 v33, v47
	v_mov_b32_e32 v17, v34
	;; [unrolled: 1-line block ×4, first 2 shown]
.LBB128_35:
	s_or_b32 exec_lo, exec_lo, s2
	v_mov_b32_e32 v12, v5
	s_mov_b32 s2, exec_lo
	v_cmpx_lt_f32_e32 v17, v5
	s_cbranch_execz .LBB128_37
; %bb.36:
	v_mov_b32_e32 v12, v52
	v_dual_mov_b32 v4, v5 :: v_dual_mov_b32 v59, v44
	v_mov_b32_e32 v5, v17
	v_dual_mov_b32 v25, v16 :: v_dual_mov_b32 v24, v15
	v_dual_mov_b32 v26, v56 :: v_dual_mov_b32 v27, v57
	;; [unrolled: 1-line block ×19, first 2 shown]
	v_mov_b32_e32 v12, v17
	v_mov_b32_e32 v44, v43
	v_dual_mov_b32 v52, v51 :: v_dual_mov_b32 v77, v61
	v_mov_b32_e32 v76, v60
.LBB128_37:
	s_or_b32 exec_lo, exec_lo, s2
	v_mov_b32_e32 v9, v6
	s_mov_b32 s2, exec_lo
	v_cmpx_lt_f32_e32 v12, v6
	s_cbranch_execz .LBB128_39
; %bb.38:
	v_dual_mov_b32 v68, v53 :: v_dual_mov_b32 v69, v52
	v_dual_mov_b32 v70, v54 :: v_dual_mov_b32 v77, v44
	v_dual_mov_b32 v76, v45 :: v_dual_mov_b32 v79, v47
	v_dual_mov_b32 v78, v46 :: v_dual_mov_b32 v71, v55
	v_dual_mov_b32 v26, v72 :: v_dual_mov_b32 v27, v73
	v_dual_mov_b32 v18, v64 :: v_dual_mov_b32 v19, v65
	v_dual_mov_b32 v5, v6 :: v_dual_mov_b32 v6, v12
	v_dual_mov_b32 v28, v74 :: v_dual_mov_b32 v29, v75
	v_dual_mov_b32 v30, v76 :: v_dual_mov_b32 v31, v77
	v_dual_mov_b32 v32, v78 :: v_dual_mov_b32 v33, v79
	v_dual_mov_b32 v20, v66 :: v_dual_mov_b32 v21, v67
	v_dual_mov_b32 v22, v68 :: v_dual_mov_b32 v23, v69
	v_dual_mov_b32 v24, v70 :: v_dual_mov_b32 v25, v71
	v_mov_b32_e32 v9, v12
.LBB128_39:
	s_or_b32 exec_lo, exec_lo, s2
	s_delay_alu instid0(VALU_DEP_1)
	v_cmp_lt_f32_e32 vcc_lo, v9, v7
	v_mov_b32_e32 v11, v3
	v_mov_b32_e32 v13, v5
	s_mov_b32 s2, exec_lo
	v_dual_mov_b32 v10, v2 :: v_dual_cndmask_b32 v17, v32, v31
	v_dual_cndmask_b32 v31, v31, v32 :: v_dual_cndmask_b32 v66, v24, v23
	v_dual_cndmask_b32 v23, v23, v24 :: v_dual_cndmask_b32 v14, v6, v7
	v_dual_cndmask_b32 v15, v7, v9 :: v_dual_mov_b32 v12, v4
	v_dual_mov_b32 v9, v1 :: v_dual_mov_b32 v16, v8
	v_cmpx_lt_f32_e32 v1, v2
	s_cbranch_execz .LBB128_41
; %bb.40:
	s_delay_alu instid0(VALU_DEP_2) | instskip(NEXT) | instid1(VALU_DEP_3)
	v_dual_mov_b32 v2, v10 :: v_dual_mov_b32 v3, v9
	v_dual_mov_b32 v8, v15 :: v_dual_mov_b32 v9, v16
	;; [unrolled: 1-line block ×4, first 2 shown]
	s_delay_alu instid0(VALU_DEP_3) | instskip(NEXT) | instid1(VALU_DEP_4)
	v_mov_b32_e32 v16, v9
	v_dual_mov_b32 v24, v26 :: v_dual_mov_b32 v15, v8
	s_delay_alu instid0(VALU_DEP_4)
	v_dual_mov_b32 v32, v18 :: v_dual_mov_b32 v11, v4
	v_swap_b32 v26, v27
	v_swap_b32 v18, v19
	v_dual_mov_b32 v14, v7 :: v_dual_mov_b32 v13, v6
	v_mov_b32_e32 v12, v5
	v_dual_mov_b32 v10, v3 :: v_dual_mov_b32 v9, v2
	v_mov_b32_e32 v2, v1
.LBB128_41:
	s_or_b32 exec_lo, exec_lo, s2
	v_mov_b32_e32 v24, v66
	v_mov_b32_e32 v32, v17
	;; [unrolled: 1-line block ×4, first 2 shown]
	s_delay_alu instid0(VALU_DEP_4)
	v_dual_mov_b32 v41, v33 :: v_dual_mov_b32 v48, v24
	v_dual_mov_b32 v34, v26 :: v_dual_mov_b32 v65, v33
	;; [unrolled: 1-line block ×15, first 2 shown]
	v_mov_b32_e32 v50, v18
	s_mov_b32 s2, exec_lo
	v_cmpx_lt_f32_e32 v2, v11
	s_cbranch_execz .LBB128_43
; %bb.42:
	v_dual_mov_b32 v57, v25 :: v_dual_mov_b32 v56, v24
	v_dual_mov_b32 v53, v21 :: v_dual_mov_b32 v52, v20
	v_dual_mov_b32 v51, v19 :: v_dual_mov_b32 v50, v18
	v_dual_mov_b32 v51, v20 :: v_dual_mov_b32 v52, v19
	v_dual_mov_b32 v55, v23 :: v_dual_mov_b32 v54, v22
	v_dual_mov_b32 v65, v33 :: v_dual_mov_b32 v64, v32
	v_dual_mov_b32 v59, v27 :: v_dual_mov_b32 v58, v26
	s_delay_alu instid0(VALU_DEP_4)
	v_dual_mov_b32 v42, v50 :: v_dual_mov_b32 v43, v51
	v_dual_mov_b32 v63, v31 :: v_dual_mov_b32 v62, v30
	;; [unrolled: 1-line block ×18, first 2 shown]
	v_mov_b32_e32 v1, v2
.LBB128_43:
	s_or_b32 exec_lo, exec_lo, s2
	v_mov_b32_e32 v2, v12
	s_mov_b32 s2, exec_lo
	s_delay_alu instid0(VALU_DEP_2)
	v_cmpx_lt_f32_e32 v1, v12
	s_cbranch_execz .LBB128_45
; %bb.44:
	v_dual_mov_b32 v52, v21 :: v_dual_mov_b32 v11, v12
	v_mov_b32_e32 v60, v29
	v_dual_mov_b32 v42, v50 :: v_dual_mov_b32 v45, v53
	v_dual_mov_b32 v47, v55 :: v_dual_mov_b32 v34, v58
	s_delay_alu instid0(VALU_DEP_4)
	v_dual_mov_b32 v37, v61 :: v_dual_mov_b32 v44, v52
	v_dual_mov_b32 v49, v57 :: v_dual_mov_b32 v46, v54
	v_mov_b32_e32 v45, v20
	v_dual_mov_b32 v48, v56 :: v_dual_mov_b32 v47, v23
	v_dual_mov_b32 v36, v60 :: v_dual_mov_b32 v39, v63
	;; [unrolled: 1-line block ×9, first 2 shown]
	v_mov_b32_e32 v41, v33
	v_dual_mov_b32 v2, v1 :: v_dual_mov_b32 v21, v20
.LBB128_45:
	s_or_b32 exec_lo, exec_lo, s2
	v_mov_b32_e32 v1, v13
	s_mov_b32 s2, exec_lo
	s_delay_alu instid0(VALU_DEP_2)
	v_cmpx_lt_f32_e32 v2, v13
	s_cbranch_execz .LBB128_47
; %bb.46:
	v_dual_mov_b32 v53, v22 :: v_dual_mov_b32 v54, v21
	v_dual_mov_b32 v55, v23 :: v_dual_mov_b32 v56, v66
	;; [unrolled: 1-line block ×4, first 2 shown]
	v_mov_b32_e32 v57, v25
	v_dual_mov_b32 v65, v33 :: v_dual_mov_b32 v42, v50
	v_mov_b32_e32 v34, v58
	v_dual_mov_b32 v12, v13 :: v_dual_mov_b32 v13, v2
	v_dual_mov_b32 v35, v59 :: v_dual_mov_b32 v36, v60
	;; [unrolled: 1-line block ×7, first 2 shown]
	v_mov_b32_e32 v47, v55
	v_mov_b32_e32 v49, v57
	;; [unrolled: 1-line block ×3, first 2 shown]
.LBB128_47:
	s_or_b32 exec_lo, exec_lo, s2
	s_delay_alu instid0(VALU_DEP_1)
	v_cmp_lt_f32_e32 vcc_lo, v1, v14
	v_dual_mov_b32 v20, v10 :: v_dual_mov_b32 v25, v15
	v_mov_b32_e32 v22, v12
	v_dual_mov_b32 v26, v16 :: v_dual_cndmask_b32 v27, v39, v38
	v_cndmask_b32_e32 v38, v38, v39, vcc_lo
	v_dual_cndmask_b32 v28, v47, v46 :: v_dual_mov_b32 v19, v9
	v_dual_cndmask_b32 v46, v46, v47 :: v_dual_cndmask_b32 v23, v13, v14
	v_dual_cndmask_b32 v24, v14, v1 :: v_dual_mov_b32 v21, v11
	s_mov_b32 s2, exec_lo
	v_cmpx_lt_f32_e32 v9, v10
	s_cbranch_execz .LBB128_49
; %bb.48:
	v_dual_mov_b32 v7, v25 :: v_dual_mov_b32 v8, v26
	v_dual_mov_b32 v1, v20 :: v_dual_mov_b32 v2, v19
	;; [unrolled: 1-line block ×4, first 2 shown]
	s_delay_alu instid0(VALU_DEP_4)
	v_dual_mov_b32 v11, v34 :: v_dual_mov_b32 v26, v8
	v_dual_mov_b32 v12, v42 :: v_dual_mov_b32 v25, v7
	v_swap_b32 v34, v35
	v_swap_b32 v42, v43
	v_dual_mov_b32 v24, v6 :: v_dual_mov_b32 v23, v5
	v_dual_mov_b32 v22, v4 :: v_dual_mov_b32 v21, v3
	;; [unrolled: 1-line block ×3, first 2 shown]
	v_mov_b32_e32 v10, v9
.LBB128_49:
	s_or_b32 exec_lo, exec_lo, s2
	v_mov_b32_e32 v47, v28
	v_mov_b32_e32 v39, v27
	v_dual_mov_b32 v1, v42 :: v_dual_mov_b32 v4, v45
	v_dual_mov_b32 v11, v34 :: v_dual_mov_b32 v14, v37
	;; [unrolled: 1-line block ×3, first 2 shown]
	s_delay_alu instid0(VALU_DEP_4)
	v_dual_mov_b32 v16, v39 :: v_dual_mov_b32 v15, v38
	v_dual_mov_b32 v18, v41 :: v_dual_mov_b32 v17, v40
	;; [unrolled: 1-line block ×5, first 2 shown]
	v_mov_b32_e32 v9, v21
	s_mov_b32 s2, exec_lo
	v_cmpx_lt_f32_e32 v10, v21
	s_cbranch_execz .LBB128_51
; %bb.50:
	v_dual_mov_b32 v1, v42 :: v_dual_mov_b32 v2, v43
	v_dual_mov_b32 v5, v46 :: v_dual_mov_b32 v6, v47
	;; [unrolled: 1-line block ×16, first 2 shown]
	v_mov_b32_e32 v18, v41
	v_mov_b32_e32 v36, v35
	;; [unrolled: 1-line block ×3, first 2 shown]
.LBB128_51:
	s_or_b32 exec_lo, exec_lo, s2
	v_mov_b32_e32 v29, v22
	s_mov_b32 s2, exec_lo
	v_cmpx_lt_f32_e32 v9, v22
; %bb.52:
	v_dual_mov_b32 v21, v22 :: v_dual_mov_b32 v22, v9
	v_dual_mov_b32 v3, v45 :: v_dual_mov_b32 v4, v44
	;; [unrolled: 1-line block ×7, first 2 shown]
	v_mov_b32_e32 v29, v9
; %bb.53:
	s_or_b32 exec_lo, exec_lo, s2
	s_delay_alu instid0(VALU_DEP_1)
	v_cmp_lt_f32_e32 vcc_lo, v29, v23
	v_dual_mov_b32 v28, v20 :: v_dual_mov_b32 v33, v25
	v_mov_b32_e32 v32, v24
	v_dual_mov_b32 v34, v26 :: v_dual_cndmask_b32 v9, v15, v14
	v_cndmask_b32_e32 v14, v14, v15, vcc_lo
	v_dual_cndmask_b32 v10, v5, v4 :: v_dual_cndmask_b32 v31, v23, v29
	v_dual_cndmask_b32 v4, v4, v5 :: v_dual_mov_b32 v27, v19
	v_dual_cndmask_b32 v30, v22, v23 :: v_dual_mov_b32 v29, v21
	s_mov_b32 s2, exec_lo
	v_cmpx_lt_f32_e32 v19, v20
	s_cbranch_execz .LBB128_55
; %bb.54:
	v_dual_mov_b32 v20, v28 :: v_dual_mov_b32 v21, v27
	v_dual_mov_b32 v26, v33 :: v_dual_mov_b32 v27, v34
	;; [unrolled: 1-line block ×4, first 2 shown]
	s_delay_alu instid0(VALU_DEP_3) | instskip(SKIP_2) | instid1(VALU_DEP_4)
	v_dual_mov_b32 v15, v1 :: v_dual_mov_b32 v34, v27
	v_mov_b32_e32 v5, v11
	v_swap_b32 v11, v12
	v_mov_b32_e32 v32, v25
	v_swap_b32 v1, v2
	v_dual_mov_b32 v33, v26 :: v_dual_mov_b32 v30, v23
	v_dual_mov_b32 v31, v24 :: v_dual_mov_b32 v28, v21
	v_mov_b32_e32 v29, v22
	v_dual_mov_b32 v27, v20 :: v_dual_mov_b32 v20, v19
.LBB128_55:
	s_or_b32 exec_lo, exec_lo, s2
	v_mov_b32_e32 v5, v10
	v_mov_b32_e32 v15, v9
	;; [unrolled: 1-line block ×3, first 2 shown]
	s_mov_b32 s2, exec_lo
	v_cmpx_lt_f32_e32 v20, v29
	s_cbranch_execz .LBB128_57
; %bb.56:
	v_dual_mov_b32 v50, v18 :: v_dual_mov_b32 v49, v17
	v_dual_mov_b32 v42, v8 :: v_dual_mov_b32 v41, v7
	;; [unrolled: 1-line block ×14, first 2 shown]
	v_mov_b32_e32 v50, v18
	v_dual_mov_b32 v28, v29 :: v_dual_mov_b32 v29, v20
	v_dual_mov_b32 v42, v8 :: v_dual_mov_b32 v11, v43
	;; [unrolled: 1-line block ×10, first 2 shown]
.LBB128_57:
	s_or_b32 exec_lo, exec_lo, s2
	s_delay_alu instid0(VALU_DEP_1) | instskip(NEXT) | instid1(VALU_DEP_3)
	v_cmp_lt_f32_e32 vcc_lo, v19, v30
	v_dual_mov_b32 v20, v5 :: v_dual_mov_b32 v21, v6
	s_delay_alu instid0(VALU_DEP_3)
	v_dual_mov_b32 v22, v7 :: v_dual_mov_b32 v23, v8
	v_dual_cndmask_b32 v9, v14, v13 :: v_dual_cndmask_b32 v10, v4, v3
	v_dual_cndmask_b32 v35, v13, v14 :: v_dual_cndmask_b32 v36, v3, v4
	;; [unrolled: 1-line block ×3, first 2 shown]
	v_dual_mov_b32 v4, v15 :: v_dual_mov_b32 v13, v16
	v_dual_mov_b32 v14, v17 :: v_dual_mov_b32 v19, v18
	;; [unrolled: 1-line block ×4, first 2 shown]
	v_mov_b32_e32 v29, v34
	s_mov_b32 s2, exec_lo
	v_cmpx_lt_f32_e32 v27, v28
	s_cbranch_execz .LBB128_59
; %bb.58:
	v_dual_mov_b32 v24, v28 :: v_dual_mov_b32 v19, v18
	v_dual_mov_b32 v4, v11 :: v_dual_mov_b32 v13, v16
	;; [unrolled: 1-line block ×3, first 2 shown]
	v_swap_b32 v11, v12
	v_swap_b32 v1, v2
	v_dual_mov_b32 v28, v27 :: v_dual_mov_b32 v21, v6
	v_dual_mov_b32 v4, v15 :: v_dual_mov_b32 v23, v8
	;; [unrolled: 1-line block ×5, first 2 shown]
	v_mov_b32_e32 v24, v31
	v_mov_b32_e32 v26, v33
.LBB128_59:
	s_or_b32 exec_lo, exec_lo, s2
	s_clause 0x1
	s_load_b32 s8, s[0:1], 0x28
	s_load_b128 s[4:7], s[0:1], 0x10
	s_waitcnt lgkmcnt(0)
	s_cmp_lt_i32 s8, 1
	s_cbranch_scc1 .LBB128_65
; %bb.60:
	v_cmp_lt_f32_e32 vcc_lo, v28, v30
	v_mov_b32_e32 v7, 0
	s_mov_b32 s9, 0x76543210
	s_mov_b32 s10, s8
	v_mov_b32_e32 v6, 0
	v_dual_cndmask_b32 v8, v35, v12 :: v_dual_cndmask_b32 v17, v37, v30
	v_cndmask_b32_e32 v5, v36, v2, vcc_lo
	v_cndmask_b32_e32 v15, v2, v36, vcc_lo
	;; [unrolled: 1-line block ×4, first 2 shown]
	v_cmp_lt_f32_e64 s2, v27, v17
	s_delay_alu instid0(VALU_DEP_1)
	v_cndmask_b32_e64 v12, v15, v1, s2
	v_cndmask_b32_e64 v15, v1, v15, s2
	;; [unrolled: 1-line block ×6, first 2 shown]
	v_mov_b32_e32 v27, v0
	v_mov_b32_e32 v1, 0
.LBB128_61:                             ; =>This Inner Loop Header: Depth=1
	v_cmp_eq_u32_e32 vcc_lo, 1, v7
	v_cmp_eq_u32_e64 s2, 2, v7
	v_cmp_gt_u32_e64 s3, 8, v7
	v_dual_cndmask_b32 v28, v17, v16 :: v_dual_cndmask_b32 v31, v11, v18
	v_cndmask_b32_e32 v30, v15, v12, vcc_lo
	v_cmp_eq_u32_e32 vcc_lo, 3, v7
	s_delay_alu instid0(VALU_DEP_3) | instskip(NEXT) | instid1(VALU_DEP_4)
	v_cndmask_b32_e64 v28, v28, v2, s2
	v_cndmask_b32_e64 v31, v31, v8, s2
	s_delay_alu instid0(VALU_DEP_4) | instskip(SKIP_1) | instid1(VALU_DEP_3)
	v_cndmask_b32_e64 v30, v30, v5, s2
	v_cmp_eq_u32_e64 s2, 4, v7
	v_dual_cndmask_b32 v28, v28, v3 :: v_dual_cndmask_b32 v31, v31, v9
	s_delay_alu instid0(VALU_DEP_1) | instskip(NEXT) | instid1(VALU_DEP_2)
	v_cndmask_b32_e64 v28, v28, v24, s2
	v_cndmask_b32_e64 v31, v31, v4, s2
	v_cndmask_b32_e32 v30, v30, v10, vcc_lo
	v_cmp_eq_u32_e32 vcc_lo, 5, v7
	s_delay_alu instid0(VALU_DEP_3) | instskip(SKIP_1) | instid1(VALU_DEP_4)
	v_cndmask_b32_e32 v31, v31, v13, vcc_lo
	v_cndmask_b32_e32 v28, v28, v25, vcc_lo
	v_cndmask_b32_e64 v30, v30, v20, s2
	v_cmp_eq_u32_e64 s2, 6, v7
	s_delay_alu instid0(VALU_DEP_2) | instskip(NEXT) | instid1(VALU_DEP_2)
	v_cndmask_b32_e32 v30, v30, v21, vcc_lo
	v_cndmask_b32_e64 v28, v28, v26, s2
	v_cmp_eq_u32_e32 vcc_lo, 7, v7
	v_cndmask_b32_e64 v31, v31, v14, s2
	s_delay_alu instid0(VALU_DEP_4) | instskip(NEXT) | instid1(VALU_DEP_4)
	v_cndmask_b32_e64 v30, v30, v22, s2
	v_cndmask_b32_e32 v28, v28, v29, vcc_lo
	s_delay_alu instid0(VALU_DEP_2) | instskip(NEXT) | instid1(VALU_DEP_2)
	v_cndmask_b32_e32 v30, v30, v23, vcc_lo
	v_cndmask_b32_e64 v28, 0xff800000, v28, s3
	;;#ASMSTART
	v_max_f32 v32, v28, v28 quad_perm:[1,0,3,2] row_mask:0xf bank_mask:0xf bound_ctrl:1
	;;#ASMEND
	;;#ASMSTART
	v_max_f32 v33, v32, v32 quad_perm:[2,3,0,1] row_mask:0xf bank_mask:0xf bound_ctrl:1
	;;#ASMEND
	;;#ASMSTART
	v_max_f32 v32, v33, v33 row_half_mirror row_mask:0xf bank_mask:0xf bound_ctrl:1
	;;#ASMEND
	;;#ASMSTART
	v_max_f32 v33, v32, v32 row_mirror row_mask:0xf bank_mask:0xf bound_ctrl:1
	;;#ASMEND
	v_permlanex16_b32 v32, v33, s9, 0xfedcba98 op_sel:[1,1]
	s_delay_alu instid0(VALU_DEP_1) | instskip(NEXT) | instid1(VALU_DEP_1)
	v_dual_max_f32 v33, v33, v33 :: v_dual_max_f32 v32, v32, v32
	v_max_f32_e32 v32, v33, v32
	s_delay_alu instid0(VALU_DEP_1) | instskip(SKIP_1) | instid1(VALU_DEP_2)
	v_cmp_eq_f32_e64 s2, v28, v32
	v_cndmask_b32_e64 v28, 0, v30, s3
	s_ctz_i32_b32 s11, s2
	s_cmp_lg_u32 s2, 0
	s_cselect_b32 s2, s11, 0
	s_add_i32 s10, s10, -1
	v_readlane_b32 s11, v28, s2
	v_cndmask_b32_e32 v28, v31, v19, vcc_lo
	s_delay_alu instid0(VALU_DEP_2)
	v_cmp_eq_u32_e32 vcc_lo, s11, v30
	s_and_b32 s2, s11, 31
	s_and_b32 vcc_lo, s3, vcc_lo
	s_cmp_eq_u32 s10, 0
	v_cndmask_b32_e32 v28, 0, v28, vcc_lo
	v_add_co_ci_u32_e32 v7, vcc_lo, 0, v7, vcc_lo
	s_delay_alu instid0(VALU_DEP_2) | instskip(SKIP_2) | instid1(VALU_DEP_2)
	v_readlane_b32 s3, v28, s2
	v_cmp_eq_u32_e64 s2, 0, v27
	v_add_nc_u32_e32 v27, -1, v27
	v_cndmask_b32_e64 v6, v6, s3, s2
	v_cndmask_b32_e64 v1, v1, s11, s2
	s_cbranch_scc0 .LBB128_61
; %bb.62:
	s_mov_b32 s2, exec_lo
	v_cmpx_gt_i32_e64 s8, v0
	s_cbranch_execz .LBB128_64
.LBB128_63:
	s_clause 0x1
	s_load_b64 s[2:3], s[0:1], 0x20
	s_load_b32 s8, s[0:1], 0x30
	s_ashr_i32 s0, s15, 31
	s_waitcnt lgkmcnt(0)
	s_mul_i32 s1, s15, s3
	s_mul_hi_u32 s3, s15, s2
	s_mul_i32 s0, s0, s2
	s_add_i32 s1, s3, s1
	v_mul_f32_e32 v0, s8, v6
	s_add_i32 s1, s1, s0
	s_mul_i32 s0, s15, s2
	s_delay_alu instid0(SALU_CYCLE_1) | instskip(NEXT) | instid1(SALU_CYCLE_1)
	s_lshl_b64 s[0:1], s[0:1], 2
	s_add_u32 s2, s4, s0
	s_addc_u32 s3, s5, s1
	s_add_u32 s0, s6, s0
	s_addc_u32 s1, s7, s1
	s_clause 0x1
	global_store_b32 v96, v0, s[2:3]
	global_store_b32 v96, v1, s[0:1]
.LBB128_64:
	s_nop 0
	s_sendmsg sendmsg(MSG_DEALLOC_VGPRS)
	s_endpgm
.LBB128_65:
	v_dual_mov_b32 v1, 0 :: v_dual_mov_b32 v6, 0
	s_mov_b32 s2, exec_lo
	v_cmpx_gt_i32_e64 s8, v0
	s_cbranch_execnz .LBB128_63
	s_branch .LBB128_64
	.section	.rodata,"a",@progbits
	.p2align	6, 0x0
	.amdhsa_kernel _ZN5aiter24topk_softplus_kernel_optI6__halffLi256ELb0ELi0EEEvPKT_PKT0_PfPimiif
		.amdhsa_group_segment_fixed_size 0
		.amdhsa_private_segment_fixed_size 0
		.amdhsa_kernarg_size 52
		.amdhsa_user_sgpr_count 15
		.amdhsa_user_sgpr_dispatch_ptr 0
		.amdhsa_user_sgpr_queue_ptr 0
		.amdhsa_user_sgpr_kernarg_segment_ptr 1
		.amdhsa_user_sgpr_dispatch_id 0
		.amdhsa_user_sgpr_private_segment_size 0
		.amdhsa_wavefront_size32 1
		.amdhsa_uses_dynamic_stack 0
		.amdhsa_enable_private_segment 0
		.amdhsa_system_sgpr_workgroup_id_x 1
		.amdhsa_system_sgpr_workgroup_id_y 0
		.amdhsa_system_sgpr_workgroup_id_z 0
		.amdhsa_system_sgpr_workgroup_info 0
		.amdhsa_system_vgpr_workitem_id 0
		.amdhsa_next_free_vgpr 97
		.amdhsa_next_free_sgpr 16
		.amdhsa_reserve_vcc 1
		.amdhsa_float_round_mode_32 0
		.amdhsa_float_round_mode_16_64 0
		.amdhsa_float_denorm_mode_32 3
		.amdhsa_float_denorm_mode_16_64 3
		.amdhsa_dx10_clamp 1
		.amdhsa_ieee_mode 1
		.amdhsa_fp16_overflow 0
		.amdhsa_workgroup_processor_mode 1
		.amdhsa_memory_ordered 1
		.amdhsa_forward_progress 0
		.amdhsa_shared_vgpr_count 0
		.amdhsa_exception_fp_ieee_invalid_op 0
		.amdhsa_exception_fp_denorm_src 0
		.amdhsa_exception_fp_ieee_div_zero 0
		.amdhsa_exception_fp_ieee_overflow 0
		.amdhsa_exception_fp_ieee_underflow 0
		.amdhsa_exception_fp_ieee_inexact 0
		.amdhsa_exception_int_div_zero 0
	.end_amdhsa_kernel
	.section	.text._ZN5aiter24topk_softplus_kernel_optI6__halffLi256ELb0ELi0EEEvPKT_PKT0_PfPimiif,"axG",@progbits,_ZN5aiter24topk_softplus_kernel_optI6__halffLi256ELb0ELi0EEEvPKT_PKT0_PfPimiif,comdat
.Lfunc_end128:
	.size	_ZN5aiter24topk_softplus_kernel_optI6__halffLi256ELb0ELi0EEEvPKT_PKT0_PfPimiif, .Lfunc_end128-_ZN5aiter24topk_softplus_kernel_optI6__halffLi256ELb0ELi0EEEvPKT_PKT0_PfPimiif
                                        ; -- End function
	.section	.AMDGPU.csdata,"",@progbits
; Kernel info:
; codeLenInByte = 8440
; NumSgprs: 18
; NumVgprs: 97
; ScratchSize: 0
; MemoryBound: 0
; FloatMode: 240
; IeeeMode: 1
; LDSByteSize: 0 bytes/workgroup (compile time only)
; SGPRBlocks: 2
; VGPRBlocks: 12
; NumSGPRsForWavesPerEU: 18
; NumVGPRsForWavesPerEU: 97
; Occupancy: 12
; WaveLimiterHint : 0
; COMPUTE_PGM_RSRC2:SCRATCH_EN: 0
; COMPUTE_PGM_RSRC2:USER_SGPR: 15
; COMPUTE_PGM_RSRC2:TRAP_HANDLER: 0
; COMPUTE_PGM_RSRC2:TGID_X_EN: 1
; COMPUTE_PGM_RSRC2:TGID_Y_EN: 0
; COMPUTE_PGM_RSRC2:TGID_Z_EN: 0
; COMPUTE_PGM_RSRC2:TIDIG_COMP_CNT: 0
	.section	.text._ZN5aiter24topk_softplus_kernel_optI6__halffLi384ELb1ELi0EEEvPKT_PKT0_PfPimiif,"axG",@progbits,_ZN5aiter24topk_softplus_kernel_optI6__halffLi384ELb1ELi0EEEvPKT_PKT0_PfPimiif,comdat
	.protected	_ZN5aiter24topk_softplus_kernel_optI6__halffLi384ELb1ELi0EEEvPKT_PKT0_PfPimiif ; -- Begin function _ZN5aiter24topk_softplus_kernel_optI6__halffLi384ELb1ELi0EEEvPKT_PKT0_PfPimiif
	.globl	_ZN5aiter24topk_softplus_kernel_optI6__halffLi384ELb1ELi0EEEvPKT_PKT0_PfPimiif
	.p2align	8
	.type	_ZN5aiter24topk_softplus_kernel_optI6__halffLi384ELb1ELi0EEEvPKT_PKT0_PfPimiif,@function
_ZN5aiter24topk_softplus_kernel_optI6__halffLi384ELb1ELi0EEEvPKT_PKT0_PfPimiif: ; @_ZN5aiter24topk_softplus_kernel_optI6__halffLi384ELb1ELi0EEEvPKT_PKT0_PfPimiif
; %bb.0:
	s_load_b128 s[4:7], s[0:1], 0x0
	s_mul_i32 s2, s15, 0x180
	v_lshlrev_b32_e32 v1, 1, v0
	s_ashr_i32 s3, s2, 31
	v_lshlrev_b32_e32 v183, 2, v0
	s_lshl_b64 s[2:3], s[2:3], 1
	s_waitcnt lgkmcnt(0)
	s_add_u32 s8, s4, s2
	s_addc_u32 s9, s5, s3
	s_mov_b32 s4, 0x3fb8aa3b
	global_load_u16 v2, v1, s[8:9]
	s_cmp_lg_u64 s[6:7], 0
	s_cselect_b32 s3, -1, 0
	s_waitcnt vmcnt(0)
	v_cvt_f32_f16_e32 v3, v2
	s_delay_alu instid0(VALU_DEP_1) | instskip(NEXT) | instid1(VALU_DEP_1)
	v_mul_f32_e32 v4, 0x3fb8aa3b, v3
	v_cmp_gt_f32_e32 vcc_lo, 0xc2fc0000, v4
	v_cndmask_b32_e64 v4, 0, 0x42800000, vcc_lo
	v_cndmask_b32_e64 v5, 1.0, 0x1f800000, vcc_lo
	s_delay_alu instid0(VALU_DEP_2) | instskip(NEXT) | instid1(VALU_DEP_1)
	v_fma_mix_f32 v4, v2, s4, v4 op_sel_hi:[1,0,0]
	v_exp_f32_e32 v4, v4
	s_waitcnt_depctr 0xfff
	v_fma_f32 v4, v4, v5, 1.0
	s_delay_alu instid0(VALU_DEP_1) | instskip(SKIP_1) | instid1(VALU_DEP_1)
	v_cmp_gt_f32_e32 vcc_lo, 0x800000, v4
	v_cndmask_b32_e64 v5, 1.0, 0x4f800000, vcc_lo
	v_mul_f32_e32 v4, v4, v5
	v_cndmask_b32_e64 v5, 0, 0x42000000, vcc_lo
	v_cmp_lt_f16_e32 vcc_lo, 0x4d00, v2
	s_delay_alu instid0(VALU_DEP_3) | instskip(SKIP_2) | instid1(VALU_DEP_1)
	v_log_f32_e32 v4, v4
	s_waitcnt_depctr 0xfff
	v_sub_f32_e32 v4, v4, v5
	v_mul_f32_e32 v4, 0x3f317218, v4
	s_delay_alu instid0(VALU_DEP_1) | instskip(NEXT) | instid1(VALU_DEP_1)
	v_cndmask_b32_e32 v2, v4, v3, vcc_lo
	v_mul_f32_e32 v3, 0x4f800000, v2
	v_cmp_gt_f32_e32 vcc_lo, 0xf800000, v2
	s_delay_alu instid0(VALU_DEP_2) | instskip(NEXT) | instid1(VALU_DEP_1)
	v_cndmask_b32_e32 v2, v2, v3, vcc_lo
	v_sqrt_f32_e32 v3, v2
	s_waitcnt_depctr 0xfff
	v_add_nc_u32_e32 v4, -1, v3
	v_add_nc_u32_e32 v5, 1, v3
	s_delay_alu instid0(VALU_DEP_2) | instskip(NEXT) | instid1(VALU_DEP_2)
	v_fma_f32 v6, -v4, v3, v2
	v_fma_f32 v7, -v5, v3, v2
	s_delay_alu instid0(VALU_DEP_2) | instskip(NEXT) | instid1(VALU_DEP_1)
	v_cmp_ge_f32_e64 s2, 0, v6
	v_cndmask_b32_e64 v3, v3, v4, s2
	s_delay_alu instid0(VALU_DEP_3) | instskip(NEXT) | instid1(VALU_DEP_1)
	v_cmp_lt_f32_e64 s2, 0, v7
	v_cndmask_b32_e64 v3, v3, v5, s2
	v_add_co_u32 v12, s2, s8, v1
	s_delay_alu instid0(VALU_DEP_1) | instskip(NEXT) | instid1(VALU_DEP_3)
	v_add_co_ci_u32_e64 v13, null, s9, 0, s2
	v_mul_f32_e32 v4, 0x37800000, v3
	s_delay_alu instid0(VALU_DEP_1) | instskip(SKIP_1) | instid1(VALU_DEP_2)
	v_cndmask_b32_e32 v3, v3, v4, vcc_lo
	v_cmp_class_f32_e64 vcc_lo, v2, 0x260
	v_cndmask_b32_e32 v49, v3, v2, vcc_lo
	s_and_b32 vcc_lo, exec_lo, s3
	s_delay_alu instid0(VALU_DEP_1)
	v_mov_b32_e32 v37, v49
	s_cbranch_vccz .LBB129_2
; %bb.1:
	global_load_b32 v1, v183, s[6:7]
	s_waitcnt vmcnt(0)
	v_add_f32_e32 v37, v49, v1
.LBB129_2:
	global_load_u16 v1, v[12:13], off offset:64
	s_waitcnt vmcnt(0)
	v_cvt_f32_f16_e32 v2, v1
	s_delay_alu instid0(VALU_DEP_1) | instskip(NEXT) | instid1(VALU_DEP_1)
	v_mul_f32_e32 v3, 0x3fb8aa3b, v2
	v_cmp_gt_f32_e32 vcc_lo, 0xc2fc0000, v3
	v_cndmask_b32_e64 v4, 0, 0x42800000, vcc_lo
	v_cndmask_b32_e64 v3, 1.0, 0x1f800000, vcc_lo
	s_delay_alu instid0(VALU_DEP_2) | instskip(NEXT) | instid1(VALU_DEP_1)
	v_fma_mix_f32 v4, v1, s4, v4 op_sel_hi:[1,0,0]
	v_exp_f32_e32 v4, v4
	s_waitcnt_depctr 0xfff
	v_fma_f32 v3, v4, v3, 1.0
	s_delay_alu instid0(VALU_DEP_1) | instskip(SKIP_1) | instid1(VALU_DEP_1)
	v_cmp_gt_f32_e32 vcc_lo, 0x800000, v3
	v_cndmask_b32_e64 v4, 1.0, 0x4f800000, vcc_lo
	v_mul_f32_e32 v3, v3, v4
	v_cndmask_b32_e64 v4, 0, 0x42000000, vcc_lo
	v_cmp_lt_f16_e32 vcc_lo, 0x4d00, v1
	s_delay_alu instid0(VALU_DEP_3) | instskip(SKIP_2) | instid1(VALU_DEP_1)
	v_log_f32_e32 v3, v3
	s_waitcnt_depctr 0xfff
	v_sub_f32_e32 v3, v3, v4
	v_mul_f32_e32 v3, 0x3f317218, v3
	s_delay_alu instid0(VALU_DEP_1) | instskip(NEXT) | instid1(VALU_DEP_1)
	v_cndmask_b32_e32 v1, v3, v2, vcc_lo
	v_mul_f32_e32 v2, 0x4f800000, v1
	v_cmp_gt_f32_e32 vcc_lo, 0xf800000, v1
	s_delay_alu instid0(VALU_DEP_2) | instskip(NEXT) | instid1(VALU_DEP_1)
	v_cndmask_b32_e32 v2, v1, v2, vcc_lo
	v_sqrt_f32_e32 v1, v2
	s_waitcnt_depctr 0xfff
	v_add_nc_u32_e32 v3, -1, v1
	v_add_nc_u32_e32 v4, 1, v1
	s_delay_alu instid0(VALU_DEP_2) | instskip(NEXT) | instid1(VALU_DEP_2)
	v_fma_f32 v5, -v3, v1, v2
	v_fma_f32 v6, -v4, v1, v2
	s_delay_alu instid0(VALU_DEP_2) | instskip(NEXT) | instid1(VALU_DEP_1)
	v_cmp_ge_f32_e64 s2, 0, v5
	v_cndmask_b32_e64 v1, v1, v3, s2
	s_delay_alu instid0(VALU_DEP_3) | instskip(NEXT) | instid1(VALU_DEP_1)
	v_cmp_lt_f32_e64 s2, 0, v6
	v_cndmask_b32_e64 v1, v1, v4, s2
	s_delay_alu instid0(VALU_DEP_1) | instskip(NEXT) | instid1(VALU_DEP_1)
	v_mul_f32_e32 v3, 0x37800000, v1
	v_cndmask_b32_e32 v3, v1, v3, vcc_lo
	v_cmp_class_f32_e64 vcc_lo, v2, 0x260
	v_cndmask_b32_e64 v1, 0, 1, s3
	s_delay_alu instid0(VALU_DEP_3) | instskip(SKIP_1) | instid1(VALU_DEP_1)
	v_cndmask_b32_e32 v2, v3, v2, vcc_lo
	s_and_not1_b32 vcc_lo, exec_lo, s3
	v_mov_b32_e32 v38, v2
	s_cbranch_vccnz .LBB129_4
; %bb.3:
	global_load_b32 v3, v183, s[6:7] offset:128
	s_waitcnt vmcnt(0)
	v_add_f32_e32 v38, v2, v3
.LBB129_4:
	global_load_u16 v3, v[12:13], off offset:128
	s_mov_b32 s3, 0x3fb8aa3b
	s_waitcnt vmcnt(0)
	v_cvt_f32_f16_e32 v4, v3
	s_delay_alu instid0(VALU_DEP_1) | instskip(NEXT) | instid1(VALU_DEP_1)
	v_mul_f32_e32 v5, 0x3fb8aa3b, v4
	v_cmp_gt_f32_e32 vcc_lo, 0xc2fc0000, v5
	v_cndmask_b32_e64 v6, 0, 0x42800000, vcc_lo
	v_cndmask_b32_e64 v5, 1.0, 0x1f800000, vcc_lo
	s_delay_alu instid0(VALU_DEP_2) | instskip(NEXT) | instid1(VALU_DEP_1)
	v_fma_mix_f32 v6, v3, s3, v6 op_sel_hi:[1,0,0]
	v_exp_f32_e32 v6, v6
	s_waitcnt_depctr 0xfff
	v_fma_f32 v5, v6, v5, 1.0
	s_delay_alu instid0(VALU_DEP_1) | instskip(SKIP_1) | instid1(VALU_DEP_1)
	v_cmp_gt_f32_e32 vcc_lo, 0x800000, v5
	v_cndmask_b32_e64 v6, 1.0, 0x4f800000, vcc_lo
	v_mul_f32_e32 v5, v5, v6
	v_cndmask_b32_e64 v6, 0, 0x42000000, vcc_lo
	v_cmp_lt_f16_e32 vcc_lo, 0x4d00, v3
	s_delay_alu instid0(VALU_DEP_3) | instskip(SKIP_2) | instid1(VALU_DEP_1)
	v_log_f32_e32 v5, v5
	s_waitcnt_depctr 0xfff
	v_sub_f32_e32 v5, v5, v6
	v_mul_f32_e32 v5, 0x3f317218, v5
	s_delay_alu instid0(VALU_DEP_1) | instskip(NEXT) | instid1(VALU_DEP_1)
	v_cndmask_b32_e32 v3, v5, v4, vcc_lo
	v_mul_f32_e32 v4, 0x4f800000, v3
	v_cmp_gt_f32_e32 vcc_lo, 0xf800000, v3
	s_delay_alu instid0(VALU_DEP_2) | instskip(NEXT) | instid1(VALU_DEP_1)
	v_cndmask_b32_e32 v3, v3, v4, vcc_lo
	v_sqrt_f32_e32 v4, v3
	s_waitcnt_depctr 0xfff
	v_add_nc_u32_e32 v5, -1, v4
	v_add_nc_u32_e32 v6, 1, v4
	s_delay_alu instid0(VALU_DEP_2) | instskip(NEXT) | instid1(VALU_DEP_2)
	v_fma_f32 v7, -v5, v4, v3
	v_fma_f32 v8, -v6, v4, v3
	s_delay_alu instid0(VALU_DEP_2) | instskip(NEXT) | instid1(VALU_DEP_1)
	v_cmp_ge_f32_e64 s2, 0, v7
	v_cndmask_b32_e64 v4, v4, v5, s2
	s_delay_alu instid0(VALU_DEP_3) | instskip(NEXT) | instid1(VALU_DEP_1)
	v_cmp_lt_f32_e64 s2, 0, v8
	v_cndmask_b32_e64 v4, v4, v6, s2
	s_delay_alu instid0(VALU_DEP_1) | instskip(NEXT) | instid1(VALU_DEP_1)
	v_mul_f32_e32 v5, 0x37800000, v4
	v_cndmask_b32_e32 v4, v4, v5, vcc_lo
	v_cmp_class_f32_e64 vcc_lo, v3, 0x260
	s_delay_alu instid0(VALU_DEP_2) | instskip(SKIP_1) | instid1(VALU_DEP_2)
	v_cndmask_b32_e32 v3, v4, v3, vcc_lo
	v_cmp_ne_u32_e32 vcc_lo, 1, v1
	v_mov_b32_e32 v39, v3
	s_cbranch_vccnz .LBB129_6
; %bb.5:
	global_load_b32 v4, v183, s[6:7] offset:256
	s_waitcnt vmcnt(0)
	v_add_f32_e32 v39, v3, v4
.LBB129_6:
	global_load_u16 v4, v[12:13], off offset:192
	s_waitcnt vmcnt(0)
	v_cvt_f32_f16_e32 v5, v4
	s_delay_alu instid0(VALU_DEP_1) | instskip(NEXT) | instid1(VALU_DEP_1)
	v_mul_f32_e32 v6, 0x3fb8aa3b, v5
	v_cmp_gt_f32_e32 vcc_lo, 0xc2fc0000, v6
	v_cndmask_b32_e64 v7, 0, 0x42800000, vcc_lo
	v_cndmask_b32_e64 v6, 1.0, 0x1f800000, vcc_lo
	s_delay_alu instid0(VALU_DEP_2) | instskip(NEXT) | instid1(VALU_DEP_1)
	v_fma_mix_f32 v7, v4, s3, v7 op_sel_hi:[1,0,0]
	v_exp_f32_e32 v7, v7
	s_waitcnt_depctr 0xfff
	v_fma_f32 v6, v7, v6, 1.0
	s_delay_alu instid0(VALU_DEP_1) | instskip(SKIP_1) | instid1(VALU_DEP_1)
	v_cmp_gt_f32_e32 vcc_lo, 0x800000, v6
	v_cndmask_b32_e64 v7, 1.0, 0x4f800000, vcc_lo
	v_mul_f32_e32 v6, v6, v7
	v_cndmask_b32_e64 v7, 0, 0x42000000, vcc_lo
	v_cmp_lt_f16_e32 vcc_lo, 0x4d00, v4
	s_delay_alu instid0(VALU_DEP_3) | instskip(SKIP_2) | instid1(VALU_DEP_1)
	v_log_f32_e32 v6, v6
	s_waitcnt_depctr 0xfff
	v_sub_f32_e32 v6, v6, v7
	v_mul_f32_e32 v6, 0x3f317218, v6
	s_delay_alu instid0(VALU_DEP_1) | instskip(NEXT) | instid1(VALU_DEP_1)
	v_cndmask_b32_e32 v4, v6, v5, vcc_lo
	v_mul_f32_e32 v5, 0x4f800000, v4
	v_cmp_gt_f32_e32 vcc_lo, 0xf800000, v4
	s_delay_alu instid0(VALU_DEP_2) | instskip(NEXT) | instid1(VALU_DEP_1)
	v_cndmask_b32_e32 v4, v4, v5, vcc_lo
	v_sqrt_f32_e32 v5, v4
	s_waitcnt_depctr 0xfff
	v_add_nc_u32_e32 v6, -1, v5
	v_add_nc_u32_e32 v7, 1, v5
	s_delay_alu instid0(VALU_DEP_2) | instskip(NEXT) | instid1(VALU_DEP_2)
	v_fma_f32 v8, -v6, v5, v4
	v_fma_f32 v9, -v7, v5, v4
	s_delay_alu instid0(VALU_DEP_2) | instskip(NEXT) | instid1(VALU_DEP_1)
	v_cmp_ge_f32_e64 s2, 0, v8
	v_cndmask_b32_e64 v5, v5, v6, s2
	s_delay_alu instid0(VALU_DEP_3) | instskip(NEXT) | instid1(VALU_DEP_1)
	v_cmp_lt_f32_e64 s2, 0, v9
	v_cndmask_b32_e64 v5, v5, v7, s2
	s_delay_alu instid0(VALU_DEP_1) | instskip(NEXT) | instid1(VALU_DEP_1)
	v_mul_f32_e32 v6, 0x37800000, v5
	v_cndmask_b32_e32 v5, v5, v6, vcc_lo
	v_cmp_class_f32_e64 vcc_lo, v4, 0x260
	s_delay_alu instid0(VALU_DEP_2) | instskip(SKIP_1) | instid1(VALU_DEP_2)
	v_cndmask_b32_e32 v4, v5, v4, vcc_lo
	v_cmp_ne_u32_e32 vcc_lo, 1, v1
	v_mov_b32_e32 v40, v4
	s_cbranch_vccnz .LBB129_8
; %bb.7:
	global_load_b32 v5, v183, s[6:7] offset:384
	s_waitcnt vmcnt(0)
	v_add_f32_e32 v40, v4, v5
.LBB129_8:
	global_load_u16 v5, v[12:13], off offset:256
	;; [unrolled: 57-line block ×9, first 2 shown]
	s_waitcnt vmcnt(0)
	v_cvt_f32_f16_e32 v13, v12
	s_delay_alu instid0(VALU_DEP_1) | instskip(NEXT) | instid1(VALU_DEP_1)
	v_mul_f32_e32 v14, 0x3fb8aa3b, v13
	v_cmp_gt_f32_e32 vcc_lo, 0xc2fc0000, v14
	v_cndmask_b32_e64 v15, 0, 0x42800000, vcc_lo
	v_cndmask_b32_e64 v14, 1.0, 0x1f800000, vcc_lo
	s_delay_alu instid0(VALU_DEP_2) | instskip(NEXT) | instid1(VALU_DEP_1)
	v_fma_mix_f32 v15, v12, s3, v15 op_sel_hi:[1,0,0]
	v_exp_f32_e32 v15, v15
	s_waitcnt_depctr 0xfff
	v_fma_f32 v14, v15, v14, 1.0
	s_delay_alu instid0(VALU_DEP_1) | instskip(SKIP_1) | instid1(VALU_DEP_1)
	v_cmp_gt_f32_e32 vcc_lo, 0x800000, v14
	v_cndmask_b32_e64 v15, 1.0, 0x4f800000, vcc_lo
	v_mul_f32_e32 v14, v14, v15
	v_cndmask_b32_e64 v15, 0, 0x42000000, vcc_lo
	v_cmp_lt_f16_e32 vcc_lo, 0x4d00, v12
	s_delay_alu instid0(VALU_DEP_3) | instskip(SKIP_2) | instid1(VALU_DEP_1)
	v_log_f32_e32 v14, v14
	s_waitcnt_depctr 0xfff
	v_sub_f32_e32 v14, v14, v15
	v_mul_f32_e32 v14, 0x3f317218, v14
	s_delay_alu instid0(VALU_DEP_1) | instskip(NEXT) | instid1(VALU_DEP_1)
	v_cndmask_b32_e32 v12, v14, v13, vcc_lo
	v_mul_f32_e32 v13, 0x4f800000, v12
	v_cmp_gt_f32_e32 vcc_lo, 0xf800000, v12
	s_delay_alu instid0(VALU_DEP_2) | instskip(NEXT) | instid1(VALU_DEP_1)
	v_cndmask_b32_e32 v12, v12, v13, vcc_lo
	v_sqrt_f32_e32 v13, v12
	s_waitcnt_depctr 0xfff
	v_add_nc_u32_e32 v14, -1, v13
	v_add_nc_u32_e32 v15, 1, v13
	s_delay_alu instid0(VALU_DEP_2) | instskip(NEXT) | instid1(VALU_DEP_2)
	v_fma_f32 v16, -v14, v13, v12
	v_fma_f32 v17, -v15, v13, v12
	s_delay_alu instid0(VALU_DEP_2) | instskip(NEXT) | instid1(VALU_DEP_1)
	v_cmp_ge_f32_e64 s2, 0, v16
	v_cndmask_b32_e64 v13, v13, v14, s2
	s_delay_alu instid0(VALU_DEP_3) | instskip(NEXT) | instid1(VALU_DEP_1)
	v_cmp_lt_f32_e64 s2, 0, v17
	v_cndmask_b32_e64 v13, v13, v15, s2
	s_delay_alu instid0(VALU_DEP_1) | instskip(NEXT) | instid1(VALU_DEP_1)
	v_mul_f32_e32 v14, 0x37800000, v13
	v_cndmask_b32_e32 v13, v13, v14, vcc_lo
	v_cmp_class_f32_e64 vcc_lo, v12, 0x260
	s_delay_alu instid0(VALU_DEP_2)
	v_cndmask_b32_e32 v12, v13, v12, vcc_lo
	v_cmp_ne_u32_e32 vcc_lo, 1, v1
	s_cbranch_vccnz .LBB129_24
; %bb.23:
	global_load_b32 v1, v183, s[6:7] offset:1408
	s_waitcnt vmcnt(0)
	v_add_f32_e32 v48, v12, v1
	s_branch .LBB129_25
.LBB129_24:
	s_delay_alu instid0(VALU_DEP_2)
	v_mov_b32_e32 v48, v12
.LBB129_25:
	v_dual_mov_b32 v13, v37 :: v_dual_add_nc_u32 v26, 32, v0
	v_dual_mov_b32 v14, v38 :: v_dual_add_nc_u32 v27, 64, v0
	;; [unrolled: 1-line block ×11, first 2 shown]
	v_dual_mov_b32 v24, v48 :: v_dual_mov_b32 v1, v49
	v_mov_b32_e32 v25, v0
	s_mov_b32 s2, exec_lo
	v_cmpx_lt_f32_e32 v37, v38
	s_xor_b32 s2, exec_lo, s2
; %bb.26:
	v_dual_mov_b32 v13, v38 :: v_dual_mov_b32 v14, v37
	v_dual_mov_b32 v15, v39 :: v_dual_mov_b32 v16, v40
	;; [unrolled: 1-line block ×8, first 2 shown]
	v_mov_b32_e32 v26, v0
; %bb.27:
	s_or_b32 exec_lo, exec_lo, s2
	v_dual_mov_b32 v37, v15 :: v_dual_mov_b32 v86, v12
	v_dual_mov_b32 v75, v1 :: v_dual_mov_b32 v146, v12
	;; [unrolled: 1-line block ×36, first 2 shown]
	s_clause 0x8
	scratch_store_b128 off, v[1:4], off
	scratch_store_b128 off, v[5:8], off offset:16
	scratch_store_b128 off, v[9:12], off offset:32
	;; [unrolled: 1-line block ×8, first 2 shown]
	v_dual_mov_b32 v73, v35 :: v_dual_mov_b32 v72, v34
	v_dual_mov_b32 v71, v33 :: v_dual_mov_b32 v70, v32
	;; [unrolled: 1-line block ×30, first 2 shown]
	v_mov_b32_e32 v159, v25
	s_clause 0x2
	scratch_store_b128 off, v[25:28], off offset:144
	scratch_store_b128 off, v[29:32], off offset:160
	;; [unrolled: 1-line block ×3, first 2 shown]
	s_mov_b32 s2, exec_lo
	v_dual_mov_b32 v182, v36 :: v_dual_mov_b32 v181, v35
	v_dual_mov_b32 v180, v34 :: v_dual_mov_b32 v179, v33
	;; [unrolled: 1-line block ×6, first 2 shown]
	v_cmpx_lt_f32_e32 v38, v15
	s_cbranch_execz .LBB129_29
; %bb.28:
	v_dual_mov_b32 v37, v38 :: v_dual_mov_b32 v182, v36
	v_dual_mov_b32 v173, v27 :: v_dual_mov_b32 v172, v26
	;; [unrolled: 1-line block ×14, first 2 shown]
	v_mov_b32_e32 v125, v2
	v_dual_mov_b32 v159, v171 :: v_dual_mov_b32 v162, v174
	v_dual_mov_b32 v161, v173 :: v_dual_mov_b32 v164, v176
	;; [unrolled: 1-line block ×6, first 2 shown]
	v_mov_b32_e32 v162, v28
	s_clause 0x2
	scratch_store_b128 off, v[123:126], off offset:96
	scratch_store_b128 off, v[127:130], off offset:112
	;; [unrolled: 1-line block ×3, first 2 shown]
	v_dual_mov_b32 v14, v15 :: v_dual_mov_b32 v15, v38
	v_dual_mov_b32 v43, v164 :: v_dual_mov_b32 v44, v165
	;; [unrolled: 1-line block ×7, first 2 shown]
	s_clause 0x2
	scratch_store_b128 off, v[38:41], off offset:144
	scratch_store_b128 off, v[42:45], off offset:160
	scratch_store_b128 off, v[46:49], off offset:176
	v_mov_b32_e32 v163, v29
	v_mov_b32_e32 v27, v26
	v_dual_mov_b32 v43, v128 :: v_dual_mov_b32 v44, v129
	v_dual_mov_b32 v47, v132 :: v_dual_mov_b32 v38, v123
	;; [unrolled: 1-line block ×5, first 2 shown]
	v_mov_b32_e32 v41, v126
	v_dual_mov_b32 v147, v159 :: v_dual_mov_b32 v154, v166
	v_mov_b32_e32 v148, v160
	v_mov_b32_e32 v150, v162
	s_clause 0x2
	scratch_store_b128 off, v[38:41], off offset:48
	scratch_store_b128 off, v[42:45], off offset:64
	;; [unrolled: 1-line block ×3, first 2 shown]
	v_dual_mov_b32 v127, v5 :: v_dual_mov_b32 v152, v164
	v_dual_mov_b32 v153, v165 :: v_dual_mov_b32 v152, v30
	;; [unrolled: 1-line block ×7, first 2 shown]
	v_mov_b32_e32 v41, v126
	v_dual_mov_b32 v128, v6 :: v_dual_mov_b32 v99, v147
	v_dual_mov_b32 v105, v153 :: v_dual_mov_b32 v106, v154
	;; [unrolled: 1-line block ×3, first 2 shown]
	v_mov_b32_e32 v105, v31
	v_dual_mov_b32 v103, v151 :: v_dual_mov_b32 v104, v152
	v_dual_mov_b32 v107, v155 :: v_dual_mov_b32 v108, v156
	;; [unrolled: 1-line block ×6, first 2 shown]
	v_mov_b32_e32 v60, v132
	v_dual_mov_b32 v52, v124 :: v_dual_mov_b32 v55, v127
	v_dual_mov_b32 v58, v130 :: v_dual_mov_b32 v61, v133
	v_mov_b32_e32 v57, v7
	v_dual_mov_b32 v53, v125 :: v_dual_mov_b32 v56, v128
	s_clause 0x2
	scratch_store_b128 off, v[38:41], off
	scratch_store_b128 off, v[42:45], off offset:16
	scratch_store_b128 off, v[46:49], off offset:32
	v_dual_mov_b32 v39, v99 :: v_dual_mov_b32 v44, v104
	v_dual_mov_b32 v45, v105 :: v_dual_mov_b32 v50, v110
	;; [unrolled: 1-line block ×6, first 2 shown]
	v_mov_b32_e32 v122, v62
	v_dual_mov_b32 v46, v32 :: v_dual_mov_b32 v111, v51
	v_dual_mov_b32 v121, v61 :: v_dual_mov_b32 v120, v60
	;; [unrolled: 1-line block ×6, first 2 shown]
	v_mov_b32_e32 v118, v8
	v_dual_mov_b32 v98, v50 :: v_dual_mov_b32 v97, v49
	v_dual_mov_b32 v96, v48 :: v_dual_mov_b32 v95, v47
	;; [unrolled: 1-line block ×7, first 2 shown]
	v_mov_b32_e32 v135, v111
	v_dual_mov_b32 v3, v2 :: v_dual_mov_b32 v144, v120
	v_dual_mov_b32 v145, v121 :: v_dual_mov_b32 v142, v118
	v_dual_mov_b32 v143, v119 :: v_dual_mov_b32 v140, v116
	v_dual_mov_b32 v141, v117 :: v_dual_mov_b32 v138, v114
	v_dual_mov_b32 v139, v115 :: v_dual_mov_b32 v136, v112
	v_mov_b32_e32 v137, v113
	v_mov_b32_e32 v143, v9
	v_dual_mov_b32 v63, v87 :: v_dual_mov_b32 v70, v94
	v_mov_b32_e32 v64, v88
	v_mov_b32_e32 v66, v90
	v_dual_mov_b32 v68, v92 :: v_dual_mov_b32 v75, v135
	v_dual_mov_b32 v80, v140 :: v_dual_mov_b32 v65, v89
	;; [unrolled: 1-line block ×13, first 2 shown]
.LBB129_29:
	s_or_b32 exec_lo, exec_lo, s2
	v_mov_b32_e32 v1, v16
	s_mov_b32 s2, exec_lo
	v_cmpx_lt_f32_e32 v37, v16
	s_cbranch_execz .LBB129_31
; %bb.30:
	s_clause 0x2
	scratch_load_b128 v[38:41], off, off offset:96
	scratch_load_b128 v[42:45], off, off offset:112
	;; [unrolled: 1-line block ×3, first 2 shown]
	v_mov_b32_e32 v173, v28
	v_dual_mov_b32 v15, v16 :: v_dual_mov_b32 v16, v37
	v_dual_mov_b32 v1, v37 :: v_dual_mov_b32 v28, v27
	s_waitcnt vmcnt(2)
	v_dual_mov_b32 v124, v39 :: v_dual_mov_b32 v123, v38
	s_waitcnt vmcnt(0)
	v_dual_mov_b32 v134, v49 :: v_dual_mov_b32 v125, v4
	v_dual_mov_b32 v159, v171 :: v_dual_mov_b32 v160, v172
	v_mov_b32_e32 v162, v174
	v_dual_mov_b32 v38, v123 :: v_dual_mov_b32 v39, v124
	v_dual_mov_b32 v161, v173 :: v_dual_mov_b32 v164, v176
	;; [unrolled: 1-line block ×10, first 2 shown]
	v_mov_b32_e32 v126, v41
	s_clause 0x2
	scratch_store_b128 off, v[38:41], off offset:96
	scratch_store_b128 off, v[42:45], off offset:112
	;; [unrolled: 1-line block ×3, first 2 shown]
	v_dual_mov_b32 v43, v164 :: v_dual_mov_b32 v38, v159
	v_dual_mov_b32 v41, v162 :: v_dual_mov_b32 v126, v3
	;; [unrolled: 1-line block ×7, first 2 shown]
	s_clause 0x2
	scratch_store_b128 off, v[38:41], off offset:144
	scratch_store_b128 off, v[42:45], off offset:160
	scratch_store_b128 off, v[46:49], off offset:176
	v_dual_mov_b32 v43, v128 :: v_dual_mov_b32 v46, v131
	v_dual_mov_b32 v49, v134 :: v_dual_mov_b32 v38, v123
	v_dual_mov_b32 v44, v129 :: v_dual_mov_b32 v45, v130
	v_dual_mov_b32 v47, v132 :: v_dual_mov_b32 v48, v133
	v_dual_mov_b32 v39, v124 :: v_dual_mov_b32 v40, v125
	v_mov_b32_e32 v41, v126
	v_dual_mov_b32 v147, v159 :: v_dual_mov_b32 v152, v164
	v_dual_mov_b32 v148, v160 :: v_dual_mov_b32 v127, v5
	;; [unrolled: 1-line block ×7, first 2 shown]
	s_clause 0x2
	scratch_store_b128 off, v[38:41], off offset:48
	scratch_store_b128 off, v[42:45], off offset:64
	;; [unrolled: 1-line block ×3, first 2 shown]
	v_dual_mov_b32 v38, v123 :: v_dual_mov_b32 v39, v124
	v_dual_mov_b32 v40, v125 :: v_dual_mov_b32 v41, v126
	v_mov_b32_e32 v42, v127
	v_dual_mov_b32 v128, v6 :: v_dual_mov_b32 v99, v147
	v_dual_mov_b32 v106, v154 :: v_dual_mov_b32 v107, v155
	;; [unrolled: 1-line block ×3, first 2 shown]
	v_mov_b32_e32 v52, v124
	v_dual_mov_b32 v100, v148 :: v_dual_mov_b32 v101, v149
	v_dual_mov_b32 v102, v150 :: v_dual_mov_b32 v103, v151
	;; [unrolled: 1-line block ×6, first 2 shown]
	v_mov_b32_e32 v105, v31
	v_dual_mov_b32 v57, v129 :: v_dual_mov_b32 v58, v130
	v_dual_mov_b32 v53, v125 :: v_dual_mov_b32 v54, v126
	;; [unrolled: 1-line block ×3, first 2 shown]
	v_mov_b32_e32 v57, v7
	s_clause 0x2
	scratch_store_b128 off, v[38:41], off
	scratch_store_b128 off, v[42:45], off offset:16
	scratch_store_b128 off, v[46:49], off offset:32
	v_dual_mov_b32 v39, v99 :: v_dual_mov_b32 v42, v102
	v_dual_mov_b32 v47, v107 :: v_dual_mov_b32 v50, v110
	;; [unrolled: 1-line block ×9, first 2 shown]
	v_mov_b32_e32 v46, v32
	v_dual_mov_b32 v118, v58 :: v_dual_mov_b32 v117, v57
	v_dual_mov_b32 v116, v56 :: v_dual_mov_b32 v115, v55
	;; [unrolled: 1-line block ×3, first 2 shown]
	v_mov_b32_e32 v118, v8
	v_dual_mov_b32 v98, v50 :: v_dual_mov_b32 v95, v47
	v_dual_mov_b32 v97, v49 :: v_dual_mov_b32 v90, v42
	;; [unrolled: 1-line block ×9, first 2 shown]
	v_mov_b32_e32 v89, v41
	v_dual_mov_b32 v143, v9 :: v_dual_mov_b32 v142, v118
	v_dual_mov_b32 v141, v117 :: v_dual_mov_b32 v140, v116
	;; [unrolled: 1-line block ×3, first 2 shown]
	v_mov_b32_e32 v137, v113
	v_dual_mov_b32 v63, v87 :: v_dual_mov_b32 v66, v90
	v_dual_mov_b32 v64, v88 :: v_dual_mov_b32 v75, v135
	;; [unrolled: 1-line block ×13, first 2 shown]
	v_mov_b32_e32 v82, v142
	v_dual_mov_b32 v84, v10 :: v_dual_mov_b32 v85, v11
	v_mov_b32_e32 v86, v12
.LBB129_31:
	s_or_b32 exec_lo, exec_lo, s2
	v_mov_b32_e32 v2, v17
	s_mov_b32 s2, exec_lo
	v_cmpx_lt_f32_e32 v1, v17
	s_cbranch_execz .LBB129_33
; %bb.32:
	s_clause 0x2
	scratch_load_b128 v[37:40], off, off offset:96
	scratch_load_b128 v[41:44], off, off offset:112
	;; [unrolled: 1-line block ×3, first 2 shown]
	v_mov_b32_e32 v174, v29
	v_dual_mov_b32 v2, v1 :: v_dual_mov_b32 v29, v28
	v_mov_b32_e32 v16, v17
	s_waitcnt vmcnt(0)
	v_dual_mov_b32 v74, v48 :: v_dual_mov_b32 v71, v45
	v_dual_mov_b32 v68, v42 :: v_dual_mov_b32 v65, v39
	;; [unrolled: 1-line block ×18, first 2 shown]
	v_mov_b32_e32 v125, v65
	v_mov_b32_e32 v127, v4
	v_dual_mov_b32 v147, v159 :: v_dual_mov_b32 v148, v160
	v_dual_mov_b32 v153, v165 :: v_dual_mov_b32 v156, v168
	;; [unrolled: 1-line block ×3, first 2 shown]
	v_mov_b32_e32 v157, v169
	v_dual_mov_b32 v151, v163 :: v_dual_mov_b32 v154, v166
	v_dual_mov_b32 v149, v161 :: v_dual_mov_b32 v152, v164
	;; [unrolled: 1-line block ×4, first 2 shown]
	v_mov_b32_e32 v38, v124
	v_dual_mov_b32 v152, v30 :: v_dual_mov_b32 v45, v131
	v_dual_mov_b32 v46, v132 :: v_dual_mov_b32 v47, v133
	;; [unrolled: 1-line block ×13, first 2 shown]
	s_clause 0x2
	scratch_store_b128 off, v[37:40], off
	scratch_store_b128 off, v[41:44], off offset:16
	scratch_store_b128 off, v[45:48], off offset:32
	v_dual_mov_b32 v57, v129 :: v_dual_mov_b32 v60, v132
	v_dual_mov_b32 v55, v127 :: v_dual_mov_b32 v58, v130
	v_mov_b32_e32 v61, v133
	v_mov_b32_e32 v57, v7
	v_dual_mov_b32 v39, v99 :: v_dual_mov_b32 v44, v104
	v_dual_mov_b32 v17, v1 :: v_dual_mov_b32 v52, v124
	;; [unrolled: 1-line block ×8, first 2 shown]
	v_mov_b32_e32 v122, v62
	v_dual_mov_b32 v46, v32 :: v_dual_mov_b32 v119, v59
	v_dual_mov_b32 v118, v58 :: v_dual_mov_b32 v111, v51
	;; [unrolled: 1-line block ×6, first 2 shown]
	v_mov_b32_e32 v112, v52
	v_dual_mov_b32 v98, v50 :: v_dual_mov_b32 v97, v49
	v_dual_mov_b32 v96, v48 :: v_dual_mov_b32 v95, v47
	;; [unrolled: 1-line block ×8, first 2 shown]
	v_mov_b32_e32 v135, v111
	v_dual_mov_b32 v145, v121 :: v_dual_mov_b32 v144, v120
	v_dual_mov_b32 v141, v117 :: v_dual_mov_b32 v140, v116
	v_mov_b32_e32 v143, v9
	v_dual_mov_b32 v139, v115 :: v_dual_mov_b32 v138, v114
	v_dual_mov_b32 v137, v113 :: v_dual_mov_b32 v136, v112
	s_clause 0x5
	scratch_store_b128 off, v[63:66], off offset:48
	scratch_store_b128 off, v[67:70], off offset:64
	;; [unrolled: 1-line block ×6, first 2 shown]
	v_dual_mov_b32 v63, v87 :: v_dual_mov_b32 v68, v92
	v_mov_b32_e32 v64, v88
	v_dual_mov_b32 v66, v90 :: v_dual_mov_b32 v75, v135
	v_dual_mov_b32 v78, v138 :: v_dual_mov_b32 v67, v91
	;; [unrolled: 1-line block ×14, first 2 shown]
.LBB129_33:
	s_or_b32 exec_lo, exec_lo, s2
	v_mov_b32_e32 v1, v18
	s_mov_b32 s2, exec_lo
	v_cmpx_lt_f32_e32 v2, v18
	s_cbranch_execz .LBB129_35
; %bb.34:
	s_clause 0x2
	scratch_load_b128 v[37:40], off, off offset:144
	scratch_load_b128 v[41:44], off, off offset:160
	;; [unrolled: 1-line block ×3, first 2 shown]
	s_waitcnt vmcnt(0)
	v_dual_mov_b32 v17, v18 :: v_dual_mov_b32 v170, v48
	v_dual_mov_b32 v169, v47 :: v_dual_mov_b32 v162, v40
	;; [unrolled: 1-line block ×6, first 2 shown]
	s_clause 0x2
	scratch_load_b128 v[37:40], off, off offset:48
	scratch_load_b128 v[41:44], off, off offset:64
	;; [unrolled: 1-line block ×3, first 2 shown]
	v_dual_mov_b32 v163, v30 :: v_dual_mov_b32 v30, v29
	s_waitcnt vmcnt(0)
	v_mov_b32_e32 v74, v48
	v_dual_mov_b32 v66, v40 :: v_dual_mov_b32 v63, v37
	v_dual_mov_b32 v73, v47 :: v_dual_mov_b32 v64, v38
	;; [unrolled: 1-line block ×5, first 2 shown]
	v_mov_b32_e32 v69, v43
	v_dual_mov_b32 v67, v6 :: v_dual_mov_b32 v148, v160
	v_dual_mov_b32 v134, v74 :: v_dual_mov_b32 v133, v73
	;; [unrolled: 1-line block ×12, first 2 shown]
	v_mov_b32_e32 v128, v5
	v_dual_mov_b32 v152, v29 :: v_dual_mov_b32 v51, v123
	v_dual_mov_b32 v99, v147 :: v_dual_mov_b32 v108, v156
	;; [unrolled: 1-line block ×13, first 2 shown]
	v_mov_b32_e32 v57, v7
	v_dual_mov_b32 v39, v99 :: v_dual_mov_b32 v40, v100
	v_dual_mov_b32 v49, v109 :: v_dual_mov_b32 v50, v110
	s_delay_alu instid0(VALU_DEP_4)
	v_dual_mov_b32 v122, v62 :: v_dual_mov_b32 v121, v61
	v_dual_mov_b32 v43, v103 :: v_dual_mov_b32 v44, v104
	v_dual_mov_b32 v47, v107 :: v_dual_mov_b32 v48, v108
	v_dual_mov_b32 v120, v60 :: v_dual_mov_b32 v119, v59
	v_dual_mov_b32 v116, v56 :: v_dual_mov_b32 v115, v55
	v_dual_mov_b32 v112, v52 :: v_dual_mov_b32 v111, v51
	v_dual_mov_b32 v41, v101 :: v_dual_mov_b32 v42, v102
	v_dual_mov_b32 v45, v105 :: v_dual_mov_b32 v46, v106
	v_dual_mov_b32 v118, v58 :: v_dual_mov_b32 v117, v57
	v_dual_mov_b32 v114, v54 :: v_dual_mov_b32 v113, v53
	v_mov_b32_e32 v46, v32
	v_mov_b32_e32 v118, v8
	v_dual_mov_b32 v98, v50 :: v_dual_mov_b32 v93, v45
	v_dual_mov_b32 v97, v49 :: v_dual_mov_b32 v146, v122
	;; [unrolled: 1-line block ×13, first 2 shown]
	v_mov_b32_e32 v137, v113
	s_clause 0x2
	scratch_store_b128 off, v[63:66], off
	scratch_store_b128 off, v[67:70], off offset:16
	scratch_store_b128 off, v[71:74], off offset:32
	v_dual_mov_b32 v63, v87 :: v_dual_mov_b32 v66, v90
	v_dual_mov_b32 v75, v135 :: v_dual_mov_b32 v78, v138
	;; [unrolled: 1-line block ×15, first 2 shown]
	v_mov_b32_e32 v86, v12
	v_mov_b32_e32 v6, v5
.LBB129_35:
	s_or_b32 exec_lo, exec_lo, s2
	v_mov_b32_e32 v2, v19
	s_mov_b32 s2, exec_lo
	v_cmpx_lt_f32_e32 v1, v19
	s_cbranch_execz .LBB129_37
; %bb.36:
	s_clause 0x2
	scratch_load_b128 v[37:40], off, off
	scratch_load_b128 v[41:44], off, off offset:16
	scratch_load_b128 v[45:48], off, off offset:32
	v_mov_b32_e32 v164, v31
	v_dual_mov_b32 v2, v1 :: v_dual_mov_b32 v31, v30
	v_mov_b32_e32 v18, v19
	s_waitcnt vmcnt(0)
	v_dual_mov_b32 v134, v48 :: v_dual_mov_b32 v133, v47
	v_dual_mov_b32 v130, v44 :: v_dual_mov_b32 v127, v41
	;; [unrolled: 1-line block ×17, first 2 shown]
	v_mov_b32_e32 v61, v133
	v_mov_b32_e32 v57, v6
	;; [unrolled: 1-line block ×3, first 2 shown]
	v_dual_mov_b32 v62, v134 :: v_dual_mov_b32 v39, v99
	v_dual_mov_b32 v147, v159 :: v_dual_mov_b32 v148, v160
	s_delay_alu instid0(VALU_DEP_2)
	v_dual_mov_b32 v149, v161 :: v_dual_mov_b32 v122, v62
	v_dual_mov_b32 v120, v60 :: v_dual_mov_b32 v49, v109
	v_mov_b32_e32 v50, v110
	v_dual_mov_b32 v40, v100 :: v_dual_mov_b32 v119, v59
	v_dual_mov_b32 v118, v58 :: v_dual_mov_b32 v115, v55
	;; [unrolled: 1-line block ×6, first 2 shown]
	v_mov_b32_e32 v121, v61
	v_dual_mov_b32 v117, v57 :: v_dual_mov_b32 v116, v56
	v_dual_mov_b32 v113, v53 :: v_dual_mov_b32 v112, v52
	;; [unrolled: 1-line block ×3, first 2 shown]
	v_mov_b32_e32 v46, v32
	v_mov_b32_e32 v118, v8
	v_dual_mov_b32 v98, v50 :: v_dual_mov_b32 v95, v47
	v_dual_mov_b32 v97, v49 :: v_dual_mov_b32 v146, v122
	;; [unrolled: 1-line block ×4, first 2 shown]
	v_mov_b32_e32 v87, v39
	v_dual_mov_b32 v143, v9 :: v_dual_mov_b32 v96, v48
	v_dual_mov_b32 v93, v45 :: v_dual_mov_b32 v88, v40
	;; [unrolled: 1-line block ×8, first 2 shown]
	v_mov_b32_e32 v137, v113
	v_dual_mov_b32 v75, v135 :: v_dual_mov_b32 v78, v138
	v_dual_mov_b32 v63, v87 :: v_dual_mov_b32 v66, v90
	;; [unrolled: 1-line block ×14, first 2 shown]
	v_mov_b32_e32 v74, v36
	v_dual_mov_b32 v84, v10 :: v_dual_mov_b32 v85, v11
	v_dual_mov_b32 v150, v162 :: v_dual_mov_b32 v151, v163
	;; [unrolled: 1-line block ×5, first 2 shown]
	v_mov_b32_e32 v158, v170
	v_mov_b32_e32 v7, v6
.LBB129_37:
	s_or_b32 exec_lo, exec_lo, s2
	v_mov_b32_e32 v1, v20
	s_mov_b32 s2, exec_lo
	v_cmpx_lt_f32_e32 v2, v20
	s_cbranch_execz .LBB129_39
; %bb.38:
	v_mov_b32_e32 v129, v8
	v_mov_b32_e32 v153, v32
	v_dual_mov_b32 v111, v123 :: v_dual_mov_b32 v114, v126
	v_dual_mov_b32 v39, v147 :: v_dual_mov_b32 v40, v148
	;; [unrolled: 1-line block ×10, first 2 shown]
	v_mov_b32_e32 v120, v132
	v_dual_mov_b32 v116, v128 :: v_dual_mov_b32 v121, v133
	v_mov_b32_e32 v46, v31
	v_dual_mov_b32 v119, v131 :: v_dual_mov_b32 v98, v50
	v_dual_mov_b32 v118, v7 :: v_dual_mov_b32 v97, v49
	;; [unrolled: 1-line block ×13, first 2 shown]
	v_mov_b32_e32 v95, v33
	v_dual_mov_b32 v19, v20 :: v_dual_mov_b32 v20, v2
	v_mov_b32_e32 v143, v9
	v_dual_mov_b32 v63, v87 :: v_dual_mov_b32 v68, v92
	v_dual_mov_b32 v64, v88 :: v_dual_mov_b32 v75, v135
	;; [unrolled: 1-line block ×11, first 2 shown]
	v_mov_b32_e32 v70, v94
	v_dual_mov_b32 v66, v90 :: v_dual_mov_b32 v71, v95
	v_dual_mov_b32 v76, v136 :: v_dual_mov_b32 v77, v137
	;; [unrolled: 1-line block ×15, first 2 shown]
	v_mov_b32_e32 v110, v158
	v_dual_mov_b32 v1, v2 :: v_dual_mov_b32 v8, v7
	v_mov_b32_e32 v32, v31
.LBB129_39:
	s_or_b32 exec_lo, exec_lo, s2
	v_mov_b32_e32 v2, v21
	s_mov_b32 s2, exec_lo
	v_cmpx_lt_f32_e32 v1, v21
	s_cbranch_execz .LBB129_41
; %bb.40:
	v_mov_b32_e32 v58, v9
	v_mov_b32_e32 v106, v33
	v_dual_mov_b32 v146, v62 :: v_dual_mov_b32 v143, v59
	v_mov_b32_e32 v87, v99
	s_delay_alu instid0(VALU_DEP_3)
	v_dual_mov_b32 v141, v57 :: v_dual_mov_b32 v94, v106
	v_dual_mov_b32 v95, v107 :: v_dual_mov_b32 v140, v56
	;; [unrolled: 1-line block ×6, first 2 shown]
	v_mov_b32_e32 v95, v32
	v_dual_mov_b32 v143, v8 :: v_dual_mov_b32 v20, v21
	v_dual_mov_b32 v88, v100 :: v_dual_mov_b32 v89, v101
	;; [unrolled: 1-line block ×7, first 2 shown]
	s_delay_alu instid0(VALU_DEP_2)
	v_dual_mov_b32 v75, v135 :: v_dual_mov_b32 v76, v136
	v_dual_mov_b32 v122, v62 :: v_dual_mov_b32 v117, v57
	;; [unrolled: 1-line block ×25, first 2 shown]
	v_mov_b32_e32 v48, v108
	v_dual_mov_b32 v50, v110 :: v_dual_mov_b32 v9, v8
	v_dual_mov_b32 v2, v1 :: v_dual_mov_b32 v33, v32
.LBB129_41:
	s_or_b32 exec_lo, exec_lo, s2
	v_mov_b32_e32 v3, v22
	s_mov_b32 s2, exec_lo
	s_delay_alu instid0(VALU_DEP_2)
	v_cmpx_lt_f32_e32 v2, v22
	s_cbranch_execz .LBB129_43
; %bb.42:
	v_mov_b32_e32 v47, v34
	v_mov_b32_e32 v74, v50
	v_dual_mov_b32 v21, v22 :: v_dual_mov_b32 v72, v48
	v_dual_mov_b32 v72, v33 :: v_dual_mov_b32 v119, v10
	;; [unrolled: 1-line block ×3, first 2 shown]
	v_mov_b32_e32 v78, v114
	v_dual_mov_b32 v22, v2 :: v_dual_mov_b32 v73, v49
	v_dual_mov_b32 v81, v117 :: v_dual_mov_b32 v84, v120
	;; [unrolled: 1-line block ×7, first 2 shown]
	v_mov_b32_e32 v69, v45
	v_dual_mov_b32 v67, v43 :: v_dual_mov_b32 v66, v42
	v_dual_mov_b32 v65, v41 :: v_dual_mov_b32 v64, v40
	;; [unrolled: 1-line block ×18, first 2 shown]
	v_mov_b32_e32 v34, v33
.LBB129_43:
	s_or_b32 exec_lo, exec_lo, s2
	v_mov_b32_e32 v1, v23
	s_mov_b32 s2, exec_lo
	v_cmpx_lt_f32_e32 v3, v23
	s_cbranch_execz .LBB129_45
; %bb.44:
	v_dual_mov_b32 v144, v11 :: v_dual_mov_b32 v145, v10
	v_dual_mov_b32 v96, v35 :: v_dual_mov_b32 v97, v34
	v_mov_b32_e32 v146, v12
	v_mov_b32_e32 v22, v23
	v_dual_mov_b32 v23, v3 :: v_dual_mov_b32 v98, v36
	v_dual_mov_b32 v75, v135 :: v_dual_mov_b32 v84, v144
	;; [unrolled: 1-line block ×3, first 2 shown]
	v_mov_b32_e32 v79, v139
	v_dual_mov_b32 v77, v137 :: v_dual_mov_b32 v78, v138
	v_dual_mov_b32 v81, v141 :: v_dual_mov_b32 v80, v140
	;; [unrolled: 1-line block ×10, first 2 shown]
.LBB129_45:
	s_or_b32 exec_lo, exec_lo, s2
	s_delay_alu instid0(VALU_DEP_1)
	v_cmp_lt_f32_e32 vcc_lo, v1, v24
	v_mov_b32_e32 v42, v78
	v_cmp_lt_f32_e64 s2, v13, v14
	v_dual_mov_b32 v40, v76 :: v_dual_mov_b32 v41, v77
	v_dual_cndmask_b32 v12, v24, v1 :: v_dual_mov_b32 v43, v79
	v_dual_cndmask_b32 v23, v23, v24 :: v_dual_cndmask_b32 v50, v86, v85
	s_delay_alu instid0(VALU_DEP_2) | instskip(SKIP_2) | instid1(VALU_DEP_3)
	v_dual_mov_b32 v39, v75 :: v_dual_mov_b32 v24, v12
	v_dual_cndmask_b32 v49, v85, v86 :: v_dual_mov_b32 v44, v80
	v_dual_cndmask_b32 v61, v73, v74 :: v_dual_cndmask_b32 v62, v74, v73
	v_dual_mov_b32 v38, v24 :: v_dual_mov_b32 v35, v21
	v_dual_mov_b32 v37, v23 :: v_dual_mov_b32 v36, v22
	;; [unrolled: 1-line block ×13, first 2 shown]
	s_and_saveexec_b32 s3, s2
	s_delay_alu instid0(SALU_CYCLE_1)
	s_xor_b32 s2, exec_lo, s3
	s_cbranch_execz .LBB129_47
; %bb.46:
	v_dual_mov_b32 v1, v14 :: v_dual_mov_b32 v2, v13
	v_dual_mov_b32 v3, v15 :: v_dual_mov_b32 v4, v16
	;; [unrolled: 1-line block ×6, first 2 shown]
	s_delay_alu instid0(VALU_DEP_2) | instskip(NEXT) | instid1(VALU_DEP_2)
	v_dual_mov_b32 v38, v12 :: v_dual_mov_b32 v35, v9
	v_dual_mov_b32 v36, v10 :: v_dual_mov_b32 v37, v11
	;; [unrolled: 1-line block ×16, first 2 shown]
.LBB129_47:
	s_or_b32 exec_lo, exec_lo, s2
	v_dual_mov_b32 v13, v29 :: v_dual_mov_b32 v122, v50
	v_dual_mov_b32 v15, v39 :: v_dual_mov_b32 v16, v40
	;; [unrolled: 1-line block ×30, first 2 shown]
	v_mov_b32_e32 v135, v39
	s_clause 0x2
	scratch_store_b128 off, v[39:42], off offset:48
	scratch_store_b128 off, v[43:46], off offset:64
	;; [unrolled: 1-line block ×3, first 2 shown]
	v_dual_mov_b32 v1, v51 :: v_dual_mov_b32 v4, v54
	v_dual_mov_b32 v11, v61 :: v_dual_mov_b32 v74, v62
	;; [unrolled: 1-line block ×34, first 2 shown]
	v_mov_b32_e32 v159, v51
	s_mov_b32 s2, exec_lo
	v_dual_mov_b32 v73, v61 :: v_dual_mov_b32 v72, v60
	v_mov_b32_e32 v2, v52
	s_clause 0x2
	scratch_store_b128 off, v[51:54], off
	scratch_store_b128 off, v[55:58], off offset:16
	scratch_store_b128 off, v[59:62], off offset:32
	v_dual_mov_b32 v182, v50 :: v_dual_mov_b32 v181, v49
	v_dual_mov_b32 v180, v48 :: v_dual_mov_b32 v179, v47
	;; [unrolled: 1-line block ×6, first 2 shown]
	v_cmpx_lt_f32_e32 v14, v29
	s_cbranch_execz .LBB129_49
; %bb.48:
	v_dual_mov_b32 v170, v62 :: v_dual_mov_b32 v169, v61
	v_dual_mov_b32 v162, v54 :: v_dual_mov_b32 v161, v53
	;; [unrolled: 1-line block ×7, first 2 shown]
	s_clause 0x2
	scratch_store_b128 off, v[159:162], off
	scratch_store_b128 off, v[163:166], off offset:16
	scratch_store_b128 off, v[167:170], off offset:32
	v_dual_mov_b32 v182, v50 :: v_dual_mov_b32 v181, v49
	v_dual_mov_b32 v172, v40 :: v_dual_mov_b32 v171, v39
	;; [unrolled: 1-line block ×8, first 2 shown]
	s_delay_alu instid0(VALU_DEP_3)
	v_dual_mov_b32 v140, v176 :: v_dual_mov_b32 v141, v177
	v_dual_mov_b32 v138, v174 :: v_dual_mov_b32 v139, v175
	;; [unrolled: 1-line block ×3, first 2 shown]
	v_mov_b32_e32 v146, v182
	v_dual_mov_b32 v136, v172 :: v_dual_mov_b32 v137, v173
	v_mov_b32_e32 v138, v42
	v_dual_mov_b32 v142, v178 :: v_dual_mov_b32 v143, v179
	v_mov_b32_e32 v53, v52
	v_mov_b32_e32 v139, v43
	;; [unrolled: 1-line block ×3, first 2 shown]
	v_dual_mov_b32 v147, v159 :: v_dual_mov_b32 v148, v160
	v_mov_b32_e32 v151, v163
	v_dual_mov_b32 v149, v161 :: v_dual_mov_b32 v150, v162
	v_dual_mov_b32 v153, v165 :: v_dual_mov_b32 v152, v164
	;; [unrolled: 1-line block ×16, first 2 shown]
	v_mov_b32_e32 v122, v146
	v_dual_mov_b32 v114, v138 :: v_dual_mov_b32 v117, v141
	v_dual_mov_b32 v116, v140 :: v_dual_mov_b32 v119, v143
	;; [unrolled: 1-line block ×14, first 2 shown]
	v_mov_b32_e32 v82, v118
	v_dual_mov_b32 v76, v112 :: v_dual_mov_b32 v81, v117
	v_dual_mov_b32 v80, v116 :: v_dual_mov_b32 v85, v121
	;; [unrolled: 1-line block ×6, first 2 shown]
	v_mov_b32_e32 v81, v45
	v_dual_mov_b32 v65, v89 :: v_dual_mov_b32 v72, v96
	v_mov_b32_e32 v29, v14
	s_delay_alu instid0(VALU_DEP_3)
	v_dual_mov_b32 v110, v86 :: v_dual_mov_b32 v105, v81
	v_dual_mov_b32 v70, v94 :: v_dual_mov_b32 v73, v97
	;; [unrolled: 1-line block ×11, first 2 shown]
	v_mov_b32_e32 v106, v46
	s_clause 0x2
	scratch_store_b128 off, v[1:4], off offset:48
	scratch_store_b128 off, v[5:8], off offset:64
	;; [unrolled: 1-line block ×3, first 2 shown]
	v_dual_mov_b32 v100, v76 :: v_dual_mov_b32 v1, v63
	v_dual_mov_b32 v10, v72 :: v_dual_mov_b32 v3, v65
	;; [unrolled: 1-line block ×16, first 2 shown]
	v_mov_b32_e32 v26, v50
.LBB129_49:
	s_or_b32 exec_lo, exec_lo, s2
	v_mov_b32_e32 v14, v30
	s_mov_b32 s2, exec_lo
	v_cmpx_lt_f32_e32 v13, v30
	s_cbranch_execz .LBB129_51
; %bb.50:
	s_clause 0x2
	scratch_load_b128 v[1:4], off, off
	scratch_load_b128 v[5:8], off, off offset:16
	scratch_load_b128 v[9:12], off, off offset:32
	v_mov_b32_e32 v161, v54
	v_dual_mov_b32 v29, v30 :: v_dual_mov_b32 v30, v13
	v_mov_b32_e32 v54, v53
	s_waitcnt vmcnt(0)
	v_dual_mov_b32 v170, v12 :: v_dual_mov_b32 v169, v11
	v_mov_b32_e32 v162, v4
	v_dual_mov_b32 v162, v53 :: v_dual_mov_b32 v173, v42
	v_dual_mov_b32 v160, v2 :: v_dual_mov_b32 v135, v171
	;; [unrolled: 1-line block ×4, first 2 shown]
	v_mov_b32_e32 v165, v7
	s_delay_alu instid0(VALU_DEP_3)
	v_dual_mov_b32 v1, v159 :: v_dual_mov_b32 v2, v160
	v_dual_mov_b32 v136, v172 :: v_dual_mov_b32 v3, v161
	v_mov_b32_e32 v138, v174
	v_dual_mov_b32 v164, v6 :: v_dual_mov_b32 v163, v5
	s_clause 0x2
	scratch_store_b128 off, v[1:4], off
	scratch_store_b128 off, v[5:8], off offset:16
	scratch_store_b128 off, v[9:12], off offset:32
	v_dual_mov_b32 v137, v173 :: v_dual_mov_b32 v140, v176
	v_dual_mov_b32 v138, v41 :: v_dual_mov_b32 v147, v159
	;; [unrolled: 1-line block ×12, first 2 shown]
	v_mov_b32_e32 v139, v43
	v_dual_mov_b32 v123, v147 :: v_dual_mov_b32 v126, v150
	v_dual_mov_b32 v124, v148 :: v_dual_mov_b32 v111, v135
	;; [unrolled: 1-line block ×3, first 2 shown]
	s_delay_alu instid0(VALU_DEP_4)
	v_dual_mov_b32 v128, v152 :: v_dual_mov_b32 v115, v139
	v_dual_mov_b32 v116, v140 :: v_dual_mov_b32 v121, v145
	;; [unrolled: 1-line block ×6, first 2 shown]
	v_mov_b32_e32 v128, v56
	v_dual_mov_b32 v116, v44 :: v_dual_mov_b32 v87, v123
	v_dual_mov_b32 v113, v137 :: v_dual_mov_b32 v114, v138
	;; [unrolled: 1-line block ×17, first 2 shown]
	v_mov_b32_e32 v81, v45
	v_dual_mov_b32 v7, v141 :: v_dual_mov_b32 v8, v142
	v_dual_mov_b32 v9, v143 :: v_dual_mov_b32 v10, v144
	;; [unrolled: 1-line block ×5, first 2 shown]
	v_mov_b32_e32 v64, v88
	v_dual_mov_b32 v110, v86 :: v_dual_mov_b32 v109, v85
	v_dual_mov_b32 v65, v89 :: v_dual_mov_b32 v68, v92
	;; [unrolled: 1-line block ×10, first 2 shown]
	v_mov_b32_e32 v102, v78
	v_dual_mov_b32 v42, v41 :: v_dual_mov_b32 v103, v79
	v_mov_b32_e32 v100, v76
	v_mov_b32_e32 v106, v46
	s_clause 0x2
	scratch_store_b128 off, v[1:4], off offset:48
	scratch_store_b128 off, v[5:8], off offset:64
	scratch_store_b128 off, v[9:12], off offset:80
	v_mov_b32_e32 v1, v63
	v_mov_b32_e32 v5, v67
	v_dual_mov_b32 v3, v65 :: v_dual_mov_b32 v12, v74
	v_dual_mov_b32 v15, v99 :: v_dual_mov_b32 v4, v66
	;; [unrolled: 1-line block ×14, first 2 shown]
	v_mov_b32_e32 v24, v48
	v_mov_b32_e32 v26, v50
.LBB129_51:
	s_or_b32 exec_lo, exec_lo, s2
	v_mov_b32_e32 v13, v31
	s_mov_b32 s2, exec_lo
	v_cmpx_lt_f32_e32 v14, v31
	s_cbranch_execz .LBB129_53
; %bb.52:
	s_clause 0x2
	scratch_load_b128 v[1:4], off, off
	scratch_load_b128 v[5:8], off, off offset:16
	scratch_load_b128 v[9:12], off, off offset:32
	v_dual_mov_b32 v30, v31 :: v_dual_mov_b32 v31, v14
	v_dual_mov_b32 v13, v14 :: v_dual_mov_b32 v162, v55
	v_mov_b32_e32 v55, v54
	s_waitcnt vmcnt(2)
	v_dual_mov_b32 v161, v3 :: v_dual_mov_b32 v160, v2
	s_waitcnt vmcnt(0)
	v_dual_mov_b32 v159, v1 :: v_dual_mov_b32 v170, v12
	v_dual_mov_b32 v169, v11 :: v_dual_mov_b32 v168, v10
	;; [unrolled: 1-line block ×8, first 2 shown]
	s_delay_alu instid0(VALU_DEP_4)
	v_dual_mov_b32 v151, v163 :: v_dual_mov_b32 v156, v168
	v_dual_mov_b32 v157, v169 :: v_dual_mov_b32 v136, v172
	;; [unrolled: 1-line block ×8, first 2 shown]
	v_mov_b32_e32 v145, v181
	v_mov_b32_e32 v139, v42
	;; [unrolled: 1-line block ×3, first 2 shown]
	v_dual_mov_b32 v146, v182 :: v_dual_mov_b32 v123, v147
	v_dual_mov_b32 v111, v135 :: v_dual_mov_b32 v112, v136
	;; [unrolled: 1-line block ×3, first 2 shown]
	s_delay_alu instid0(VALU_DEP_4)
	v_dual_mov_b32 v124, v148 :: v_dual_mov_b32 v127, v151
	v_dual_mov_b32 v128, v152 :: v_dual_mov_b32 v131, v155
	;; [unrolled: 1-line block ×9, first 2 shown]
	v_mov_b32_e32 v120, v144
	v_dual_mov_b32 v116, v44 :: v_dual_mov_b32 v87, v123
	v_mov_b32_e32 v114, v138
	v_dual_mov_b32 v98, v134 :: v_dual_mov_b32 v75, v111
	v_dual_mov_b32 v88, v124 :: v_dual_mov_b32 v89, v125
	;; [unrolled: 1-line block ×3, first 2 shown]
	v_mov_b32_e32 v86, v122
	v_dual_mov_b32 v90, v126 :: v_dual_mov_b32 v91, v127
	v_dual_mov_b32 v92, v128 :: v_dual_mov_b32 v93, v129
	;; [unrolled: 1-line block ×8, first 2 shown]
	v_mov_b32_e32 v79, v115
	v_mov_b32_e32 v81, v45
	v_dual_mov_b32 v63, v87 :: v_dual_mov_b32 v66, v90
	v_dual_mov_b32 v64, v88 :: v_dual_mov_b32 v73, v97
	;; [unrolled: 1-line block ×9, first 2 shown]
	v_mov_b32_e32 v108, v84
	v_dual_mov_b32 v106, v46 :: v_dual_mov_b32 v1, v63
	v_dual_mov_b32 v105, v81 :: v_dual_mov_b32 v104, v80
	;; [unrolled: 1-line block ×19, first 2 shown]
	v_mov_b32_e32 v26, v50
	v_mov_b32_e32 v43, v42
	s_clause 0x2
	scratch_store_b128 off, v[171:174], off offset:48
	scratch_store_b128 off, v[175:178], off offset:64
	;; [unrolled: 1-line block ×3, first 2 shown]
.LBB129_53:
	s_or_b32 exec_lo, exec_lo, s2
	v_mov_b32_e32 v14, v32
	s_mov_b32 s2, exec_lo
	v_cmpx_lt_f32_e32 v13, v32
	s_cbranch_execz .LBB129_55
; %bb.54:
	s_clause 0x2
	scratch_load_b128 v[1:4], off, off offset:48
	scratch_load_b128 v[5:8], off, off offset:64
	;; [unrolled: 1-line block ×3, first 2 shown]
	v_dual_mov_b32 v163, v56 :: v_dual_mov_b32 v14, v13
	v_dual_mov_b32 v56, v55 :: v_dual_mov_b32 v31, v32
	s_waitcnt vmcnt(2)
	v_dual_mov_b32 v138, v4 :: v_dual_mov_b32 v137, v3
	s_waitcnt vmcnt(0)
	v_dual_mov_b32 v146, v12 :: v_dual_mov_b32 v145, v11
	v_dual_mov_b32 v136, v2 :: v_dual_mov_b32 v135, v1
	;; [unrolled: 1-line block ×17, first 2 shown]
	v_mov_b32_e32 v120, v144
	v_mov_b32_e32 v116, v43
	v_dual_mov_b32 v87, v123 :: v_dual_mov_b32 v88, v124
	v_dual_mov_b32 v89, v125 :: v_dual_mov_b32 v98, v134
	;; [unrolled: 1-line block ×12, first 2 shown]
	v_mov_b32_e32 v79, v115
	v_mov_b32_e32 v81, v45
	v_dual_mov_b32 v63, v87 :: v_dual_mov_b32 v66, v90
	v_dual_mov_b32 v64, v88 :: v_dual_mov_b32 v73, v97
	;; [unrolled: 1-line block ×8, first 2 shown]
	v_mov_b32_e32 v70, v58
	v_dual_mov_b32 v106, v46 :: v_dual_mov_b32 v65, v89
	v_dual_mov_b32 v68, v92 :: v_dual_mov_b32 v105, v81
	;; [unrolled: 1-line block ×4, first 2 shown]
	v_mov_b32_e32 v100, v76
	v_dual_mov_b32 v32, v13 :: v_dual_mov_b32 v1, v63
	v_dual_mov_b32 v12, v74 :: v_dual_mov_b32 v15, v99
	v_mov_b32_e32 v26, v110
	v_dual_mov_b32 v8, v70 :: v_dual_mov_b32 v9, v71
	v_dual_mov_b32 v10, v72 :: v_dual_mov_b32 v11, v73
	;; [unrolled: 1-line block ×20, first 2 shown]
	v_mov_b32_e32 v44, v43
.LBB129_55:
	s_or_b32 exec_lo, exec_lo, s2
	v_mov_b32_e32 v13, v33
	s_mov_b32 s2, exec_lo
	v_cmpx_lt_f32_e32 v14, v33
	s_cbranch_execz .LBB129_57
; %bb.56:
	v_mov_b32_e32 v140, v45
	v_dual_mov_b32 v152, v57 :: v_dual_mov_b32 v75, v135
	v_dual_mov_b32 v87, v147 :: v_dual_mov_b32 v90, v150
	;; [unrolled: 1-line block ×3, first 2 shown]
	s_delay_alu instid0(VALU_DEP_3)
	v_dual_mov_b32 v92, v152 :: v_dual_mov_b32 v93, v153
	v_dual_mov_b32 v76, v136 :: v_dual_mov_b32 v79, v139
	;; [unrolled: 1-line block ×6, first 2 shown]
	v_mov_b32_e32 v93, v56
	v_dual_mov_b32 v84, v144 :: v_dual_mov_b32 v63, v87
	v_dual_mov_b32 v78, v138 :: v_dual_mov_b32 v81, v141
	;; [unrolled: 1-line block ×5, first 2 shown]
	s_delay_alu instid0(VALU_DEP_3) | instskip(SKIP_1) | instid1(VALU_DEP_4)
	v_dual_mov_b32 v110, v86 :: v_dual_mov_b32 v109, v85
	v_dual_mov_b32 v100, v76 :: v_dual_mov_b32 v99, v75
	;; [unrolled: 1-line block ×11, first 2 shown]
	v_mov_b32_e32 v106, v46
	v_dual_mov_b32 v70, v58 :: v_dual_mov_b32 v15, v99
	v_dual_mov_b32 v1, v63 :: v_dual_mov_b32 v24, v108
	;; [unrolled: 1-line block ×3, first 2 shown]
	s_delay_alu instid0(VALU_DEP_3)
	v_dual_mov_b32 v8, v70 :: v_dual_mov_b32 v9, v71
	v_dual_mov_b32 v10, v72 :: v_dual_mov_b32 v11, v73
	;; [unrolled: 1-line block ×26, first 2 shown]
	v_mov_b32_e32 v13, v14
	v_dual_mov_b32 v134, v158 :: v_dual_mov_b32 v45, v44
	v_mov_b32_e32 v57, v56
.LBB129_57:
	s_or_b32 exec_lo, exec_lo, s2
	v_mov_b32_e32 v14, v34
	s_mov_b32 s2, exec_lo
	v_cmpx_lt_f32_e32 v13, v34
	s_cbranch_execz .LBB129_59
; %bb.58:
	v_mov_b32_e32 v129, v58
	v_dual_mov_b32 v63, v123 :: v_dual_mov_b32 v70, v130
	v_dual_mov_b32 v70, v57 :: v_dual_mov_b32 v71, v131
	v_dual_mov_b32 v117, v46 :: v_dual_mov_b32 v64, v124
	v_dual_mov_b32 v99, v111 :: v_dual_mov_b32 v102, v114
	v_dual_mov_b32 v65, v125 :: v_dual_mov_b32 v68, v128
	v_dual_mov_b32 v66, v126 :: v_dual_mov_b32 v67, v127
	v_dual_mov_b32 v72, v132 :: v_dual_mov_b32 v69, v129
	v_dual_mov_b32 v74, v134 :: v_dual_mov_b32 v73, v133
	v_dual_mov_b32 v100, v112 :: v_dual_mov_b32 v103, v115
	v_dual_mov_b32 v106, v118 :: v_dual_mov_b32 v105, v117
	v_dual_mov_b32 v108, v120 :: v_dual_mov_b32 v107, v119
	v_dual_mov_b32 v110, v122 :: v_dual_mov_b32 v109, v121
	v_dual_mov_b32 v101, v113 :: v_dual_mov_b32 v104, v116
	v_dual_mov_b32 v106, v45 :: v_dual_mov_b32 v1, v63
	v_dual_mov_b32 v2, v64 :: v_dual_mov_b32 v15, v99
	v_dual_mov_b32 v16, v100 :: v_dual_mov_b32 v9, v71
	v_dual_mov_b32 v10, v72 :: v_dual_mov_b32 v11, v73
	v_dual_mov_b32 v12, v74 :: v_dual_mov_b32 v23, v107
	v_dual_mov_b32 v24, v108 :: v_dual_mov_b32 v25, v109
	v_dual_mov_b32 v26, v110 :: v_dual_mov_b32 v75, v111
	v_dual_mov_b32 v76, v112 :: v_dual_mov_b32 v87, v123
	v_dual_mov_b32 v88, v124 :: v_dual_mov_b32 v33, v34
	v_mov_b32_e32 v34, v13
	v_dual_mov_b32 v3, v65 :: v_dual_mov_b32 v4, v66
	v_dual_mov_b32 v5, v67 :: v_dual_mov_b32 v6, v68
	;; [unrolled: 1-line block ×20, first 2 shown]
	v_mov_b32_e32 v14, v13
	v_mov_b32_e32 v46, v45
	;; [unrolled: 1-line block ×3, first 2 shown]
.LBB129_59:
	s_or_b32 exec_lo, exec_lo, s2
	v_mov_b32_e32 v13, v35
	s_mov_b32 s2, exec_lo
	v_cmpx_lt_f32_e32 v14, v35
	s_cbranch_execz .LBB129_61
; %bb.60:
	v_mov_b32_e32 v94, v59
	v_dual_mov_b32 v34, v35 :: v_dual_mov_b32 v35, v14
	v_mov_b32_e32 v82, v47
	v_dual_mov_b32 v1, v87 :: v_dual_mov_b32 v2, v88
	v_dual_mov_b32 v10, v96 :: v_dual_mov_b32 v7, v93
	;; [unrolled: 1-line block ×13, first 2 shown]
	v_mov_b32_e32 v5, v91
	v_mov_b32_e32 v9, v58
	v_dual_mov_b32 v12, v62 :: v_dual_mov_b32 v17, v77
	v_dual_mov_b32 v16, v76 :: v_dual_mov_b32 v19, v79
	;; [unrolled: 1-line block ×14, first 2 shown]
	v_mov_b32_e32 v47, v46
	v_mov_b32_e32 v59, v58
	;; [unrolled: 1-line block ×3, first 2 shown]
.LBB129_61:
	s_or_b32 exec_lo, exec_lo, s2
	v_mov_b32_e32 v39, v36
	s_mov_b32 s2, exec_lo
	v_cmpx_lt_f32_e32 v13, v36
	s_cbranch_execz .LBB129_63
; %bb.62:
	v_dual_mov_b32 v71, v60 :: v_dual_mov_b32 v72, v59
	v_dual_mov_b32 v73, v61 :: v_dual_mov_b32 v108, v47
	;; [unrolled: 1-line block ×17, first 2 shown]
	v_mov_b32_e32 v39, v13
.LBB129_63:
	s_or_b32 exec_lo, exec_lo, s2
	s_delay_alu instid0(VALU_DEP_1)
	v_cmp_lt_f32_e32 vcc_lo, v39, v37
	v_dual_mov_b32 v40, v28 :: v_dual_mov_b32 v43, v31
	v_dual_mov_b32 v42, v30 :: v_dual_mov_b32 v45, v33
	v_dual_cndmask_b32 v13, v25, v24 :: v_dual_cndmask_b32 v24, v24, v25
	v_dual_cndmask_b32 v14, v11, v10 :: v_dual_cndmask_b32 v49, v37, v39
	v_dual_cndmask_b32 v10, v10, v11 :: v_dual_mov_b32 v39, v27
	v_dual_cndmask_b32 v48, v36, v37 :: v_dual_mov_b32 v41, v29
	v_dual_mov_b32 v44, v32 :: v_dual_mov_b32 v47, v35
	v_mov_b32_e32 v46, v34
	v_mov_b32_e32 v50, v38
	s_mov_b32 s2, exec_lo
	v_cmpx_lt_f32_e32 v27, v28
	s_cbranch_execz .LBB129_65
; %bb.64:
	v_dual_mov_b32 v28, v40 :: v_dual_mov_b32 v29, v39
	v_dual_mov_b32 v38, v49 :: v_dual_mov_b32 v39, v50
	;; [unrolled: 1-line block ×7, first 2 shown]
	v_mov_b32_e32 v11, v15
	v_swap_b32 v15, v16
	s_delay_alu instid0(VALU_DEP_4)
	v_mov_b32_e32 v48, v37
	v_swap_b32 v1, v2
	v_dual_mov_b32 v49, v38 :: v_dual_mov_b32 v46, v35
	v_dual_mov_b32 v47, v36 :: v_dual_mov_b32 v44, v33
	;; [unrolled: 1-line block ×4, first 2 shown]
	v_mov_b32_e32 v41, v30
	v_dual_mov_b32 v39, v28 :: v_dual_mov_b32 v28, v27
.LBB129_65:
	s_or_b32 exec_lo, exec_lo, s2
	v_mov_b32_e32 v11, v14
	v_dual_mov_b32 v25, v13 :: v_dual_mov_b32 v62, v12
	v_dual_mov_b32 v74, v26 :: v_dual_mov_b32 v63, v15
	v_mov_b32_e32 v86, v26
	v_dual_mov_b32 v72, v24 :: v_dual_mov_b32 v75, v15
	v_dual_mov_b32 v110, v26 :: v_dual_mov_b32 v53, v3
	;; [unrolled: 1-line block ×61, first 2 shown]
	v_mov_b32_e32 v149, v3
	v_mov_b32_e32 v147, v1
	;; [unrolled: 1-line block ×3, first 2 shown]
	s_mov_b32 s2, exec_lo
	v_dual_mov_b32 v85, v25 :: v_dual_mov_b32 v84, v24
	v_dual_mov_b32 v83, v23 :: v_dual_mov_b32 v82, v22
	s_clause 0x2
	scratch_store_b128 off, v[1:4], off
	scratch_store_b128 off, v[5:8], off offset:16
	scratch_store_b128 off, v[9:12], off offset:32
	v_cmpx_lt_f32_e32 v28, v41
	s_cbranch_execz .LBB129_67
; %bb.66:
	v_dual_mov_b32 v158, v12 :: v_dual_mov_b32 v157, v11
	v_dual_mov_b32 v150, v4 :: v_dual_mov_b32 v149, v3
	v_dual_mov_b32 v148, v2 :: v_dual_mov_b32 v147, v1
	v_dual_mov_b32 v156, v10 :: v_dual_mov_b32 v155, v9
	v_dual_mov_b32 v154, v8 :: v_dual_mov_b32 v153, v7
	v_dual_mov_b32 v152, v6 :: v_dual_mov_b32 v151, v5
	v_dual_mov_b32 v148, v3 :: v_dual_mov_b32 v149, v2
	s_clause 0x2
	scratch_store_b128 off, v[147:150], off
	scratch_store_b128 off, v[151:154], off offset:16
	scratch_store_b128 off, v[155:158], off offset:32
	v_dual_mov_b32 v182, v26 :: v_dual_mov_b32 v181, v25
	v_dual_mov_b32 v172, v16 :: v_dual_mov_b32 v171, v15
	;; [unrolled: 1-line block ×8, first 2 shown]
	s_delay_alu instid0(VALU_DEP_4) | instskip(SKIP_1) | instid1(VALU_DEP_4)
	v_dual_mov_b32 v160, v172 :: v_dual_mov_b32 v161, v173
	v_dual_mov_b32 v162, v174 :: v_dual_mov_b32 v163, v175
	v_dual_mov_b32 v164, v176 :: v_dual_mov_b32 v165, v177
	v_dual_mov_b32 v168, v180 :: v_dual_mov_b32 v169, v181
	v_mov_b32_e32 v170, v182
	v_dual_mov_b32 v166, v178 :: v_dual_mov_b32 v167, v179
	v_mov_b32_e32 v162, v18
	v_dual_mov_b32 v40, v41 :: v_dual_mov_b32 v41, v28
	v_mov_b32_e32 v3, v2
	v_mov_b32_e32 v17, v16
	;; [unrolled: 1-line block ×3, first 2 shown]
	v_dual_mov_b32 v137, v149 :: v_dual_mov_b32 v144, v156
	v_dual_mov_b32 v123, v159 :: v_dual_mov_b32 v136, v148
	v_dual_mov_b32 v139, v151 :: v_dual_mov_b32 v124, v160
	v_dual_mov_b32 v127, v163 :: v_dual_mov_b32 v140, v152
	v_dual_mov_b32 v143, v155 :: v_dual_mov_b32 v128, v164
	v_dual_mov_b32 v131, v167 :: v_dual_mov_b32 v132, v168
	v_dual_mov_b32 v139, v5 :: v_dual_mov_b32 v134, v170
	v_dual_mov_b32 v127, v19 :: v_dual_mov_b32 v138, v150
	v_dual_mov_b32 v141, v153 :: v_dual_mov_b32 v142, v154
	v_dual_mov_b32 v145, v157 :: v_dual_mov_b32 v146, v158
	v_dual_mov_b32 v125, v161 :: v_dual_mov_b32 v126, v162
	v_dual_mov_b32 v129, v165 :: v_dual_mov_b32 v130, v166
	v_mov_b32_e32 v133, v169
	v_dual_mov_b32 v111, v135 :: v_dual_mov_b32 v112, v136
	v_dual_mov_b32 v99, v123 :: v_dual_mov_b32 v100, v124
	;; [unrolled: 1-line block ×12, first 2 shown]
	v_mov_b32_e32 v104, v20
	v_dual_mov_b32 v116, v6 :: v_dual_mov_b32 v75, v99
	v_mov_b32_e32 v87, v111
	v_dual_mov_b32 v93, v117 :: v_dual_mov_b32 v78, v102
	s_delay_alu instid0(VALU_DEP_3)
	v_dual_mov_b32 v81, v105 :: v_dual_mov_b32 v92, v116
	v_dual_mov_b32 v90, v114 :: v_dual_mov_b32 v91, v115
	;; [unrolled: 1-line block ×11, first 2 shown]
	v_mov_b32_e32 v51, v87
	v_dual_mov_b32 v63, v75 :: v_dual_mov_b32 v66, v78
	v_dual_mov_b32 v55, v91 :: v_dual_mov_b32 v58, v94
	;; [unrolled: 1-line block ×13, first 2 shown]
	v_mov_b32_e32 v60, v10
	v_dual_mov_b32 v61, v14 :: v_dual_mov_b32 v62, v12
	v_dual_mov_b32 v70, v22 :: v_dual_mov_b32 v71, v23
	;; [unrolled: 1-line block ×3, first 2 shown]
	v_mov_b32_e32 v74, v26
.LBB129_67:
	s_or_b32 exec_lo, exec_lo, s2
	v_mov_b32_e32 v1, v42
	v_cmp_lt_f32_e32 vcc_lo, v11, v42
	s_mov_b32 s2, exec_lo
	s_clause 0x2
	scratch_load_b128 v[27:30], off, off
	scratch_load_b128 v[31:34], off, off offset:16
	scratch_load_b128 v[35:38], off, off offset:32
	s_and_b32 s3, s2, vcc_lo
	s_delay_alu instid0(SALU_CYCLE_1)
	s_mov_b32 exec_lo, s3
	s_cbranch_execz .LBB129_69
; %bb.68:
	v_mov_b32_e32 v173, v18
	s_waitcnt vmcnt(2)
	v_mov_b32_e32 v29, v4
	v_dual_mov_b32 v159, v171 :: v_dual_mov_b32 v162, v174
	s_waitcnt vmcnt(0)
	v_dual_mov_b32 v158, v38 :: v_dual_mov_b32 v157, v37
	v_dual_mov_b32 v156, v36 :: v_dual_mov_b32 v147, v27
	v_dual_mov_b32 v160, v172 :: v_dual_mov_b32 v153, v33
	v_dual_mov_b32 v152, v32 :: v_dual_mov_b32 v151, v31
	v_dual_mov_b32 v150, v30 :: v_dual_mov_b32 v149, v29
	v_dual_mov_b32 v148, v28 :: v_dual_mov_b32 v163, v175
	v_mov_b32_e32 v168, v180
	v_dual_mov_b32 v164, v176 :: v_dual_mov_b32 v165, v177
	v_dual_mov_b32 v170, v182 :: v_dual_mov_b32 v155, v35
	;; [unrolled: 1-line block ×4, first 2 shown]
	v_mov_b32_e32 v162, v17
	v_dual_mov_b32 v169, v181 :: v_dual_mov_b32 v150, v3
	v_dual_mov_b32 v123, v159 :: v_dual_mov_b32 v124, v160
	;; [unrolled: 1-line block ×3, first 2 shown]
	s_delay_alu instid0(VALU_DEP_3)
	v_dual_mov_b32 v137, v149 :: v_dual_mov_b32 v138, v150
	v_dual_mov_b32 v139, v151 :: v_dual_mov_b32 v140, v152
	;; [unrolled: 1-line block ×10, first 2 shown]
	v_mov_b32_e32 v127, v19
	v_mov_b32_e32 v139, v5
	v_dual_mov_b32 v99, v123 :: v_dual_mov_b32 v100, v124
	v_dual_mov_b32 v111, v135 :: v_dual_mov_b32 v114, v138
	;; [unrolled: 1-line block ×4, first 2 shown]
	v_mov_b32_e32 v120, v144
	v_dual_mov_b32 v104, v128 :: v_dual_mov_b32 v105, v129
	v_dual_mov_b32 v110, v134 :: v_dual_mov_b32 v115, v139
	;; [unrolled: 1-line block ×22, first 2 shown]
	v_mov_b32_e32 v93, v7
	v_dual_mov_b32 v63, v75 :: v_dual_mov_b32 v68, v80
	v_dual_mov_b32 v64, v76 :: v_dual_mov_b32 v51, v87
	;; [unrolled: 1-line block ×3, first 2 shown]
	s_delay_alu instid0(VALU_DEP_4)
	v_dual_mov_b32 v58, v94 :: v_dual_mov_b32 v57, v93
	v_dual_mov_b32 v60, v96 :: v_dual_mov_b32 v59, v95
	;; [unrolled: 1-line block ×8, first 2 shown]
	v_mov_b32_e32 v60, v10
	v_dual_mov_b32 v52, v88 :: v_dual_mov_b32 v53, v89
	v_dual_mov_b32 v56, v92 :: v_dual_mov_b32 v59, v9
	;; [unrolled: 1-line block ×3, first 2 shown]
	v_mov_b32_e32 v72, v24
	v_dual_mov_b32 v70, v22 :: v_dual_mov_b32 v71, v23
	v_dual_mov_b32 v73, v13 :: v_dual_mov_b32 v74, v26
	;; [unrolled: 1-line block ×3, first 2 shown]
	v_mov_b32_e32 v4, v3
.LBB129_69:
	s_or_b32 exec_lo, exec_lo, s2
	v_mov_b32_e32 v2, v43
	s_mov_b32 s2, exec_lo
	v_cmpx_lt_f32_e32 v1, v43
	s_cbranch_execz .LBB129_71
; %bb.70:
	v_mov_b32_e32 v174, v19
	s_waitcnt vmcnt(2)
	v_dual_mov_b32 v30, v5 :: v_dual_mov_b32 v123, v171
	s_waitcnt vmcnt(0)
	v_dual_mov_b32 v146, v38 :: v_dual_mov_b32 v143, v35
	v_dual_mov_b32 v145, v37 :: v_dual_mov_b32 v142, v34
	s_delay_alu instid0(VALU_DEP_3)
	v_dual_mov_b32 v139, v31 :: v_dual_mov_b32 v138, v30
	v_dual_mov_b32 v135, v27 :: v_dual_mov_b32 v124, v172
	;; [unrolled: 1-line block ×5, first 2 shown]
	v_mov_b32_e32 v127, v18
	v_dual_mov_b32 v134, v182 :: v_dual_mov_b32 v139, v4
	v_dual_mov_b32 v144, v36 :: v_dual_mov_b32 v141, v33
	;; [unrolled: 1-line block ×5, first 2 shown]
	s_delay_alu instid0(VALU_DEP_3)
	v_dual_mov_b32 v111, v135 :: v_dual_mov_b32 v112, v136
	v_dual_mov_b32 v99, v123 :: v_dual_mov_b32 v100, v124
	v_dual_mov_b32 v115, v139 :: v_dual_mov_b32 v116, v140
	v_dual_mov_b32 v103, v127 :: v_dual_mov_b32 v104, v128
	v_dual_mov_b32 v113, v137 :: v_dual_mov_b32 v114, v138
	v_dual_mov_b32 v117, v141 :: v_dual_mov_b32 v118, v142
	v_dual_mov_b32 v119, v143 :: v_dual_mov_b32 v120, v144
	v_dual_mov_b32 v121, v145 :: v_dual_mov_b32 v122, v146
	v_dual_mov_b32 v101, v125 :: v_dual_mov_b32 v102, v126
	v_dual_mov_b32 v105, v129 :: v_dual_mov_b32 v106, v130
	v_dual_mov_b32 v107, v131 :: v_dual_mov_b32 v108, v132
	v_dual_mov_b32 v109, v133 :: v_dual_mov_b32 v110, v134
	v_mov_b32_e32 v104, v20
	v_dual_mov_b32 v116, v6 :: v_dual_mov_b32 v75, v99
	v_mov_b32_e32 v87, v111
	v_dual_mov_b32 v93, v117 :: v_dual_mov_b32 v78, v102
	s_delay_alu instid0(VALU_DEP_3)
	v_dual_mov_b32 v81, v105 :: v_dual_mov_b32 v92, v116
	v_dual_mov_b32 v80, v104 :: v_dual_mov_b32 v83, v107
	;; [unrolled: 1-line block ×11, first 2 shown]
	v_mov_b32_e32 v63, v75
	s_delay_alu instid0(VALU_DEP_4)
	v_dual_mov_b32 v51, v87 :: v_dual_mov_b32 v52, v88
	v_dual_mov_b32 v71, v83 :: v_dual_mov_b32 v72, v84
	;; [unrolled: 1-line block ×14, first 2 shown]
	v_mov_b32_e32 v68, v80
	v_dual_mov_b32 v58, v8 :: v_dual_mov_b32 v59, v9
	v_dual_mov_b32 v60, v10 :: v_dual_mov_b32 v71, v23
	v_dual_mov_b32 v61, v14 :: v_dual_mov_b32 v62, v12
	v_dual_mov_b32 v70, v22 :: v_dual_mov_b32 v73, v13
	v_dual_mov_b32 v74, v26 :: v_dual_mov_b32 v161, v173
	v_dual_mov_b32 v160, v172 :: v_dual_mov_b32 v163, v175
	v_dual_mov_b32 v162, v174 :: v_dual_mov_b32 v165, v177
	v_dual_mov_b32 v164, v176 :: v_dual_mov_b32 v167, v179
	v_dual_mov_b32 v166, v178 :: v_dual_mov_b32 v169, v181
	v_dual_mov_b32 v168, v180 :: v_dual_mov_b32 v157, v37
	v_dual_mov_b32 v170, v182 :: v_dual_mov_b32 v155, v35
	v_dual_mov_b32 v156, v36 :: v_dual_mov_b32 v151, v31
	v_dual_mov_b32 v154, v34 :: v_dual_mov_b32 v149, v29
	v_dual_mov_b32 v152, v32 :: v_dual_mov_b32 v147, v27
	v_dual_mov_b32 v150, v30 :: v_dual_mov_b32 v5, v4
	v_dual_mov_b32 v148, v28 :: v_dual_mov_b32 v19, v18
	v_mov_b32_e32 v2, v1
.LBB129_71:
	s_or_b32 exec_lo, exec_lo, s2
	v_mov_b32_e32 v1, v44
	s_mov_b32 s2, exec_lo
	s_delay_alu instid0(VALU_DEP_2)
	v_cmpx_lt_f32_e32 v2, v44
	s_cbranch_execz .LBB129_73
; %bb.72:
	v_mov_b32_e32 v163, v20
	v_mov_b32_e32 v151, v6
	v_dual_mov_b32 v99, v159 :: v_dual_mov_b32 v100, v160
	v_dual_mov_b32 v111, v147 :: v_dual_mov_b32 v112, v148
	;; [unrolled: 1-line block ×10, first 2 shown]
	v_mov_b32_e32 v108, v168
	v_dual_mov_b32 v104, v164 :: v_dual_mov_b32 v107, v167
	v_mov_b32_e32 v116, v5
	v_dual_mov_b32 v109, v169 :: v_dual_mov_b32 v104, v19
	v_dual_mov_b32 v87, v111 :: v_dual_mov_b32 v88, v112
	v_dual_mov_b32 v75, v99 :: v_dual_mov_b32 v76, v100
	v_dual_mov_b32 v93, v117 :: v_dual_mov_b32 v94, v118
	v_dual_mov_b32 v81, v105 :: v_dual_mov_b32 v82, v106
	v_dual_mov_b32 v89, v113 :: v_dual_mov_b32 v90, v114
	v_dual_mov_b32 v91, v115 :: v_dual_mov_b32 v92, v116
	v_dual_mov_b32 v95, v119 :: v_dual_mov_b32 v96, v120
	v_dual_mov_b32 v97, v121 :: v_dual_mov_b32 v98, v122
	v_dual_mov_b32 v77, v101 :: v_dual_mov_b32 v78, v102
	v_dual_mov_b32 v79, v103 :: v_dual_mov_b32 v80, v104
	v_dual_mov_b32 v83, v107 :: v_dual_mov_b32 v84, v108
	v_dual_mov_b32 v85, v109 :: v_dual_mov_b32 v86, v110
	v_mov_b32_e32 v93, v7
	v_dual_mov_b32 v43, v44 :: v_dual_mov_b32 v44, v2
	v_mov_b32_e32 v81, v21
	v_dual_mov_b32 v51, v87 :: v_dual_mov_b32 v56, v92
	v_dual_mov_b32 v52, v88 :: v_dual_mov_b32 v63, v75
	;; [unrolled: 1-line block ×14, first 2 shown]
	v_mov_b32_e32 v136, v148
	v_dual_mov_b32 v54, v90 :: v_dual_mov_b32 v59, v9
	v_dual_mov_b32 v62, v12 :: v_dual_mov_b32 v61, v14
	v_mov_b32_e32 v72, v24
	v_dual_mov_b32 v70, v22 :: v_dual_mov_b32 v71, v23
	v_dual_mov_b32 v73, v13 :: v_dual_mov_b32 v74, v26
	;; [unrolled: 1-line block ×13, first 2 shown]
	v_mov_b32_e32 v6, v5
.LBB129_73:
	s_or_b32 exec_lo, exec_lo, s2
	v_mov_b32_e32 v2, v45
	s_mov_b32 s2, exec_lo
	v_cmpx_lt_f32_e32 v1, v45
	s_cbranch_execz .LBB129_75
; %bb.74:
	v_mov_b32_e32 v140, v7
	v_dual_mov_b32 v128, v21 :: v_dual_mov_b32 v87, v135
	v_mov_b32_e32 v93, v141
	v_mov_b32_e32 v93, v6
	;; [unrolled: 1-line block ×3, first 2 shown]
	v_dual_mov_b32 v92, v140 :: v_dual_mov_b32 v95, v143
	v_dual_mov_b32 v96, v144 :: v_dual_mov_b32 v97, v145
	;; [unrolled: 1-line block ×42, first 2 shown]
	v_mov_b32_e32 v2, v1
.LBB129_75:
	s_or_b32 exec_lo, exec_lo, s2
	v_mov_b32_e32 v1, v46
	s_mov_b32 s2, exec_lo
	s_delay_alu instid0(VALU_DEP_2)
	v_cmpx_lt_f32_e32 v2, v46
	s_cbranch_execz .LBB129_77
; %bb.76:
	v_mov_b32_e32 v117, v8
	v_mov_b32_e32 v45, v46
	;; [unrolled: 1-line block ×4, first 2 shown]
	v_dual_mov_b32 v51, v111 :: v_dual_mov_b32 v54, v114
	v_dual_mov_b32 v56, v116 :: v_dual_mov_b32 v63, v99
	v_dual_mov_b32 v66, v102 :: v_dual_mov_b32 v53, v113
	v_dual_mov_b32 v58, v118 :: v_dual_mov_b32 v55, v115
	v_dual_mov_b32 v60, v120 :: v_dual_mov_b32 v57, v117
	v_dual_mov_b32 v62, v122 :: v_dual_mov_b32 v59, v119
	v_dual_mov_b32 v60, v10 :: v_dual_mov_b32 v61, v121
	v_mov_b32_e32 v58, v7
	v_dual_mov_b32 v67, v103 :: v_dual_mov_b32 v70, v106
	v_dual_mov_b32 v69, v105 :: v_dual_mov_b32 v72, v108
	v_dual_mov_b32 v71, v107 :: v_dual_mov_b32 v74, v110
	v_dual_mov_b32 v73, v109 :: v_dual_mov_b32 v72, v24
	v_dual_mov_b32 v75, v99 :: v_dual_mov_b32 v76, v100
	v_dual_mov_b32 v87, v111 :: v_dual_mov_b32 v88, v112
	v_dual_mov_b32 v52, v112 :: v_dual_mov_b32 v59, v9
	v_dual_mov_b32 v62, v12 :: v_dual_mov_b32 v61, v14
	v_dual_mov_b32 v64, v100 :: v_dual_mov_b32 v65, v101
	v_mov_b32_e32 v68, v104
	v_dual_mov_b32 v70, v21 :: v_dual_mov_b32 v71, v23
	v_dual_mov_b32 v73, v13 :: v_dual_mov_b32 v74, v26
	;; [unrolled: 10-line block ×3, first 2 shown]
	v_dual_mov_b32 v95, v119 :: v_dual_mov_b32 v96, v120
	v_dual_mov_b32 v97, v121 :: v_dual_mov_b32 v98, v122
.LBB129_77:
	s_or_b32 exec_lo, exec_lo, s2
	v_mov_b32_e32 v2, v47
	s_mov_b32 s2, exec_lo
	v_cmpx_lt_f32_e32 v1, v47
	s_cbranch_execz .LBB129_79
; %bb.78:
	v_dual_mov_b32 v83, v22 :: v_dual_mov_b32 v84, v24
	v_dual_mov_b32 v94, v9 :: v_dual_mov_b32 v95, v8
	;; [unrolled: 1-line block ×4, first 2 shown]
	v_mov_b32_e32 v86, v26
	v_dual_mov_b32 v46, v47 :: v_dual_mov_b32 v47, v1
	v_dual_mov_b32 v98, v12 :: v_dual_mov_b32 v63, v75
	;; [unrolled: 1-line block ×13, first 2 shown]
	v_mov_b32_e32 v62, v98
	v_mov_b32_e32 v2, v1
.LBB129_79:
	s_or_b32 exec_lo, exec_lo, s2
	s_delay_alu instid0(VALU_DEP_1)
	v_cmp_lt_f32_e32 vcc_lo, v2, v48
	v_dual_mov_b32 v1, v39 :: v_dual_mov_b32 v6, v44
	v_dual_mov_b32 v3, v41 :: v_dual_mov_b32 v8, v46
	s_waitcnt vmcnt(0)
	v_dual_cndmask_b32 v37, v72, v71 :: v_dual_mov_b32 v4, v42
	v_dual_cndmask_b32 v71, v71, v72 :: v_dual_cndmask_b32 v38, v60, v59
	v_dual_cndmask_b32 v59, v59, v60 :: v_dual_cndmask_b32 v10, v48, v2
	v_dual_cndmask_b32 v9, v47, v48 :: v_dual_mov_b32 v2, v40
	v_dual_mov_b32 v5, v43 :: v_dual_mov_b32 v12, v50
	v_mov_b32_e32 v7, v45
	v_mov_b32_e32 v11, v49
	s_mov_b32 s2, exec_lo
	v_cmpx_lt_f32_e32 v39, v40
	s_cbranch_execz .LBB129_81
; %bb.80:
	v_dual_mov_b32 v13, v2 :: v_dual_mov_b32 v14, v1
	v_dual_mov_b32 v15, v3 :: v_dual_mov_b32 v16, v4
	;; [unrolled: 1-line block ×6, first 2 shown]
	v_mov_b32_e32 v25, v63
	v_dual_mov_b32 v26, v51 :: v_dual_mov_b32 v1, v13
	v_swap_b32 v63, v64
	v_swap_b32 v51, v52
	v_dual_mov_b32 v2, v14 :: v_dual_mov_b32 v3, v15
	v_dual_mov_b32 v4, v16 :: v_dual_mov_b32 v5, v17
	;; [unrolled: 1-line block ×5, first 2 shown]
	v_mov_b32_e32 v12, v24
	v_mov_b32_e32 v40, v39
.LBB129_81:
	s_or_b32 exec_lo, exec_lo, s2
	v_mov_b32_e32 v60, v38
	v_dual_mov_b32 v72, v37 :: v_dual_mov_b32 v13, v51
	v_dual_mov_b32 v25, v63 :: v_dual_mov_b32 v98, v74
	;; [unrolled: 1-line block ×60, first 2 shown]
	s_mov_b32 s2, exec_lo
	v_dual_mov_b32 v96, v72 :: v_dual_mov_b32 v93, v69
	v_cmpx_lt_f32_e32 v40, v3
	s_cbranch_execz .LBB129_83
; %bb.82:
	v_dual_mov_b32 v134, v62 :: v_dual_mov_b32 v133, v61
	v_dual_mov_b32 v124, v52 :: v_dual_mov_b32 v123, v51
	v_mov_b32_e32 v124, v53
	v_dual_mov_b32 v128, v56 :: v_dual_mov_b32 v127, v55
	v_dual_mov_b32 v132, v60 :: v_dual_mov_b32 v131, v59
	;; [unrolled: 1-line block ×11, first 2 shown]
	v_mov_b32_e32 v141, v69
	v_dual_mov_b32 v136, v65 :: v_dual_mov_b32 v137, v64
	v_dual_mov_b32 v160, v124 :: v_dual_mov_b32 v159, v123
	;; [unrolled: 1-line block ×40, first 2 shown]
	v_mov_b32_e32 v22, v84
	v_dual_mov_b32 v22, v38 :: v_dual_mov_b32 v25, v87
	v_dual_mov_b32 v16, v78 :: v_dual_mov_b32 v19, v81
	;; [unrolled: 1-line block ×16, first 2 shown]
	v_mov_b32_e32 v35, v73
	v_dual_mov_b32 v34, v37 :: v_dual_mov_b32 v39, v40
	v_dual_mov_b32 v36, v74 :: v_dual_mov_b32 v65, v64
	v_mov_b32_e32 v53, v52
.LBB129_83:
	s_or_b32 exec_lo, exec_lo, s2
	v_mov_b32_e32 v40, v4
	s_mov_b32 s2, exec_lo
	v_cmpx_lt_f32_e32 v39, v4
	s_cbranch_execz .LBB129_85
; %bb.84:
	v_mov_b32_e32 v137, v66
	v_mov_b32_e32 v125, v54
	;; [unrolled: 1-line block ×4, first 2 shown]
	v_dual_mov_b32 v170, v134 :: v_dual_mov_b32 v169, v133
	v_dual_mov_b32 v168, v132 :: v_dual_mov_b32 v159, v123
	;; [unrolled: 1-line block ×9, first 2 shown]
	v_mov_b32_e32 v157, v145
	v_dual_mov_b32 v155, v143 :: v_dual_mov_b32 v152, v140
	v_mov_b32_e32 v162, v53
	v_mov_b32_e32 v149, v137
	v_dual_mov_b32 v150, v65 :: v_dual_mov_b32 v111, v159
	v_dual_mov_b32 v112, v160 :: v_dual_mov_b32 v99, v147
	;; [unrolled: 1-line block ×13, first 2 shown]
	v_mov_b32_e32 v115, v55
	v_dual_mov_b32 v87, v99 :: v_dual_mov_b32 v88, v100
	v_dual_mov_b32 v75, v111 :: v_dual_mov_b32 v78, v114
	;; [unrolled: 1-line block ×3, first 2 shown]
	s_delay_alu instid0(VALU_DEP_4)
	v_dual_mov_b32 v80, v116 :: v_dual_mov_b32 v79, v115
	v_dual_mov_b32 v82, v118 :: v_dual_mov_b32 v81, v117
	;; [unrolled: 1-line block ×6, first 2 shown]
	v_mov_b32_e32 v96, v108
	v_dual_mov_b32 v92, v104 :: v_dual_mov_b32 v93, v105
	v_dual_mov_b32 v98, v110 :: v_dual_mov_b32 v95, v107
	;; [unrolled: 1-line block ×21, first 2 shown]
	v_mov_b32_e32 v34, v37
	v_dual_mov_b32 v35, v73 :: v_dual_mov_b32 v36, v74
	v_mov_b32_e32 v40, v39
	v_mov_b32_e32 v66, v65
	;; [unrolled: 1-line block ×3, first 2 shown]
.LBB129_85:
	s_or_b32 exec_lo, exec_lo, s2
	v_mov_b32_e32 v39, v5
	s_mov_b32 s2, exec_lo
	v_cmpx_lt_f32_e32 v40, v5
	s_cbranch_execz .LBB129_87
; %bb.86:
	v_mov_b32_e32 v126, v55
	v_mov_b32_e32 v111, v123
	;; [unrolled: 1-line block ×3, first 2 shown]
	v_dual_mov_b32 v115, v54 :: v_dual_mov_b32 v116, v128
	v_dual_mov_b32 v138, v67 :: v_dual_mov_b32 v113, v125
	v_mov_b32_e32 v112, v124
	v_dual_mov_b32 v118, v130 :: v_dual_mov_b32 v119, v131
	v_dual_mov_b32 v120, v132 :: v_dual_mov_b32 v121, v133
	;; [unrolled: 1-line block ×24, first 2 shown]
	v_mov_b32_e32 v22, v84
	v_dual_mov_b32 v22, v38 :: v_dual_mov_b32 v25, v87
	v_dual_mov_b32 v16, v78 :: v_dual_mov_b32 v19, v81
	;; [unrolled: 1-line block ×18, first 2 shown]
	v_mov_b32_e32 v35, v73
	v_dual_mov_b32 v34, v37 :: v_dual_mov_b32 v155, v143
	v_dual_mov_b32 v36, v74 :: v_dual_mov_b32 v157, v145
	;; [unrolled: 1-line block ×12, first 2 shown]
	v_mov_b32_e32 v55, v54
.LBB129_87:
	s_or_b32 exec_lo, exec_lo, s2
	v_mov_b32_e32 v40, v6
	s_mov_b32 s2, exec_lo
	v_cmpx_lt_f32_e32 v39, v6
	s_cbranch_execz .LBB129_89
; %bb.88:
	v_mov_b32_e32 v163, v56
	v_dual_mov_b32 v75, v159 :: v_dual_mov_b32 v80, v164
	v_dual_mov_b32 v80, v55 :: v_dual_mov_b32 v81, v165
	;; [unrolled: 1-line block ×7, first 2 shown]
	v_mov_b32_e32 v85, v169
	v_dual_mov_b32 v89, v149 :: v_dual_mov_b32 v92, v152
	v_dual_mov_b32 v91, v151 :: v_dual_mov_b32 v94, v154
	;; [unrolled: 1-line block ×6, first 2 shown]
	v_mov_b32_e32 v88, v148
	v_mov_b32_e32 v6, v39
	s_delay_alu instid0(VALU_DEP_3) | instskip(NEXT) | instid1(VALU_DEP_3)
	v_dual_mov_b32 v13, v75 :: v_dual_mov_b32 v14, v76
	v_dual_mov_b32 v25, v87 :: v_dual_mov_b32 v26, v88
	;; [unrolled: 1-line block ×30, first 2 shown]
	v_mov_b32_e32 v40, v39
	v_mov_b32_e32 v68, v67
	;; [unrolled: 1-line block ×3, first 2 shown]
.LBB129_89:
	s_or_b32 exec_lo, exec_lo, s2
	v_mov_b32_e32 v39, v7
	s_mov_b32 s2, exec_lo
	v_cmpx_lt_f32_e32 v40, v7
	s_cbranch_execz .LBB129_91
; %bb.90:
	v_mov_b32_e32 v116, v57
	v_dual_mov_b32 v6, v7 :: v_dual_mov_b32 v7, v40
	v_dual_mov_b32 v104, v69 :: v_dual_mov_b32 v13, v111
	v_mov_b32_e32 v22, v120
	v_dual_mov_b32 v22, v38 :: v_dual_mov_b32 v25, v99
	v_mov_b32_e32 v34, v108
	v_dual_mov_b32 v34, v37 :: v_dual_mov_b32 v87, v99
	v_dual_mov_b32 v16, v114 :: v_dual_mov_b32 v19, v117
	;; [unrolled: 1-line block ×12, first 2 shown]
	v_mov_b32_e32 v23, v61
	v_dual_mov_b32 v21, v59 :: v_dual_mov_b32 v24, v62
	v_dual_mov_b32 v27, v101 :: v_dual_mov_b32 v26, v100
	;; [unrolled: 1-line block ×3, first 2 shown]
	v_mov_b32_e32 v35, v73
	v_dual_mov_b32 v33, v71 :: v_dual_mov_b32 v36, v74
	v_dual_mov_b32 v89, v101 :: v_dual_mov_b32 v88, v100
	;; [unrolled: 1-line block ×9, first 2 shown]
	v_mov_b32_e32 v39, v40
	v_mov_b32_e32 v69, v68
	v_dual_mov_b32 v57, v56 :: v_dual_mov_b32 v94, v106
	v_dual_mov_b32 v97, v109 :: v_dual_mov_b32 v82, v118
	;; [unrolled: 1-line block ×3, first 2 shown]
.LBB129_91:
	s_or_b32 exec_lo, exec_lo, s2
	v_mov_b32_e32 v40, v8
	s_mov_b32 s2, exec_lo
	v_cmpx_lt_f32_e32 v39, v8
	s_cbranch_execz .LBB129_93
; %bb.92:
	v_dual_mov_b32 v81, v58 :: v_dual_mov_b32 v82, v57
	v_dual_mov_b32 v83, v59 :: v_dual_mov_b32 v84, v38
	;; [unrolled: 1-line block ×19, first 2 shown]
	v_mov_b32_e32 v40, v39
.LBB129_93:
	s_or_b32 exec_lo, exec_lo, s2
	s_delay_alu instid0(VALU_DEP_1)
	v_cmp_lt_f32_e32 vcc_lo, v40, v9
	v_dual_mov_b32 v38, v2 :: v_dual_mov_b32 v41, v5
	v_dual_mov_b32 v42, v6 :: v_dual_mov_b32 v47, v11
	v_dual_cndmask_b32 v145, v33, v32 :: v_dual_cndmask_b32 v32, v32, v33
	v_dual_cndmask_b32 v146, v21, v20 :: v_dual_mov_b32 v39, v3
	v_dual_cndmask_b32 v20, v20, v21 :: v_dual_cndmask_b32 v45, v9, v40
	v_dual_cndmask_b32 v44, v8, v9 :: v_dual_mov_b32 v37, v1
	v_dual_mov_b32 v40, v4 :: v_dual_mov_b32 v43, v7
	v_mov_b32_e32 v46, v10
	v_mov_b32_e32 v48, v12
	s_mov_b32 s2, exec_lo
	v_cmpx_lt_f32_e32 v1, v2
	s_cbranch_execz .LBB129_95
; %bb.94:
	v_dual_mov_b32 v49, v38 :: v_dual_mov_b32 v50, v37
	v_dual_mov_b32 v51, v39 :: v_dual_mov_b32 v52, v40
	;; [unrolled: 1-line block ×6, first 2 shown]
	v_mov_b32_e32 v3, v25
	v_mov_b32_e32 v4, v13
	v_dual_mov_b32 v37, v49 :: v_dual_mov_b32 v40, v52
	v_swap_b32 v25, v26
	v_swap_b32 v13, v14
	v_dual_mov_b32 v38, v50 :: v_dual_mov_b32 v39, v51
	v_dual_mov_b32 v41, v53 :: v_dual_mov_b32 v42, v54
	;; [unrolled: 1-line block ×5, first 2 shown]
	v_mov_b32_e32 v2, v1
.LBB129_95:
	s_or_b32 exec_lo, exec_lo, s2
	v_mov_b32_e32 v21, v146
	v_dual_mov_b32 v33, v145 :: v_dual_mov_b32 v60, v24
	v_dual_mov_b32 v72, v36 :: v_dual_mov_b32 v61, v25
	;; [unrolled: 1-line block ×43, first 2 shown]
	v_mov_b32_e32 v97, v13
	v_mov_b32_e32 v1, v39
	s_mov_b32 s2, exec_lo
	v_dual_mov_b32 v95, v35 :: v_dual_mov_b32 v94, v34
	v_dual_mov_b32 v93, v33 :: v_dual_mov_b32 v92, v32
	;; [unrolled: 1-line block ×5, first 2 shown]
	v_cmpx_lt_f32_e32 v2, v39
	s_cbranch_execz .LBB129_97
; %bb.96:
	v_dual_mov_b32 v108, v24 :: v_dual_mov_b32 v107, v23
	v_dual_mov_b32 v98, v14 :: v_dual_mov_b32 v97, v13
	v_mov_b32_e32 v98, v15
	v_dual_mov_b32 v104, v20 :: v_dual_mov_b32 v103, v19
	v_dual_mov_b32 v100, v16 :: v_dual_mov_b32 v99, v15
	;; [unrolled: 1-line block ×26, first 2 shown]
	v_mov_b32_e32 v84, v144
	v_dual_mov_b32 v74, v134 :: v_dual_mov_b32 v77, v137
	v_mov_b32_e32 v75, v135
	v_dual_mov_b32 v38, v39 :: v_dual_mov_b32 v85, v121
	v_dual_mov_b32 v76, v136 :: v_dual_mov_b32 v79, v139
	;; [unrolled: 1-line block ×10, first 2 shown]
	v_mov_b32_e32 v39, v2
	v_dual_mov_b32 v49, v73 :: v_dual_mov_b32 v50, v74
	v_dual_mov_b32 v59, v83 :: v_dual_mov_b32 v60, v84
	;; [unrolled: 1-line block ×18, first 2 shown]
	v_mov_b32_e32 v70, v34
	v_dual_mov_b32 v72, v36 :: v_dual_mov_b32 v1, v2
	v_mov_b32_e32 v27, v26
	v_mov_b32_e32 v15, v14
.LBB129_97:
	s_or_b32 exec_lo, exec_lo, s2
	v_mov_b32_e32 v2, v40
	s_mov_b32 s2, exec_lo
	v_cmpx_lt_f32_e32 v1, v40
	s_cbranch_execz .LBB129_99
; %bb.98:
	v_mov_b32_e32 v99, v16
	v_mov_b32_e32 v144, v108
	;; [unrolled: 1-line block ×3, first 2 shown]
	v_dual_mov_b32 v136, v15 :: v_dual_mov_b32 v111, v28
	v_dual_mov_b32 v142, v106 :: v_dual_mov_b32 v133, v97
	;; [unrolled: 1-line block ×4, first 2 shown]
	v_mov_b32_e32 v135, v99
	v_dual_mov_b32 v125, v113 :: v_dual_mov_b32 v124, v112
	v_mov_b32_e32 v143, v107
	v_dual_mov_b32 v141, v105 :: v_dual_mov_b32 v140, v104
	v_dual_mov_b32 v139, v103 :: v_dual_mov_b32 v138, v102
	;; [unrolled: 1-line block ×18, first 2 shown]
	v_mov_b32_e32 v95, v131
	v_dual_mov_b32 v89, v29 :: v_dual_mov_b32 v88, v124
	v_dual_mov_b32 v49, v73 :: v_dual_mov_b32 v54, v78
	v_mov_b32_e32 v50, v74
	v_dual_mov_b32 v52, v76 :: v_dual_mov_b32 v61, v85
	s_delay_alu instid0(VALU_DEP_4)
	v_dual_mov_b32 v64, v88 :: v_dual_mov_b32 v51, v75
	v_dual_mov_b32 v56, v80 :: v_dual_mov_b32 v53, v77
	;; [unrolled: 1-line block ×12, first 2 shown]
	v_mov_b32_e32 v58, v22
	v_dual_mov_b32 v57, v146 :: v_dual_mov_b32 v60, v24
	v_dual_mov_b32 v59, v23 :: v_dual_mov_b32 v62, v86
	;; [unrolled: 1-line block ×5, first 2 shown]
	v_mov_b32_e32 v2, v1
	v_mov_b32_e32 v28, v27
	;; [unrolled: 1-line block ×3, first 2 shown]
.LBB129_99:
	s_or_b32 exec_lo, exec_lo, s2
	v_mov_b32_e32 v1, v41
	s_mov_b32 s2, exec_lo
	v_cmpx_lt_f32_e32 v2, v41
	s_cbranch_execz .LBB129_101
; %bb.100:
	v_mov_b32_e32 v100, v17
	v_mov_b32_e32 v73, v97
	v_mov_b32_e32 v77, v101
	v_dual_mov_b32 v77, v16 :: v_dual_mov_b32 v78, v102
	v_dual_mov_b32 v112, v29 :: v_dual_mov_b32 v75, v99
	;; [unrolled: 1-line block ×3, first 2 shown]
	v_mov_b32_e32 v84, v108
	v_dual_mov_b32 v74, v98 :: v_dual_mov_b32 v85, v109
	v_mov_b32_e32 v86, v110
	v_dual_mov_b32 v76, v100 :: v_dual_mov_b32 v79, v103
	v_dual_mov_b32 v80, v104 :: v_dual_mov_b32 v81, v105
	;; [unrolled: 1-line block ×8, first 2 shown]
	v_mov_b32_e32 v49, v73
	v_dual_mov_b32 v89, v28 :: v_dual_mov_b32 v50, v74
	v_dual_mov_b32 v59, v83 :: v_dual_mov_b32 v60, v84
	;; [unrolled: 1-line block ×32, first 2 shown]
	v_mov_b32_e32 v17, v16
.LBB129_101:
	s_or_b32 exec_lo, exec_lo, s2
	v_mov_b32_e32 v2, v42
	s_mov_b32 s2, exec_lo
	v_cmpx_lt_f32_e32 v1, v42
	s_cbranch_execz .LBB129_103
; %bb.102:
	v_mov_b32_e32 v137, v18
	v_mov_b32_e32 v125, v30
	v_dual_mov_b32 v41, v42 :: v_dual_mov_b32 v42, v1
	v_dual_mov_b32 v49, v133 :: v_dual_mov_b32 v50, v134
	;; [unrolled: 1-line block ×13, first 2 shown]
	v_mov_b32_e32 v66, v29
	v_dual_mov_b32 v85, v121 :: v_dual_mov_b32 v86, v122
	v_dual_mov_b32 v73, v133 :: v_dual_mov_b32 v74, v134
	;; [unrolled: 1-line block ×4, first 2 shown]
	v_mov_b32_e32 v64, v124
	v_dual_mov_b32 v58, v22 :: v_dual_mov_b32 v59, v23
	v_dual_mov_b32 v67, v31 :: v_dual_mov_b32 v68, v32
	;; [unrolled: 1-line block ×8, first 2 shown]
	v_mov_b32_e32 v2, v1
	v_mov_b32_e32 v30, v29
	v_dual_mov_b32 v18, v17 :: v_dual_mov_b32 v91, v127
	v_dual_mov_b32 v92, v128 :: v_dual_mov_b32 v93, v129
	;; [unrolled: 1-line block ×6, first 2 shown]
	v_mov_b32_e32 v84, v144
.LBB129_103:
	s_or_b32 exec_lo, exec_lo, s2
	v_mov_b32_e32 v1, v43
	s_mov_b32 s2, exec_lo
	v_cmpx_lt_f32_e32 v2, v43
	s_cbranch_execz .LBB129_105
; %bb.104:
	v_dual_mov_b32 v94, v34 :: v_dual_mov_b32 v95, v35
	v_dual_mov_b32 v78, v19 :: v_dual_mov_b32 v79, v18
	;; [unrolled: 1-line block ×6, first 2 shown]
	v_mov_b32_e32 v96, v36
	v_dual_mov_b32 v42, v43 :: v_dual_mov_b32 v43, v2
	v_dual_mov_b32 v84, v24 :: v_dual_mov_b32 v61, v85
	;; [unrolled: 1-line block ×14, first 2 shown]
.LBB129_105:
	s_or_b32 exec_lo, exec_lo, s2
	s_delay_alu instid0(VALU_DEP_1)
	v_cmp_lt_f32_e32 vcc_lo, v1, v44
	v_dual_mov_b32 v3, v39 :: v_dual_mov_b32 v10, v46
	v_dual_mov_b32 v5, v41 :: v_dual_mov_b32 v12, v48
	v_dual_cndmask_b32 v121, v68, v67 :: v_dual_mov_b32 v2, v38
	v_dual_cndmask_b32 v67, v67, v68 :: v_dual_cndmask_b32 v122, v56, v55
	v_dual_cndmask_b32 v55, v55, v56 :: v_dual_cndmask_b32 v8, v44, v1
	v_dual_cndmask_b32 v7, v43, v44 :: v_dual_mov_b32 v4, v40
	v_dual_mov_b32 v1, v37 :: v_dual_mov_b32 v6, v42
	v_mov_b32_e32 v9, v45
	v_mov_b32_e32 v11, v47
	s_mov_b32 s2, exec_lo
	v_cmpx_lt_f32_e32 v37, v38
	s_cbranch_execz .LBB129_107
; %bb.106:
	v_dual_mov_b32 v13, v2 :: v_dual_mov_b32 v14, v1
	v_dual_mov_b32 v15, v3 :: v_dual_mov_b32 v16, v4
	;; [unrolled: 1-line block ×6, first 2 shown]
	v_mov_b32_e32 v25, v61
	v_mov_b32_e32 v26, v49
	v_dual_mov_b32 v1, v13 :: v_dual_mov_b32 v4, v16
	v_swap_b32 v61, v62
	v_swap_b32 v49, v50
	v_dual_mov_b32 v2, v14 :: v_dual_mov_b32 v3, v15
	v_dual_mov_b32 v5, v17 :: v_dual_mov_b32 v6, v18
	;; [unrolled: 1-line block ×5, first 2 shown]
	v_mov_b32_e32 v38, v37
.LBB129_107:
	s_or_b32 exec_lo, exec_lo, s2
	v_mov_b32_e32 v56, v122
	v_mov_b32_e32 v68, v121
	;; [unrolled: 1-line block ×3, first 2 shown]
	v_dual_mov_b32 v27, v51 :: v_dual_mov_b32 v84, v72
	v_mov_b32_e32 v81, v69
	v_dual_mov_b32 v83, v71 :: v_dual_mov_b32 v96, v60
	v_dual_mov_b32 v91, v55 :: v_dual_mov_b32 v120, v72
	;; [unrolled: 1-line block ×31, first 2 shown]
	v_mov_b32_e32 v24, v60
	s_mov_b32 s2, exec_lo
	v_dual_mov_b32 v118, v70 :: v_dual_mov_b32 v115, v67
	v_dual_mov_b32 v116, v68 :: v_dual_mov_b32 v113, v65
	v_dual_mov_b32 v94, v58 :: v_dual_mov_b32 v89, v53
	v_cmpx_lt_f32_e32 v38, v3
	s_cbranch_execz .LBB129_109
; %bb.108:
	v_dual_mov_b32 v13, v49 :: v_dual_mov_b32 v14, v50
	v_dual_mov_b32 v23, v59 :: v_dual_mov_b32 v24, v60
	;; [unrolled: 1-line block ×30, first 2 shown]
	v_mov_b32_e32 v112, v64
	v_dual_mov_b32 v34, v94 :: v_dual_mov_b32 v35, v95
	v_dual_mov_b32 v35, v59 :: v_dual_mov_b32 v34, v58
	;; [unrolled: 1-line block ×15, first 2 shown]
	v_mov_b32_e32 v81, v69
	v_dual_mov_b32 v80, v121 :: v_dual_mov_b32 v83, v71
	v_mov_b32_e32 v82, v70
	v_dual_mov_b32 v84, v72 :: v_dual_mov_b32 v37, v38
	v_mov_b32_e32 v63, v62
	v_mov_b32_e32 v51, v50
.LBB129_109:
	s_or_b32 exec_lo, exec_lo, s2
	v_mov_b32_e32 v38, v4
	s_mov_b32 s2, exec_lo
	v_cmpx_lt_f32_e32 v37, v4
	s_cbranch_execz .LBB129_111
; %bb.110:
	v_mov_b32_e32 v15, v52
	v_mov_b32_e32 v96, v24
	;; [unrolled: 1-line block ×3, first 2 shown]
	v_dual_mov_b32 v88, v51 :: v_dual_mov_b32 v99, v64
	v_dual_mov_b32 v94, v22 :: v_dual_mov_b32 v85, v13
	v_dual_mov_b32 v120, v108 :: v_dual_mov_b32 v109, v97
	v_mov_b32_e32 v95, v23
	v_dual_mov_b32 v93, v21 :: v_dual_mov_b32 v92, v20
	v_dual_mov_b32 v91, v19 :: v_dual_mov_b32 v90, v18
	;; [unrolled: 1-line block ×7, first 2 shown]
	v_mov_b32_e32 v87, v15
	v_dual_mov_b32 v111, v99 :: v_dual_mov_b32 v110, v98
	v_dual_mov_b32 v112, v63 :: v_dual_mov_b32 v25, v85
	;; [unrolled: 1-line block ×3, first 2 shown]
	s_delay_alu instid0(VALU_DEP_3)
	v_dual_mov_b32 v74, v110 :: v_dual_mov_b32 v29, v89
	v_dual_mov_b32 v30, v90 :: v_dual_mov_b32 v31, v91
	;; [unrolled: 1-line block ×8, first 2 shown]
	v_mov_b32_e32 v84, v120
	v_dual_mov_b32 v3, v4 :: v_dual_mov_b32 v4, v37
	v_dual_mov_b32 v27, v87 :: v_dual_mov_b32 v28, v88
	;; [unrolled: 1-line block ×11, first 2 shown]
	v_mov_b32_e32 v38, v37
	v_mov_b32_e32 v64, v63
	;; [unrolled: 1-line block ×3, first 2 shown]
.LBB129_111:
	s_or_b32 exec_lo, exec_lo, s2
	v_mov_b32_e32 v16, v5
	s_mov_b32 s2, exec_lo
	v_cmpx_lt_f32_e32 v38, v5
	s_cbranch_execz .LBB129_113
; %bb.112:
	v_mov_b32_e32 v100, v65
	v_mov_b32_e32 v16, v53
	v_dual_mov_b32 v4, v5 :: v_dual_mov_b32 v5, v38
	v_dual_mov_b32 v36, v24 :: v_dual_mov_b32 v33, v21
	;; [unrolled: 1-line block ×3, first 2 shown]
	v_mov_b32_e32 v31, v19
	v_dual_mov_b32 v35, v59 :: v_dual_mov_b32 v34, v58
	v_dual_mov_b32 v73, v97 :: v_dual_mov_b32 v32, v20
	;; [unrolled: 1-line block ×8, first 2 shown]
	v_mov_b32_e32 v77, v64
	v_dual_mov_b32 v84, v108 :: v_dual_mov_b32 v79, v67
	v_dual_mov_b32 v120, v108 :: v_dual_mov_b32 v115, v103
	;; [unrolled: 1-line block ×19, first 2 shown]
	v_mov_b32_e32 v88, v16
	v_dual_mov_b32 v86, v14 :: v_dual_mov_b32 v65, v64
	v_dual_mov_b32 v16, v38 :: v_dual_mov_b32 v53, v52
	;; [unrolled: 1-line block ×3, first 2 shown]
.LBB129_113:
	s_or_b32 exec_lo, exec_lo, s2
	v_mov_b32_e32 v13, v6
	s_mov_b32 s2, exec_lo
	v_cmpx_lt_f32_e32 v16, v6
	s_cbranch_execz .LBB129_115
; %bb.114:
	v_dual_mov_b32 v89, v54 :: v_dual_mov_b32 v90, v53
	v_dual_mov_b32 v91, v55 :: v_dual_mov_b32 v92, v122
	;; [unrolled: 1-line block ×21, first 2 shown]
	v_mov_b32_e32 v13, v16
.LBB129_115:
	s_or_b32 exec_lo, exec_lo, s2
	s_delay_alu instid0(VALU_DEP_1)
	v_cmp_lt_f32_e32 vcc_lo, v13, v7
	v_dual_mov_b32 v14, v2 :: v_dual_mov_b32 v17, v5
	v_dual_mov_b32 v16, v4 :: v_dual_mov_b32 v21, v9
	v_dual_cndmask_b32 v37, v79, v78 :: v_dual_cndmask_b32 v78, v78, v79
	v_cndmask_b32_e32 v38, v31, v30, vcc_lo
	v_dual_cndmask_b32 v30, v30, v31 :: v_dual_cndmask_b32 v19, v7, v13
	v_dual_cndmask_b32 v18, v6, v7 :: v_dual_mov_b32 v15, v3
	v_dual_mov_b32 v13, v1 :: v_dual_mov_b32 v20, v8
	v_dual_mov_b32 v23, v11 :: v_dual_mov_b32 v22, v10
	v_mov_b32_e32 v24, v12
	s_mov_b32 s2, exec_lo
	v_cmpx_lt_f32_e32 v1, v2
	s_cbranch_execz .LBB129_117
; %bb.116:
	v_dual_mov_b32 v2, v14 :: v_dual_mov_b32 v3, v13
	v_dual_mov_b32 v12, v23 :: v_dual_mov_b32 v13, v24
	;; [unrolled: 1-line block ×6, first 2 shown]
	v_mov_b32_e32 v24, v13
	v_mov_b32_e32 v31, v73
	v_dual_mov_b32 v39, v25 :: v_dual_mov_b32 v18, v7
	v_swap_b32 v73, v74
	v_swap_b32 v25, v26
	v_dual_mov_b32 v23, v12 :: v_dual_mov_b32 v20, v9
	v_dual_mov_b32 v22, v11 :: v_dual_mov_b32 v21, v10
	;; [unrolled: 1-line block ×4, first 2 shown]
	v_mov_b32_e32 v15, v4
	v_dual_mov_b32 v13, v2 :: v_dual_mov_b32 v2, v1
.LBB129_117:
	s_or_b32 exec_lo, exec_lo, s2
	v_mov_b32_e32 v31, v38
	v_dual_mov_b32 v79, v37 :: v_dual_mov_b32 v50, v36
	v_dual_mov_b32 v51, v73 :: v_dual_mov_b32 v52, v74
	;; [unrolled: 1-line block ×24, first 2 shown]
	v_mov_b32_e32 v85, v25
	v_mov_b32_e32 v1, v15
	s_mov_b32 s2, exec_lo
	v_cmpx_lt_f32_e32 v2, v15
	s_cbranch_execz .LBB129_119
; %bb.118:
	v_dual_mov_b32 v96, v36 :: v_dual_mov_b32 v95, v35
	v_dual_mov_b32 v86, v26 :: v_dual_mov_b32 v85, v25
	;; [unrolled: 1-line block ×8, first 2 shown]
	v_mov_b32_e32 v105, v81
	v_dual_mov_b32 v43, v89 :: v_dual_mov_b32 v44, v90
	v_dual_mov_b32 v100, v76 :: v_dual_mov_b32 v97, v73
	;; [unrolled: 1-line block ×6, first 2 shown]
	v_mov_b32_e32 v98, v74
	v_dual_mov_b32 v98, v75 :: v_dual_mov_b32 v99, v74
	v_dual_mov_b32 v49, v95 :: v_dual_mov_b32 v50, v96
	;; [unrolled: 1-line block ×12, first 2 shown]
	v_mov_b32_e32 v40, v86
	v_dual_mov_b32 v42, v28 :: v_dual_mov_b32 v43, v29
	v_dual_mov_b32 v45, v38 :: v_dual_mov_b32 v46, v32
	;; [unrolled: 1-line block ×9, first 2 shown]
	v_mov_b32_e32 v75, v74
	v_mov_b32_e32 v27, v26
.LBB129_119:
	s_or_b32 exec_lo, exec_lo, s2
	v_mov_b32_e32 v2, v16
	s_mov_b32 s2, exec_lo
	v_cmpx_lt_f32_e32 v1, v16
	s_cbranch_execz .LBB129_121
; %bb.120:
	v_mov_b32_e32 v87, v28
	v_mov_b32_e32 v99, v76
	v_dual_mov_b32 v15, v16 :: v_dual_mov_b32 v16, v1
	v_dual_mov_b32 v39, v85 :: v_dual_mov_b32 v42, v88
	;; [unrolled: 1-line block ×13, first 2 shown]
	v_mov_b32_e32 v56, v78
	v_mov_b32_e32 v40, v86
	v_dual_mov_b32 v42, v27 :: v_dual_mov_b32 v43, v29
	v_dual_mov_b32 v45, v38 :: v_dual_mov_b32 v46, v32
	;; [unrolled: 1-line block ×8, first 2 shown]
	v_mov_b32_e32 v2, v1
	v_mov_b32_e32 v76, v75
	;; [unrolled: 1-line block ×3, first 2 shown]
.LBB129_121:
	s_or_b32 exec_lo, exec_lo, s2
	v_mov_b32_e32 v1, v17
	s_mov_b32 s2, exec_lo
	v_cmpx_lt_f32_e32 v2, v17
	s_cbranch_execz .LBB129_123
; %bb.122:
	v_dual_mov_b32 v106, v82 :: v_dual_mov_b32 v107, v83
	v_dual_mov_b32 v88, v29 :: v_dual_mov_b32 v89, v28
	;; [unrolled: 1-line block ×8, first 2 shown]
	v_mov_b32_e32 v108, v84
	v_dual_mov_b32 v16, v17 :: v_dual_mov_b32 v17, v2
	v_dual_mov_b32 v96, v36 :: v_dual_mov_b32 v51, v97
	;; [unrolled: 1-line block ×14, first 2 shown]
.LBB129_123:
	s_or_b32 exec_lo, exec_lo, s2
	s_delay_alu instid0(VALU_DEP_1)
	v_cmp_lt_f32_e32 vcc_lo, v1, v18
	v_dual_mov_b32 v27, v13 :: v_dual_mov_b32 v34, v20
	v_dual_mov_b32 v29, v15 :: v_dual_mov_b32 v36, v22
	v_dual_cndmask_b32 v63, v56, v55 :: v_dual_cndmask_b32 v32, v18, v1
	v_dual_cndmask_b32 v55, v55, v56 :: v_dual_cndmask_b32 v64, v44, v43
	v_dual_cndmask_b32 v43, v43, v44 :: v_dual_mov_b32 v28, v14
	v_dual_cndmask_b32 v31, v17, v18 :: v_dual_mov_b32 v30, v16
	v_dual_mov_b32 v33, v19 :: v_dual_mov_b32 v38, v24
	v_mov_b32_e32 v35, v21
	v_mov_b32_e32 v37, v23
	s_mov_b32 s2, exec_lo
	v_cmpx_lt_f32_e32 v13, v14
	s_cbranch_execz .LBB129_125
; %bb.124:
	s_delay_alu instid0(VALU_DEP_2)
	v_dual_mov_b32 v11, v37 :: v_dual_mov_b32 v12, v38
	v_dual_mov_b32 v1, v28 :: v_dual_mov_b32 v2, v27
	;; [unrolled: 1-line block ×7, first 2 shown]
	s_delay_alu instid0(VALU_DEP_2)
	v_dual_mov_b32 v16, v39 :: v_dual_mov_b32 v35, v9
	v_swap_b32 v51, v52
	v_swap_b32 v39, v40
	v_dual_mov_b32 v37, v11 :: v_dual_mov_b32 v36, v10
	v_dual_mov_b32 v34, v8 :: v_dual_mov_b32 v33, v7
	;; [unrolled: 1-line block ×5, first 2 shown]
	v_mov_b32_e32 v14, v13
.LBB129_125:
	s_or_b32 exec_lo, exec_lo, s2
	v_mov_b32_e32 v44, v64
	v_mov_b32_e32 v56, v63
	;; [unrolled: 1-line block ×4, first 2 shown]
	v_dual_mov_b32 v15, v51 :: v_dual_mov_b32 v2, v40
	v_dual_mov_b32 v16, v52 :: v_dual_mov_b32 v17, v53
	;; [unrolled: 1-line block ×11, first 2 shown]
	v_mov_b32_e32 v12, v50
	s_mov_b32 s2, exec_lo
	v_cmpx_lt_f32_e32 v14, v29
	s_cbranch_execz .LBB129_127
; %bb.126:
	v_dual_mov_b32 v1, v39 :: v_dual_mov_b32 v2, v40
	v_dual_mov_b32 v11, v49 :: v_dual_mov_b32 v12, v50
	;; [unrolled: 1-line block ×25, first 2 shown]
	v_mov_b32_e32 v41, v40
.LBB129_127:
	s_or_b32 exec_lo, exec_lo, s2
	v_mov_b32_e32 v39, v30
	s_mov_b32 s2, exec_lo
	v_cmpx_lt_f32_e32 v13, v30
	s_cbranch_execz .LBB129_129
; %bb.128:
	v_dual_mov_b32 v29, v30 :: v_dual_mov_b32 v30, v13
	v_dual_mov_b32 v3, v42 :: v_dual_mov_b32 v4, v41
	;; [unrolled: 1-line block ×11, first 2 shown]
	v_mov_b32_e32 v39, v13
.LBB129_129:
	s_or_b32 exec_lo, exec_lo, s2
	s_delay_alu instid0(VALU_DEP_1)
	v_cmp_lt_f32_e32 vcc_lo, v39, v31
	v_dual_mov_b32 v40, v28 :: v_dual_mov_b32 v45, v33
	v_dual_mov_b32 v44, v32 :: v_dual_mov_b32 v47, v35
	v_dual_cndmask_b32 v13, v19, v18 :: v_dual_cndmask_b32 v18, v18, v19
	v_dual_cndmask_b32 v14, v5, v4 :: v_dual_cndmask_b32 v43, v31, v39
	v_dual_cndmask_b32 v4, v4, v5 :: v_dual_mov_b32 v39, v27
	v_dual_cndmask_b32 v42, v30, v31 :: v_dual_mov_b32 v41, v29
	v_dual_mov_b32 v46, v34 :: v_dual_mov_b32 v49, v37
	v_mov_b32_e32 v48, v36
	v_mov_b32_e32 v50, v38
	s_mov_b32 s2, exec_lo
	v_cmpx_lt_f32_e32 v27, v28
	s_cbranch_execz .LBB129_131
; %bb.130:
	v_dual_mov_b32 v28, v40 :: v_dual_mov_b32 v29, v39
	v_dual_mov_b32 v38, v49 :: v_dual_mov_b32 v39, v50
	;; [unrolled: 1-line block ×7, first 2 shown]
	v_mov_b32_e32 v5, v15
	v_swap_b32 v15, v16
	s_delay_alu instid0(VALU_DEP_4)
	v_mov_b32_e32 v48, v37
	v_swap_b32 v1, v2
	v_dual_mov_b32 v49, v38 :: v_dual_mov_b32 v46, v35
	v_dual_mov_b32 v47, v36 :: v_dual_mov_b32 v44, v33
	v_dual_mov_b32 v45, v34 :: v_dual_mov_b32 v42, v31
	v_dual_mov_b32 v43, v32 :: v_dual_mov_b32 v40, v29
	v_mov_b32_e32 v41, v30
	v_dual_mov_b32 v39, v28 :: v_dual_mov_b32 v28, v27
.LBB129_131:
	s_or_b32 exec_lo, exec_lo, s2
	v_mov_b32_e32 v5, v14
	v_mov_b32_e32 v19, v13
	;; [unrolled: 1-line block ×3, first 2 shown]
	s_mov_b32 s2, exec_lo
	v_cmpx_lt_f32_e32 v28, v41
	s_cbranch_execz .LBB129_133
; %bb.132:
	v_dual_mov_b32 v74, v26 :: v_dual_mov_b32 v73, v25
	v_dual_mov_b32 v62, v12 :: v_dual_mov_b32 v61, v11
	;; [unrolled: 1-line block ×22, first 2 shown]
	v_mov_b32_e32 v74, v26
	v_dual_mov_b32 v40, v41 :: v_dual_mov_b32 v41, v28
	v_dual_mov_b32 v62, v12 :: v_dual_mov_b32 v15, v63
	;; [unrolled: 1-line block ×14, first 2 shown]
.LBB129_133:
	s_or_b32 exec_lo, exec_lo, s2
	s_delay_alu instid0(VALU_DEP_1)
	v_cmp_lt_f32_e32 vcc_lo, v27, v42
	v_dual_mov_b32 v29, v24 :: v_dual_mov_b32 v32, v5
	v_dual_mov_b32 v31, v26 :: v_dual_mov_b32 v34, v7
	v_dual_cndmask_b32 v13, v18, v17 :: v_dual_cndmask_b32 v14, v4, v3
	v_cndmask_b32_e32 v51, v17, v18, vcc_lo
	v_dual_cndmask_b32 v59, v3, v4 :: v_dual_cndmask_b32 v60, v41, v42
	v_dual_cndmask_b32 v3, v42, v27 :: v_dual_mov_b32 v18, v21
	v_cmp_lt_f32_e32 vcc_lo, v39, v40
	v_dual_mov_b32 v4, v19 :: v_dual_mov_b32 v17, v20
	v_dual_mov_b32 v28, v23 :: v_dual_mov_b32 v27, v22
	;; [unrolled: 1-line block ×7, first 2 shown]
	v_mov_b32_e32 v58, v50
	v_dual_mov_b32 v52, v44 :: v_dual_mov_b32 v53, v45
	v_dual_mov_b32 v55, v47 :: v_dual_mov_b32 v56, v48
	v_mov_b32_e32 v57, v49
	s_and_saveexec_b32 s2, vcc_lo
	s_cbranch_execz .LBB129_135
; %bb.134:
	v_dual_mov_b32 v42, v40 :: v_dual_mov_b32 v27, v22
	v_dual_mov_b32 v4, v15 :: v_dual_mov_b32 v17, v20
	;; [unrolled: 1-line block ×3, first 2 shown]
	v_swap_b32 v15, v16
	v_swap_b32 v1, v2
	v_dual_mov_b32 v40, v39 :: v_dual_mov_b32 v29, v24
	v_dual_mov_b32 v4, v19 :: v_dual_mov_b32 v31, v26
	;; [unrolled: 1-line block ×10, first 2 shown]
	v_mov_b32_e32 v52, v44
	v_mov_b32_e32 v54, v46
	;; [unrolled: 1-line block ×4, first 2 shown]
.LBB129_135:
	s_or_b32 exec_lo, exec_lo, s2
	s_clause 0x1
	s_load_b32 s8, s[0:1], 0x28
	s_load_b128 s[4:7], s[0:1], 0x10
	v_mov_b32_e32 v6, 0
	s_waitcnt lgkmcnt(0)
	s_cmp_lt_i32 s8, 1
	s_cbranch_scc1 .LBB129_141
; %bb.136:
	v_cmp_lt_f32_e32 vcc_lo, v40, v60
	v_mov_b32_e32 v7, 0
	s_mov_b32 s9, 0x76543210
	s_mov_b32 s10, s8
	v_mov_b32_e32 v6, 0
	v_cndmask_b32_e32 v8, v60, v40, vcc_lo
	v_cndmask_b32_e32 v19, v61, v60, vcc_lo
	v_dual_cndmask_b32 v5, v59, v2 :: v_dual_cndmask_b32 v2, v2, v59
	v_dual_cndmask_b32 v9, v51, v16 :: v_dual_cndmask_b32 v20, v16, v51
	s_delay_alu instid0(VALU_DEP_3) | instskip(NEXT) | instid1(VALU_DEP_1)
	v_cmp_lt_f32_e64 s2, v39, v19
	v_cndmask_b32_e64 v10, v2, v1, s2
	v_cndmask_b32_e64 v11, v1, v2, s2
	;; [unrolled: 1-line block ×6, first 2 shown]
	v_dual_mov_b32 v20, v0 :: v_dual_mov_b32 v1, 0
	v_mov_b32_e32 v2, 0
.LBB129_137:                            ; =>This Inner Loop Header: Depth=1
	v_cmp_eq_u32_e32 vcc_lo, 1, v7
	v_cmp_eq_u32_e64 s2, 2, v7
	v_dual_cndmask_b32 v21, v16, v12 :: v_dual_cndmask_b32 v22, v11, v10
	s_delay_alu instid0(VALU_DEP_1) | instskip(NEXT) | instid1(VALU_DEP_2)
	v_cndmask_b32_e64 v21, v21, v8, s2
	v_cndmask_b32_e64 v22, v22, v5, s2
	v_cndmask_b32_e32 v23, v15, v19, vcc_lo
	v_cmp_eq_u32_e32 vcc_lo, 3, v7
	s_delay_alu instid0(VALU_DEP_3) | instskip(NEXT) | instid1(VALU_DEP_3)
	v_cndmask_b32_e32 v22, v22, v14, vcc_lo
	v_cndmask_b32_e64 v23, v23, v9, s2
	v_cmp_eq_u32_e64 s2, 4, v7
	s_delay_alu instid0(VALU_DEP_2) | instskip(NEXT) | instid1(VALU_DEP_2)
	v_cndmask_b32_e32 v23, v23, v13, vcc_lo
	v_cndmask_b32_e64 v22, v22, v32, s2
	v_cndmask_b32_e32 v21, v21, v3, vcc_lo
	v_cmp_eq_u32_e32 vcc_lo, 5, v7
	s_delay_alu instid0(VALU_DEP_4) | instskip(NEXT) | instid1(VALU_DEP_4)
	v_cndmask_b32_e64 v23, v23, v4, s2
	v_cndmask_b32_e32 v22, v22, v33, vcc_lo
	s_delay_alu instid0(VALU_DEP_4) | instskip(SKIP_1) | instid1(VALU_DEP_4)
	v_cndmask_b32_e64 v21, v21, v42, s2
	v_cmp_eq_u32_e64 s2, 6, v7
	v_cndmask_b32_e32 v23, v23, v17, vcc_lo
	s_delay_alu instid0(VALU_DEP_3) | instskip(SKIP_1) | instid1(VALU_DEP_4)
	v_cndmask_b32_e32 v21, v21, v52, vcc_lo
	v_cmp_eq_u32_e32 vcc_lo, 7, v7
	v_cndmask_b32_e64 v22, v22, v34, s2
	s_delay_alu instid0(VALU_DEP_4) | instskip(NEXT) | instid1(VALU_DEP_4)
	v_cndmask_b32_e64 v23, v23, v18, s2
	v_cndmask_b32_e64 v21, v21, v53, s2
	v_cmp_eq_u32_e64 s2, 8, v7
	s_delay_alu instid0(VALU_DEP_4) | instskip(NEXT) | instid1(VALU_DEP_4)
	v_cndmask_b32_e32 v22, v22, v35, vcc_lo
	v_cndmask_b32_e32 v23, v23, v27, vcc_lo
	s_delay_alu instid0(VALU_DEP_4) | instskip(SKIP_1) | instid1(VALU_DEP_4)
	v_cndmask_b32_e32 v21, v21, v54, vcc_lo
	v_cmp_eq_u32_e32 vcc_lo, 9, v7
	v_cndmask_b32_e64 v22, v22, v36, s2
	s_delay_alu instid0(VALU_DEP_4) | instskip(NEXT) | instid1(VALU_DEP_4)
	v_cndmask_b32_e64 v23, v23, v28, s2
	v_cndmask_b32_e64 v21, v21, v55, s2
	v_cmp_eq_u32_e64 s2, 10, v7
	s_delay_alu instid0(VALU_DEP_4) | instskip(NEXT) | instid1(VALU_DEP_4)
	v_cndmask_b32_e32 v22, v22, v37, vcc_lo
	v_cndmask_b32_e32 v23, v23, v29, vcc_lo
	s_delay_alu instid0(VALU_DEP_4) | instskip(SKIP_1) | instid1(VALU_DEP_4)
	v_cndmask_b32_e32 v21, v21, v56, vcc_lo
	v_cmp_eq_u32_e32 vcc_lo, 11, v7
	v_cndmask_b32_e64 v22, v22, v38, s2
	s_delay_alu instid0(VALU_DEP_4) | instskip(NEXT) | instid1(VALU_DEP_4)
	v_cndmask_b32_e64 v23, v23, v30, s2
	v_cndmask_b32_e64 v21, v21, v57, s2
	v_cmp_gt_u32_e64 s2, 12, v7
	s_delay_alu instid0(VALU_DEP_2) | instskip(NEXT) | instid1(VALU_DEP_1)
	v_dual_cndmask_b32 v22, v22, v41 :: v_dual_cndmask_b32 v21, v21, v58
	v_cndmask_b32_e64 v24, 0, v22, s2
	s_delay_alu instid0(VALU_DEP_2)
	v_cndmask_b32_e64 v21, 0xff800000, v21, s2
	;;#ASMSTART
	v_max_f32 v25, v21, v21 quad_perm:[1,0,3,2] row_mask:0xf bank_mask:0xf bound_ctrl:1
	;;#ASMEND
	;;#ASMSTART
	v_max_f32 v26, v25, v25 quad_perm:[2,3,0,1] row_mask:0xf bank_mask:0xf bound_ctrl:1
	;;#ASMEND
	;;#ASMSTART
	v_max_f32 v25, v26, v26 row_half_mirror row_mask:0xf bank_mask:0xf bound_ctrl:1
	;;#ASMEND
	;;#ASMSTART
	v_max_f32 v26, v25, v25 row_mirror row_mask:0xf bank_mask:0xf bound_ctrl:1
	;;#ASMEND
	v_permlanex16_b32 v25, v26, s9, 0xfedcba98 op_sel:[1,1]
	s_delay_alu instid0(VALU_DEP_1) | instskip(NEXT) | instid1(VALU_DEP_1)
	v_dual_max_f32 v26, v26, v26 :: v_dual_max_f32 v25, v25, v25
	v_max_f32_e32 v25, v26, v25
	s_delay_alu instid0(VALU_DEP_1) | instskip(SKIP_1) | instid1(VALU_DEP_2)
	v_cmp_eq_f32_e64 s3, v21, v25
	v_cndmask_b32_e32 v21, v23, v31, vcc_lo
	s_ctz_i32_b32 s11, s3
	s_cmp_lg_u32 s3, 0
	s_cselect_b32 s3, s11, 0
	s_add_i32 s10, s10, -1
	v_readlane_b32 s3, v24, s3
	s_delay_alu instid0(VALU_DEP_1)
	v_cmp_eq_u32_e32 vcc_lo, s3, v22
	s_and_b32 vcc_lo, s2, vcc_lo
	s_and_b32 s2, s3, 31
	v_cndmask_b32_e32 v21, 0, v21, vcc_lo
	v_add_co_ci_u32_e32 v7, vcc_lo, 0, v7, vcc_lo
	s_cmp_eq_u32 s10, 0
	s_delay_alu instid0(VALU_DEP_2) | instskip(SKIP_2) | instid1(VALU_DEP_3)
	v_readlane_b32 s11, v21, s2
	v_cmp_eq_u32_e64 s2, 0, v20
	v_add_nc_u32_e32 v20, -1, v20
	v_add_f32_e32 v6, s11, v6
	s_delay_alu instid0(VALU_DEP_3)
	v_cndmask_b32_e64 v2, v2, s11, s2
	v_cndmask_b32_e64 v1, v1, s3, s2
	s_cbranch_scc0 .LBB129_137
; %bb.138:
	s_mov_b32 s2, exec_lo
	v_cmpx_gt_i32_e64 s8, v0
	s_cbranch_execz .LBB129_140
.LBB129_139:
	s_load_b32 s2, s[0:1], 0x30
	v_max_f32_e32 v0, v6, v6
	s_load_b64 s[0:1], s[0:1], 0x20
	s_ashr_i32 s3, s15, 31
	s_delay_alu instid0(VALU_DEP_1) | instskip(SKIP_1) | instid1(VALU_DEP_1)
	v_max_f32_e32 v0, 0x1e3ce508, v0
	s_waitcnt lgkmcnt(0)
	v_div_scale_f32 v3, null, v0, v0, s2
	v_div_scale_f32 v6, vcc_lo, s2, v0, s2
	s_mul_i32 s1, s15, s1
	s_delay_alu instid0(VALU_DEP_2)
	v_rcp_f32_e32 v4, v3
	s_mul_hi_u32 s8, s15, s0
	s_mul_i32 s3, s3, s0
	s_add_i32 s1, s8, s1
	s_mul_i32 s0, s15, s0
	s_add_i32 s1, s1, s3
	s_delay_alu instid0(SALU_CYCLE_1) | instskip(SKIP_2) | instid1(VALU_DEP_1)
	s_lshl_b64 s[0:1], s[0:1], 2
	s_waitcnt_depctr 0xfff
	v_fma_f32 v5, -v3, v4, 1.0
	v_fmac_f32_e32 v4, v5, v4
	s_delay_alu instid0(VALU_DEP_1) | instskip(NEXT) | instid1(VALU_DEP_1)
	v_mul_f32_e32 v5, v6, v4
	v_fma_f32 v7, -v3, v5, v6
	s_delay_alu instid0(VALU_DEP_1) | instskip(NEXT) | instid1(VALU_DEP_1)
	v_fmac_f32_e32 v5, v7, v4
	v_fma_f32 v3, -v3, v5, v6
	s_delay_alu instid0(VALU_DEP_1) | instskip(NEXT) | instid1(VALU_DEP_1)
	v_div_fmas_f32 v3, v3, v4, v5
	v_div_fixup_f32 v0, v3, v0, s2
	s_add_u32 s2, s4, s0
	s_addc_u32 s3, s5, s1
	s_add_u32 s0, s6, s0
	s_addc_u32 s1, s7, s1
	v_mul_f32_e32 v0, v2, v0
	s_clause 0x1
	global_store_b32 v183, v0, s[2:3]
	global_store_b32 v183, v1, s[0:1]
.LBB129_140:
	s_endpgm
.LBB129_141:
	v_dual_mov_b32 v1, 0 :: v_dual_mov_b32 v2, 0
	s_mov_b32 s2, exec_lo
	v_cmpx_gt_i32_e64 s8, v0
	s_cbranch_execnz .LBB129_139
	s_branch .LBB129_140
	.section	.rodata,"a",@progbits
	.p2align	6, 0x0
	.amdhsa_kernel _ZN5aiter24topk_softplus_kernel_optI6__halffLi384ELb1ELi0EEEvPKT_PKT0_PfPimiif
		.amdhsa_group_segment_fixed_size 0
		.amdhsa_private_segment_fixed_size 196
		.amdhsa_kernarg_size 52
		.amdhsa_user_sgpr_count 15
		.amdhsa_user_sgpr_dispatch_ptr 0
		.amdhsa_user_sgpr_queue_ptr 0
		.amdhsa_user_sgpr_kernarg_segment_ptr 1
		.amdhsa_user_sgpr_dispatch_id 0
		.amdhsa_user_sgpr_private_segment_size 0
		.amdhsa_wavefront_size32 1
		.amdhsa_uses_dynamic_stack 0
		.amdhsa_enable_private_segment 1
		.amdhsa_system_sgpr_workgroup_id_x 1
		.amdhsa_system_sgpr_workgroup_id_y 0
		.amdhsa_system_sgpr_workgroup_id_z 0
		.amdhsa_system_sgpr_workgroup_info 0
		.amdhsa_system_vgpr_workitem_id 0
		.amdhsa_next_free_vgpr 184
		.amdhsa_next_free_sgpr 16
		.amdhsa_reserve_vcc 1
		.amdhsa_float_round_mode_32 0
		.amdhsa_float_round_mode_16_64 0
		.amdhsa_float_denorm_mode_32 3
		.amdhsa_float_denorm_mode_16_64 3
		.amdhsa_dx10_clamp 1
		.amdhsa_ieee_mode 1
		.amdhsa_fp16_overflow 0
		.amdhsa_workgroup_processor_mode 1
		.amdhsa_memory_ordered 1
		.amdhsa_forward_progress 0
		.amdhsa_shared_vgpr_count 0
		.amdhsa_exception_fp_ieee_invalid_op 0
		.amdhsa_exception_fp_denorm_src 0
		.amdhsa_exception_fp_ieee_div_zero 0
		.amdhsa_exception_fp_ieee_overflow 0
		.amdhsa_exception_fp_ieee_underflow 0
		.amdhsa_exception_fp_ieee_inexact 0
		.amdhsa_exception_int_div_zero 0
	.end_amdhsa_kernel
	.section	.text._ZN5aiter24topk_softplus_kernel_optI6__halffLi384ELb1ELi0EEEvPKT_PKT0_PfPimiif,"axG",@progbits,_ZN5aiter24topk_softplus_kernel_optI6__halffLi384ELb1ELi0EEEvPKT_PKT0_PfPimiif,comdat
.Lfunc_end129:
	.size	_ZN5aiter24topk_softplus_kernel_optI6__halffLi384ELb1ELi0EEEvPKT_PKT0_PfPimiif, .Lfunc_end129-_ZN5aiter24topk_softplus_kernel_optI6__halffLi384ELb1ELi0EEEvPKT_PKT0_PfPimiif
                                        ; -- End function
	.section	.AMDGPU.csdata,"",@progbits
; Kernel info:
; codeLenInByte = 30480
; NumSgprs: 18
; NumVgprs: 184
; ScratchSize: 196
; MemoryBound: 0
; FloatMode: 240
; IeeeMode: 1
; LDSByteSize: 0 bytes/workgroup (compile time only)
; SGPRBlocks: 2
; VGPRBlocks: 22
; NumSGPRsForWavesPerEU: 18
; NumVGPRsForWavesPerEU: 184
; Occupancy: 8
; WaveLimiterHint : 0
; COMPUTE_PGM_RSRC2:SCRATCH_EN: 1
; COMPUTE_PGM_RSRC2:USER_SGPR: 15
; COMPUTE_PGM_RSRC2:TRAP_HANDLER: 0
; COMPUTE_PGM_RSRC2:TGID_X_EN: 1
; COMPUTE_PGM_RSRC2:TGID_Y_EN: 0
; COMPUTE_PGM_RSRC2:TGID_Z_EN: 0
; COMPUTE_PGM_RSRC2:TIDIG_COMP_CNT: 0
	.section	.text._ZN5aiter24topk_softplus_kernel_optI6__halffLi384ELb0ELi0EEEvPKT_PKT0_PfPimiif,"axG",@progbits,_ZN5aiter24topk_softplus_kernel_optI6__halffLi384ELb0ELi0EEEvPKT_PKT0_PfPimiif,comdat
	.protected	_ZN5aiter24topk_softplus_kernel_optI6__halffLi384ELb0ELi0EEEvPKT_PKT0_PfPimiif ; -- Begin function _ZN5aiter24topk_softplus_kernel_optI6__halffLi384ELb0ELi0EEEvPKT_PKT0_PfPimiif
	.globl	_ZN5aiter24topk_softplus_kernel_optI6__halffLi384ELb0ELi0EEEvPKT_PKT0_PfPimiif
	.p2align	8
	.type	_ZN5aiter24topk_softplus_kernel_optI6__halffLi384ELb0ELi0EEEvPKT_PKT0_PfPimiif,@function
_ZN5aiter24topk_softplus_kernel_optI6__halffLi384ELb0ELi0EEEvPKT_PKT0_PfPimiif: ; @_ZN5aiter24topk_softplus_kernel_optI6__halffLi384ELb0ELi0EEEvPKT_PKT0_PfPimiif
; %bb.0:
	s_load_b128 s[4:7], s[0:1], 0x0
	s_mul_i32 s2, s15, 0x180
	v_lshlrev_b32_e32 v1, 1, v0
	s_ashr_i32 s3, s2, 31
	v_lshlrev_b32_e32 v183, 2, v0
	s_lshl_b64 s[2:3], s[2:3], 1
	s_waitcnt lgkmcnt(0)
	s_add_u32 s8, s4, s2
	s_addc_u32 s9, s5, s3
	s_mov_b32 s4, 0x3fb8aa3b
	global_load_u16 v2, v1, s[8:9]
	s_cmp_lg_u64 s[6:7], 0
	s_cselect_b32 s3, -1, 0
	s_waitcnt vmcnt(0)
	v_cvt_f32_f16_e32 v3, v2
	s_delay_alu instid0(VALU_DEP_1) | instskip(NEXT) | instid1(VALU_DEP_1)
	v_mul_f32_e32 v4, 0x3fb8aa3b, v3
	v_cmp_gt_f32_e32 vcc_lo, 0xc2fc0000, v4
	v_cndmask_b32_e64 v4, 0, 0x42800000, vcc_lo
	v_cndmask_b32_e64 v5, 1.0, 0x1f800000, vcc_lo
	s_delay_alu instid0(VALU_DEP_2) | instskip(NEXT) | instid1(VALU_DEP_1)
	v_fma_mix_f32 v4, v2, s4, v4 op_sel_hi:[1,0,0]
	v_exp_f32_e32 v4, v4
	s_waitcnt_depctr 0xfff
	v_fma_f32 v4, v4, v5, 1.0
	s_delay_alu instid0(VALU_DEP_1) | instskip(SKIP_1) | instid1(VALU_DEP_1)
	v_cmp_gt_f32_e32 vcc_lo, 0x800000, v4
	v_cndmask_b32_e64 v5, 1.0, 0x4f800000, vcc_lo
	v_mul_f32_e32 v4, v4, v5
	v_cndmask_b32_e64 v5, 0, 0x42000000, vcc_lo
	v_cmp_lt_f16_e32 vcc_lo, 0x4d00, v2
	s_delay_alu instid0(VALU_DEP_3) | instskip(SKIP_2) | instid1(VALU_DEP_1)
	v_log_f32_e32 v4, v4
	s_waitcnt_depctr 0xfff
	v_sub_f32_e32 v4, v4, v5
	v_mul_f32_e32 v4, 0x3f317218, v4
	s_delay_alu instid0(VALU_DEP_1) | instskip(NEXT) | instid1(VALU_DEP_1)
	v_cndmask_b32_e32 v2, v4, v3, vcc_lo
	v_mul_f32_e32 v3, 0x4f800000, v2
	v_cmp_gt_f32_e32 vcc_lo, 0xf800000, v2
	s_delay_alu instid0(VALU_DEP_2) | instskip(NEXT) | instid1(VALU_DEP_1)
	v_cndmask_b32_e32 v2, v2, v3, vcc_lo
	v_sqrt_f32_e32 v3, v2
	s_waitcnt_depctr 0xfff
	v_add_nc_u32_e32 v4, -1, v3
	v_add_nc_u32_e32 v5, 1, v3
	s_delay_alu instid0(VALU_DEP_2) | instskip(NEXT) | instid1(VALU_DEP_2)
	v_fma_f32 v6, -v4, v3, v2
	v_fma_f32 v7, -v5, v3, v2
	s_delay_alu instid0(VALU_DEP_2) | instskip(NEXT) | instid1(VALU_DEP_1)
	v_cmp_ge_f32_e64 s2, 0, v6
	v_cndmask_b32_e64 v3, v3, v4, s2
	s_delay_alu instid0(VALU_DEP_3) | instskip(NEXT) | instid1(VALU_DEP_1)
	v_cmp_lt_f32_e64 s2, 0, v7
	v_cndmask_b32_e64 v3, v3, v5, s2
	v_add_co_u32 v12, s2, s8, v1
	s_delay_alu instid0(VALU_DEP_1) | instskip(NEXT) | instid1(VALU_DEP_3)
	v_add_co_ci_u32_e64 v13, null, s9, 0, s2
	v_mul_f32_e32 v4, 0x37800000, v3
	s_delay_alu instid0(VALU_DEP_1) | instskip(SKIP_1) | instid1(VALU_DEP_2)
	v_cndmask_b32_e32 v3, v3, v4, vcc_lo
	v_cmp_class_f32_e64 vcc_lo, v2, 0x260
	v_cndmask_b32_e32 v49, v3, v2, vcc_lo
	s_and_b32 vcc_lo, exec_lo, s3
	s_delay_alu instid0(VALU_DEP_1)
	v_mov_b32_e32 v37, v49
	s_cbranch_vccz .LBB130_2
; %bb.1:
	global_load_b32 v1, v183, s[6:7]
	s_waitcnt vmcnt(0)
	v_add_f32_e32 v37, v49, v1
.LBB130_2:
	global_load_u16 v1, v[12:13], off offset:64
	s_waitcnt vmcnt(0)
	v_cvt_f32_f16_e32 v2, v1
	s_delay_alu instid0(VALU_DEP_1) | instskip(NEXT) | instid1(VALU_DEP_1)
	v_mul_f32_e32 v3, 0x3fb8aa3b, v2
	v_cmp_gt_f32_e32 vcc_lo, 0xc2fc0000, v3
	v_cndmask_b32_e64 v4, 0, 0x42800000, vcc_lo
	v_cndmask_b32_e64 v3, 1.0, 0x1f800000, vcc_lo
	s_delay_alu instid0(VALU_DEP_2) | instskip(NEXT) | instid1(VALU_DEP_1)
	v_fma_mix_f32 v4, v1, s4, v4 op_sel_hi:[1,0,0]
	v_exp_f32_e32 v4, v4
	s_waitcnt_depctr 0xfff
	v_fma_f32 v3, v4, v3, 1.0
	s_delay_alu instid0(VALU_DEP_1) | instskip(SKIP_1) | instid1(VALU_DEP_1)
	v_cmp_gt_f32_e32 vcc_lo, 0x800000, v3
	v_cndmask_b32_e64 v4, 1.0, 0x4f800000, vcc_lo
	v_mul_f32_e32 v3, v3, v4
	v_cndmask_b32_e64 v4, 0, 0x42000000, vcc_lo
	v_cmp_lt_f16_e32 vcc_lo, 0x4d00, v1
	s_delay_alu instid0(VALU_DEP_3) | instskip(SKIP_2) | instid1(VALU_DEP_1)
	v_log_f32_e32 v3, v3
	s_waitcnt_depctr 0xfff
	v_sub_f32_e32 v3, v3, v4
	v_mul_f32_e32 v3, 0x3f317218, v3
	s_delay_alu instid0(VALU_DEP_1) | instskip(NEXT) | instid1(VALU_DEP_1)
	v_cndmask_b32_e32 v1, v3, v2, vcc_lo
	v_mul_f32_e32 v2, 0x4f800000, v1
	v_cmp_gt_f32_e32 vcc_lo, 0xf800000, v1
	s_delay_alu instid0(VALU_DEP_2) | instskip(NEXT) | instid1(VALU_DEP_1)
	v_cndmask_b32_e32 v2, v1, v2, vcc_lo
	v_sqrt_f32_e32 v1, v2
	s_waitcnt_depctr 0xfff
	v_add_nc_u32_e32 v3, -1, v1
	v_add_nc_u32_e32 v4, 1, v1
	s_delay_alu instid0(VALU_DEP_2) | instskip(NEXT) | instid1(VALU_DEP_2)
	v_fma_f32 v5, -v3, v1, v2
	v_fma_f32 v6, -v4, v1, v2
	s_delay_alu instid0(VALU_DEP_2) | instskip(NEXT) | instid1(VALU_DEP_1)
	v_cmp_ge_f32_e64 s2, 0, v5
	v_cndmask_b32_e64 v1, v1, v3, s2
	s_delay_alu instid0(VALU_DEP_3) | instskip(NEXT) | instid1(VALU_DEP_1)
	v_cmp_lt_f32_e64 s2, 0, v6
	v_cndmask_b32_e64 v1, v1, v4, s2
	s_delay_alu instid0(VALU_DEP_1) | instskip(NEXT) | instid1(VALU_DEP_1)
	v_mul_f32_e32 v3, 0x37800000, v1
	v_cndmask_b32_e32 v3, v1, v3, vcc_lo
	v_cmp_class_f32_e64 vcc_lo, v2, 0x260
	v_cndmask_b32_e64 v1, 0, 1, s3
	s_delay_alu instid0(VALU_DEP_3) | instskip(SKIP_1) | instid1(VALU_DEP_1)
	v_cndmask_b32_e32 v2, v3, v2, vcc_lo
	s_and_not1_b32 vcc_lo, exec_lo, s3
	v_mov_b32_e32 v38, v2
	s_cbranch_vccnz .LBB130_4
; %bb.3:
	global_load_b32 v3, v183, s[6:7] offset:128
	s_waitcnt vmcnt(0)
	v_add_f32_e32 v38, v2, v3
.LBB130_4:
	global_load_u16 v3, v[12:13], off offset:128
	s_mov_b32 s3, 0x3fb8aa3b
	s_waitcnt vmcnt(0)
	v_cvt_f32_f16_e32 v4, v3
	s_delay_alu instid0(VALU_DEP_1) | instskip(NEXT) | instid1(VALU_DEP_1)
	v_mul_f32_e32 v5, 0x3fb8aa3b, v4
	v_cmp_gt_f32_e32 vcc_lo, 0xc2fc0000, v5
	v_cndmask_b32_e64 v6, 0, 0x42800000, vcc_lo
	v_cndmask_b32_e64 v5, 1.0, 0x1f800000, vcc_lo
	s_delay_alu instid0(VALU_DEP_2) | instskip(NEXT) | instid1(VALU_DEP_1)
	v_fma_mix_f32 v6, v3, s3, v6 op_sel_hi:[1,0,0]
	v_exp_f32_e32 v6, v6
	s_waitcnt_depctr 0xfff
	v_fma_f32 v5, v6, v5, 1.0
	s_delay_alu instid0(VALU_DEP_1) | instskip(SKIP_1) | instid1(VALU_DEP_1)
	v_cmp_gt_f32_e32 vcc_lo, 0x800000, v5
	v_cndmask_b32_e64 v6, 1.0, 0x4f800000, vcc_lo
	v_mul_f32_e32 v5, v5, v6
	v_cndmask_b32_e64 v6, 0, 0x42000000, vcc_lo
	v_cmp_lt_f16_e32 vcc_lo, 0x4d00, v3
	s_delay_alu instid0(VALU_DEP_3) | instskip(SKIP_2) | instid1(VALU_DEP_1)
	v_log_f32_e32 v5, v5
	s_waitcnt_depctr 0xfff
	v_sub_f32_e32 v5, v5, v6
	v_mul_f32_e32 v5, 0x3f317218, v5
	s_delay_alu instid0(VALU_DEP_1) | instskip(NEXT) | instid1(VALU_DEP_1)
	v_cndmask_b32_e32 v3, v5, v4, vcc_lo
	v_mul_f32_e32 v4, 0x4f800000, v3
	v_cmp_gt_f32_e32 vcc_lo, 0xf800000, v3
	s_delay_alu instid0(VALU_DEP_2) | instskip(NEXT) | instid1(VALU_DEP_1)
	v_cndmask_b32_e32 v3, v3, v4, vcc_lo
	v_sqrt_f32_e32 v4, v3
	s_waitcnt_depctr 0xfff
	v_add_nc_u32_e32 v5, -1, v4
	v_add_nc_u32_e32 v6, 1, v4
	s_delay_alu instid0(VALU_DEP_2) | instskip(NEXT) | instid1(VALU_DEP_2)
	v_fma_f32 v7, -v5, v4, v3
	v_fma_f32 v8, -v6, v4, v3
	s_delay_alu instid0(VALU_DEP_2) | instskip(NEXT) | instid1(VALU_DEP_1)
	v_cmp_ge_f32_e64 s2, 0, v7
	v_cndmask_b32_e64 v4, v4, v5, s2
	s_delay_alu instid0(VALU_DEP_3) | instskip(NEXT) | instid1(VALU_DEP_1)
	v_cmp_lt_f32_e64 s2, 0, v8
	v_cndmask_b32_e64 v4, v4, v6, s2
	s_delay_alu instid0(VALU_DEP_1) | instskip(NEXT) | instid1(VALU_DEP_1)
	v_mul_f32_e32 v5, 0x37800000, v4
	v_cndmask_b32_e32 v4, v4, v5, vcc_lo
	v_cmp_class_f32_e64 vcc_lo, v3, 0x260
	s_delay_alu instid0(VALU_DEP_2) | instskip(SKIP_1) | instid1(VALU_DEP_2)
	v_cndmask_b32_e32 v3, v4, v3, vcc_lo
	v_cmp_ne_u32_e32 vcc_lo, 1, v1
	v_mov_b32_e32 v39, v3
	s_cbranch_vccnz .LBB130_6
; %bb.5:
	global_load_b32 v4, v183, s[6:7] offset:256
	s_waitcnt vmcnt(0)
	v_add_f32_e32 v39, v3, v4
.LBB130_6:
	global_load_u16 v4, v[12:13], off offset:192
	s_waitcnt vmcnt(0)
	v_cvt_f32_f16_e32 v5, v4
	s_delay_alu instid0(VALU_DEP_1) | instskip(NEXT) | instid1(VALU_DEP_1)
	v_mul_f32_e32 v6, 0x3fb8aa3b, v5
	v_cmp_gt_f32_e32 vcc_lo, 0xc2fc0000, v6
	v_cndmask_b32_e64 v7, 0, 0x42800000, vcc_lo
	v_cndmask_b32_e64 v6, 1.0, 0x1f800000, vcc_lo
	s_delay_alu instid0(VALU_DEP_2) | instskip(NEXT) | instid1(VALU_DEP_1)
	v_fma_mix_f32 v7, v4, s3, v7 op_sel_hi:[1,0,0]
	v_exp_f32_e32 v7, v7
	s_waitcnt_depctr 0xfff
	v_fma_f32 v6, v7, v6, 1.0
	s_delay_alu instid0(VALU_DEP_1) | instskip(SKIP_1) | instid1(VALU_DEP_1)
	v_cmp_gt_f32_e32 vcc_lo, 0x800000, v6
	v_cndmask_b32_e64 v7, 1.0, 0x4f800000, vcc_lo
	v_mul_f32_e32 v6, v6, v7
	v_cndmask_b32_e64 v7, 0, 0x42000000, vcc_lo
	v_cmp_lt_f16_e32 vcc_lo, 0x4d00, v4
	s_delay_alu instid0(VALU_DEP_3) | instskip(SKIP_2) | instid1(VALU_DEP_1)
	v_log_f32_e32 v6, v6
	s_waitcnt_depctr 0xfff
	v_sub_f32_e32 v6, v6, v7
	v_mul_f32_e32 v6, 0x3f317218, v6
	s_delay_alu instid0(VALU_DEP_1) | instskip(NEXT) | instid1(VALU_DEP_1)
	v_cndmask_b32_e32 v4, v6, v5, vcc_lo
	v_mul_f32_e32 v5, 0x4f800000, v4
	v_cmp_gt_f32_e32 vcc_lo, 0xf800000, v4
	s_delay_alu instid0(VALU_DEP_2) | instskip(NEXT) | instid1(VALU_DEP_1)
	v_cndmask_b32_e32 v4, v4, v5, vcc_lo
	v_sqrt_f32_e32 v5, v4
	s_waitcnt_depctr 0xfff
	v_add_nc_u32_e32 v6, -1, v5
	v_add_nc_u32_e32 v7, 1, v5
	s_delay_alu instid0(VALU_DEP_2) | instskip(NEXT) | instid1(VALU_DEP_2)
	v_fma_f32 v8, -v6, v5, v4
	v_fma_f32 v9, -v7, v5, v4
	s_delay_alu instid0(VALU_DEP_2) | instskip(NEXT) | instid1(VALU_DEP_1)
	v_cmp_ge_f32_e64 s2, 0, v8
	v_cndmask_b32_e64 v5, v5, v6, s2
	s_delay_alu instid0(VALU_DEP_3) | instskip(NEXT) | instid1(VALU_DEP_1)
	v_cmp_lt_f32_e64 s2, 0, v9
	v_cndmask_b32_e64 v5, v5, v7, s2
	s_delay_alu instid0(VALU_DEP_1) | instskip(NEXT) | instid1(VALU_DEP_1)
	v_mul_f32_e32 v6, 0x37800000, v5
	v_cndmask_b32_e32 v5, v5, v6, vcc_lo
	v_cmp_class_f32_e64 vcc_lo, v4, 0x260
	s_delay_alu instid0(VALU_DEP_2) | instskip(SKIP_1) | instid1(VALU_DEP_2)
	v_cndmask_b32_e32 v4, v5, v4, vcc_lo
	v_cmp_ne_u32_e32 vcc_lo, 1, v1
	v_mov_b32_e32 v40, v4
	s_cbranch_vccnz .LBB130_8
; %bb.7:
	global_load_b32 v5, v183, s[6:7] offset:384
	s_waitcnt vmcnt(0)
	v_add_f32_e32 v40, v4, v5
.LBB130_8:
	global_load_u16 v5, v[12:13], off offset:256
	;; [unrolled: 57-line block ×9, first 2 shown]
	s_waitcnt vmcnt(0)
	v_cvt_f32_f16_e32 v13, v12
	s_delay_alu instid0(VALU_DEP_1) | instskip(NEXT) | instid1(VALU_DEP_1)
	v_mul_f32_e32 v14, 0x3fb8aa3b, v13
	v_cmp_gt_f32_e32 vcc_lo, 0xc2fc0000, v14
	v_cndmask_b32_e64 v15, 0, 0x42800000, vcc_lo
	v_cndmask_b32_e64 v14, 1.0, 0x1f800000, vcc_lo
	s_delay_alu instid0(VALU_DEP_2) | instskip(NEXT) | instid1(VALU_DEP_1)
	v_fma_mix_f32 v15, v12, s3, v15 op_sel_hi:[1,0,0]
	v_exp_f32_e32 v15, v15
	s_waitcnt_depctr 0xfff
	v_fma_f32 v14, v15, v14, 1.0
	s_delay_alu instid0(VALU_DEP_1) | instskip(SKIP_1) | instid1(VALU_DEP_1)
	v_cmp_gt_f32_e32 vcc_lo, 0x800000, v14
	v_cndmask_b32_e64 v15, 1.0, 0x4f800000, vcc_lo
	v_mul_f32_e32 v14, v14, v15
	v_cndmask_b32_e64 v15, 0, 0x42000000, vcc_lo
	v_cmp_lt_f16_e32 vcc_lo, 0x4d00, v12
	s_delay_alu instid0(VALU_DEP_3) | instskip(SKIP_2) | instid1(VALU_DEP_1)
	v_log_f32_e32 v14, v14
	s_waitcnt_depctr 0xfff
	v_sub_f32_e32 v14, v14, v15
	v_mul_f32_e32 v14, 0x3f317218, v14
	s_delay_alu instid0(VALU_DEP_1) | instskip(NEXT) | instid1(VALU_DEP_1)
	v_cndmask_b32_e32 v12, v14, v13, vcc_lo
	v_mul_f32_e32 v13, 0x4f800000, v12
	v_cmp_gt_f32_e32 vcc_lo, 0xf800000, v12
	s_delay_alu instid0(VALU_DEP_2) | instskip(NEXT) | instid1(VALU_DEP_1)
	v_cndmask_b32_e32 v12, v12, v13, vcc_lo
	v_sqrt_f32_e32 v13, v12
	s_waitcnt_depctr 0xfff
	v_add_nc_u32_e32 v14, -1, v13
	v_add_nc_u32_e32 v15, 1, v13
	s_delay_alu instid0(VALU_DEP_2) | instskip(NEXT) | instid1(VALU_DEP_2)
	v_fma_f32 v16, -v14, v13, v12
	v_fma_f32 v17, -v15, v13, v12
	s_delay_alu instid0(VALU_DEP_2) | instskip(NEXT) | instid1(VALU_DEP_1)
	v_cmp_ge_f32_e64 s2, 0, v16
	v_cndmask_b32_e64 v13, v13, v14, s2
	s_delay_alu instid0(VALU_DEP_3) | instskip(NEXT) | instid1(VALU_DEP_1)
	v_cmp_lt_f32_e64 s2, 0, v17
	v_cndmask_b32_e64 v13, v13, v15, s2
	s_delay_alu instid0(VALU_DEP_1) | instskip(NEXT) | instid1(VALU_DEP_1)
	v_mul_f32_e32 v14, 0x37800000, v13
	v_cndmask_b32_e32 v13, v13, v14, vcc_lo
	v_cmp_class_f32_e64 vcc_lo, v12, 0x260
	s_delay_alu instid0(VALU_DEP_2)
	v_cndmask_b32_e32 v12, v13, v12, vcc_lo
	v_cmp_ne_u32_e32 vcc_lo, 1, v1
	s_cbranch_vccnz .LBB130_24
; %bb.23:
	global_load_b32 v1, v183, s[6:7] offset:1408
	s_waitcnt vmcnt(0)
	v_add_f32_e32 v48, v12, v1
	s_branch .LBB130_25
.LBB130_24:
	s_delay_alu instid0(VALU_DEP_2)
	v_mov_b32_e32 v48, v12
.LBB130_25:
	v_dual_mov_b32 v13, v37 :: v_dual_add_nc_u32 v26, 32, v0
	v_dual_mov_b32 v14, v38 :: v_dual_add_nc_u32 v27, 64, v0
	;; [unrolled: 1-line block ×11, first 2 shown]
	v_dual_mov_b32 v24, v48 :: v_dual_mov_b32 v1, v49
	v_mov_b32_e32 v25, v0
	s_mov_b32 s2, exec_lo
	v_cmpx_lt_f32_e32 v37, v38
	s_xor_b32 s2, exec_lo, s2
; %bb.26:
	v_dual_mov_b32 v13, v38 :: v_dual_mov_b32 v14, v37
	v_dual_mov_b32 v15, v39 :: v_dual_mov_b32 v16, v40
	v_dual_mov_b32 v17, v41 :: v_dual_mov_b32 v18, v42
	v_dual_mov_b32 v19, v43 :: v_dual_mov_b32 v20, v44
	v_dual_mov_b32 v21, v45 :: v_dual_mov_b32 v22, v46
	v_dual_mov_b32 v23, v47 :: v_dual_mov_b32 v24, v48
	v_dual_mov_b32 v38, v37 :: v_dual_mov_b32 v1, v2
	v_dual_mov_b32 v2, v49 :: v_dual_mov_b32 v25, v26
	v_mov_b32_e32 v26, v0
; %bb.27:
	s_or_b32 exec_lo, exec_lo, s2
	v_dual_mov_b32 v37, v15 :: v_dual_mov_b32 v86, v12
	v_dual_mov_b32 v75, v1 :: v_dual_mov_b32 v146, v12
	v_dual_mov_b32 v135, v1 :: v_dual_mov_b32 v122, v12
	v_dual_mov_b32 v111, v1 :: v_dual_mov_b32 v62, v12
	v_dual_mov_b32 v51, v1 :: v_dual_mov_b32 v134, v12
	v_dual_mov_b32 v123, v1 :: v_dual_mov_b32 v74, v36
	v_dual_mov_b32 v63, v25 :: v_dual_mov_b32 v98, v36
	v_dual_mov_b32 v87, v25 :: v_dual_mov_b32 v50, v36
	v_dual_mov_b32 v39, v25 :: v_dual_mov_b32 v110, v36
	v_dual_mov_b32 v99, v25 :: v_dual_mov_b32 v158, v36
	v_dual_mov_b32 v147, v25 :: v_dual_mov_b32 v170, v36
	v_dual_mov_b32 v85, v11 :: v_dual_mov_b32 v84, v10
	v_dual_mov_b32 v83, v9 :: v_dual_mov_b32 v82, v8
	v_dual_mov_b32 v81, v7 :: v_dual_mov_b32 v80, v6
	v_dual_mov_b32 v79, v5 :: v_dual_mov_b32 v78, v4
	v_dual_mov_b32 v77, v3 :: v_dual_mov_b32 v76, v2
	v_dual_mov_b32 v145, v11 :: v_dual_mov_b32 v144, v10
	v_dual_mov_b32 v143, v9 :: v_dual_mov_b32 v142, v8
	v_dual_mov_b32 v141, v7 :: v_dual_mov_b32 v140, v6
	v_dual_mov_b32 v139, v5 :: v_dual_mov_b32 v138, v4
	v_dual_mov_b32 v137, v3 :: v_dual_mov_b32 v136, v2
	v_dual_mov_b32 v121, v11 :: v_dual_mov_b32 v120, v10
	v_dual_mov_b32 v119, v9 :: v_dual_mov_b32 v118, v8
	v_dual_mov_b32 v117, v7 :: v_dual_mov_b32 v116, v6
	v_dual_mov_b32 v115, v5 :: v_dual_mov_b32 v114, v4
	v_dual_mov_b32 v113, v3 :: v_dual_mov_b32 v112, v2
	v_dual_mov_b32 v61, v11 :: v_dual_mov_b32 v60, v10
	v_dual_mov_b32 v59, v9 :: v_dual_mov_b32 v58, v8
	v_dual_mov_b32 v57, v7 :: v_dual_mov_b32 v56, v6
	v_dual_mov_b32 v55, v5 :: v_dual_mov_b32 v54, v4
	v_dual_mov_b32 v53, v3 :: v_dual_mov_b32 v52, v2
	v_dual_mov_b32 v133, v11 :: v_dual_mov_b32 v132, v10
	v_dual_mov_b32 v131, v9 :: v_dual_mov_b32 v130, v8
	v_dual_mov_b32 v129, v7 :: v_dual_mov_b32 v128, v6
	v_dual_mov_b32 v127, v5 :: v_dual_mov_b32 v126, v4
	v_dual_mov_b32 v125, v3 :: v_dual_mov_b32 v124, v2
	s_clause 0x8
	scratch_store_b128 off, v[1:4], off
	scratch_store_b128 off, v[5:8], off offset:16
	scratch_store_b128 off, v[9:12], off offset:32
	;; [unrolled: 1-line block ×8, first 2 shown]
	v_dual_mov_b32 v73, v35 :: v_dual_mov_b32 v72, v34
	v_dual_mov_b32 v71, v33 :: v_dual_mov_b32 v70, v32
	;; [unrolled: 1-line block ×30, first 2 shown]
	v_mov_b32_e32 v159, v25
	s_clause 0x2
	scratch_store_b128 off, v[25:28], off offset:144
	scratch_store_b128 off, v[29:32], off offset:160
	;; [unrolled: 1-line block ×3, first 2 shown]
	s_mov_b32 s2, exec_lo
	v_dual_mov_b32 v182, v36 :: v_dual_mov_b32 v181, v35
	v_dual_mov_b32 v180, v34 :: v_dual_mov_b32 v179, v33
	;; [unrolled: 1-line block ×6, first 2 shown]
	v_cmpx_lt_f32_e32 v38, v15
	s_cbranch_execz .LBB130_29
; %bb.28:
	v_dual_mov_b32 v37, v38 :: v_dual_mov_b32 v182, v36
	v_dual_mov_b32 v173, v27 :: v_dual_mov_b32 v172, v26
	;; [unrolled: 1-line block ×14, first 2 shown]
	v_mov_b32_e32 v125, v2
	v_dual_mov_b32 v159, v171 :: v_dual_mov_b32 v162, v174
	v_dual_mov_b32 v161, v173 :: v_dual_mov_b32 v164, v176
	v_dual_mov_b32 v160, v172 :: v_dual_mov_b32 v163, v175
	v_dual_mov_b32 v166, v178 :: v_dual_mov_b32 v165, v177
	v_dual_mov_b32 v168, v180 :: v_dual_mov_b32 v167, v179
	v_dual_mov_b32 v170, v182 :: v_dual_mov_b32 v169, v181
	v_mov_b32_e32 v162, v28
	s_clause 0x2
	scratch_store_b128 off, v[123:126], off offset:96
	scratch_store_b128 off, v[127:130], off offset:112
	;; [unrolled: 1-line block ×3, first 2 shown]
	v_dual_mov_b32 v14, v15 :: v_dual_mov_b32 v15, v38
	v_dual_mov_b32 v43, v164 :: v_dual_mov_b32 v44, v165
	;; [unrolled: 1-line block ×7, first 2 shown]
	s_clause 0x2
	scratch_store_b128 off, v[38:41], off offset:144
	scratch_store_b128 off, v[42:45], off offset:160
	scratch_store_b128 off, v[46:49], off offset:176
	v_mov_b32_e32 v163, v29
	v_mov_b32_e32 v27, v26
	v_dual_mov_b32 v43, v128 :: v_dual_mov_b32 v44, v129
	v_dual_mov_b32 v47, v132 :: v_dual_mov_b32 v38, v123
	;; [unrolled: 1-line block ×5, first 2 shown]
	v_mov_b32_e32 v41, v126
	v_dual_mov_b32 v147, v159 :: v_dual_mov_b32 v154, v166
	v_mov_b32_e32 v148, v160
	v_mov_b32_e32 v150, v162
	s_clause 0x2
	scratch_store_b128 off, v[38:41], off offset:48
	scratch_store_b128 off, v[42:45], off offset:64
	;; [unrolled: 1-line block ×3, first 2 shown]
	v_dual_mov_b32 v127, v5 :: v_dual_mov_b32 v152, v164
	v_dual_mov_b32 v153, v165 :: v_dual_mov_b32 v152, v30
	;; [unrolled: 1-line block ×7, first 2 shown]
	v_mov_b32_e32 v41, v126
	v_dual_mov_b32 v128, v6 :: v_dual_mov_b32 v99, v147
	v_dual_mov_b32 v105, v153 :: v_dual_mov_b32 v106, v154
	v_dual_mov_b32 v109, v157 :: v_dual_mov_b32 v110, v158
	v_mov_b32_e32 v105, v31
	v_dual_mov_b32 v103, v151 :: v_dual_mov_b32 v104, v152
	v_dual_mov_b32 v107, v155 :: v_dual_mov_b32 v108, v156
	;; [unrolled: 1-line block ×6, first 2 shown]
	v_mov_b32_e32 v60, v132
	v_dual_mov_b32 v52, v124 :: v_dual_mov_b32 v55, v127
	v_dual_mov_b32 v58, v130 :: v_dual_mov_b32 v61, v133
	v_mov_b32_e32 v57, v7
	v_dual_mov_b32 v53, v125 :: v_dual_mov_b32 v56, v128
	s_clause 0x2
	scratch_store_b128 off, v[38:41], off
	scratch_store_b128 off, v[42:45], off offset:16
	scratch_store_b128 off, v[46:49], off offset:32
	v_dual_mov_b32 v39, v99 :: v_dual_mov_b32 v44, v104
	v_dual_mov_b32 v45, v105 :: v_dual_mov_b32 v50, v110
	;; [unrolled: 1-line block ×6, first 2 shown]
	v_mov_b32_e32 v122, v62
	v_dual_mov_b32 v46, v32 :: v_dual_mov_b32 v111, v51
	v_dual_mov_b32 v121, v61 :: v_dual_mov_b32 v120, v60
	v_dual_mov_b32 v119, v59 :: v_dual_mov_b32 v118, v58
	v_dual_mov_b32 v117, v57 :: v_dual_mov_b32 v116, v56
	v_dual_mov_b32 v115, v55 :: v_dual_mov_b32 v114, v54
	v_dual_mov_b32 v113, v53 :: v_dual_mov_b32 v112, v52
	v_mov_b32_e32 v118, v8
	v_dual_mov_b32 v98, v50 :: v_dual_mov_b32 v97, v49
	v_dual_mov_b32 v96, v48 :: v_dual_mov_b32 v95, v47
	;; [unrolled: 1-line block ×7, first 2 shown]
	v_mov_b32_e32 v135, v111
	v_dual_mov_b32 v3, v2 :: v_dual_mov_b32 v144, v120
	v_dual_mov_b32 v145, v121 :: v_dual_mov_b32 v142, v118
	;; [unrolled: 1-line block ×5, first 2 shown]
	v_mov_b32_e32 v137, v113
	v_mov_b32_e32 v143, v9
	v_dual_mov_b32 v63, v87 :: v_dual_mov_b32 v70, v94
	v_mov_b32_e32 v64, v88
	v_mov_b32_e32 v66, v90
	v_dual_mov_b32 v68, v92 :: v_dual_mov_b32 v75, v135
	v_dual_mov_b32 v80, v140 :: v_dual_mov_b32 v65, v89
	;; [unrolled: 1-line block ×13, first 2 shown]
.LBB130_29:
	s_or_b32 exec_lo, exec_lo, s2
	v_mov_b32_e32 v1, v16
	s_mov_b32 s2, exec_lo
	v_cmpx_lt_f32_e32 v37, v16
	s_cbranch_execz .LBB130_31
; %bb.30:
	s_clause 0x2
	scratch_load_b128 v[38:41], off, off offset:96
	scratch_load_b128 v[42:45], off, off offset:112
	scratch_load_b128 v[46:49], off, off offset:128
	v_mov_b32_e32 v173, v28
	v_dual_mov_b32 v15, v16 :: v_dual_mov_b32 v16, v37
	v_dual_mov_b32 v1, v37 :: v_dual_mov_b32 v28, v27
	s_waitcnt vmcnt(2)
	v_dual_mov_b32 v124, v39 :: v_dual_mov_b32 v123, v38
	s_waitcnt vmcnt(0)
	v_dual_mov_b32 v134, v49 :: v_dual_mov_b32 v125, v4
	v_dual_mov_b32 v159, v171 :: v_dual_mov_b32 v160, v172
	v_mov_b32_e32 v162, v174
	v_dual_mov_b32 v38, v123 :: v_dual_mov_b32 v39, v124
	v_dual_mov_b32 v161, v173 :: v_dual_mov_b32 v164, v176
	;; [unrolled: 1-line block ×10, first 2 shown]
	v_mov_b32_e32 v126, v41
	s_clause 0x2
	scratch_store_b128 off, v[38:41], off offset:96
	scratch_store_b128 off, v[42:45], off offset:112
	;; [unrolled: 1-line block ×3, first 2 shown]
	v_dual_mov_b32 v43, v164 :: v_dual_mov_b32 v38, v159
	v_dual_mov_b32 v41, v162 :: v_dual_mov_b32 v126, v3
	;; [unrolled: 1-line block ×7, first 2 shown]
	s_clause 0x2
	scratch_store_b128 off, v[38:41], off offset:144
	scratch_store_b128 off, v[42:45], off offset:160
	;; [unrolled: 1-line block ×3, first 2 shown]
	v_dual_mov_b32 v43, v128 :: v_dual_mov_b32 v46, v131
	v_dual_mov_b32 v49, v134 :: v_dual_mov_b32 v38, v123
	;; [unrolled: 1-line block ×5, first 2 shown]
	v_mov_b32_e32 v41, v126
	v_dual_mov_b32 v147, v159 :: v_dual_mov_b32 v152, v164
	v_dual_mov_b32 v148, v160 :: v_dual_mov_b32 v127, v5
	;; [unrolled: 1-line block ×7, first 2 shown]
	s_clause 0x2
	scratch_store_b128 off, v[38:41], off offset:48
	scratch_store_b128 off, v[42:45], off offset:64
	;; [unrolled: 1-line block ×3, first 2 shown]
	v_dual_mov_b32 v38, v123 :: v_dual_mov_b32 v39, v124
	v_dual_mov_b32 v40, v125 :: v_dual_mov_b32 v41, v126
	v_mov_b32_e32 v42, v127
	v_dual_mov_b32 v128, v6 :: v_dual_mov_b32 v99, v147
	v_dual_mov_b32 v106, v154 :: v_dual_mov_b32 v107, v155
	;; [unrolled: 1-line block ×3, first 2 shown]
	v_mov_b32_e32 v52, v124
	v_dual_mov_b32 v100, v148 :: v_dual_mov_b32 v101, v149
	v_dual_mov_b32 v102, v150 :: v_dual_mov_b32 v103, v151
	;; [unrolled: 1-line block ×6, first 2 shown]
	v_mov_b32_e32 v105, v31
	v_dual_mov_b32 v57, v129 :: v_dual_mov_b32 v58, v130
	v_dual_mov_b32 v53, v125 :: v_dual_mov_b32 v54, v126
	;; [unrolled: 1-line block ×3, first 2 shown]
	v_mov_b32_e32 v57, v7
	s_clause 0x2
	scratch_store_b128 off, v[38:41], off
	scratch_store_b128 off, v[42:45], off offset:16
	scratch_store_b128 off, v[46:49], off offset:32
	v_dual_mov_b32 v39, v99 :: v_dual_mov_b32 v42, v102
	v_dual_mov_b32 v47, v107 :: v_dual_mov_b32 v50, v110
	;; [unrolled: 1-line block ×9, first 2 shown]
	v_mov_b32_e32 v46, v32
	v_dual_mov_b32 v118, v58 :: v_dual_mov_b32 v117, v57
	v_dual_mov_b32 v116, v56 :: v_dual_mov_b32 v115, v55
	;; [unrolled: 1-line block ×3, first 2 shown]
	v_mov_b32_e32 v118, v8
	v_dual_mov_b32 v98, v50 :: v_dual_mov_b32 v95, v47
	v_dual_mov_b32 v97, v49 :: v_dual_mov_b32 v90, v42
	;; [unrolled: 1-line block ×9, first 2 shown]
	v_mov_b32_e32 v89, v41
	v_dual_mov_b32 v143, v9 :: v_dual_mov_b32 v142, v118
	v_dual_mov_b32 v141, v117 :: v_dual_mov_b32 v140, v116
	;; [unrolled: 1-line block ×3, first 2 shown]
	v_mov_b32_e32 v137, v113
	v_dual_mov_b32 v63, v87 :: v_dual_mov_b32 v66, v90
	v_dual_mov_b32 v64, v88 :: v_dual_mov_b32 v75, v135
	;; [unrolled: 1-line block ×13, first 2 shown]
	v_mov_b32_e32 v82, v142
	v_dual_mov_b32 v84, v10 :: v_dual_mov_b32 v85, v11
	v_mov_b32_e32 v86, v12
.LBB130_31:
	s_or_b32 exec_lo, exec_lo, s2
	v_mov_b32_e32 v2, v17
	s_mov_b32 s2, exec_lo
	v_cmpx_lt_f32_e32 v1, v17
	s_cbranch_execz .LBB130_33
; %bb.32:
	s_clause 0x2
	scratch_load_b128 v[37:40], off, off offset:96
	scratch_load_b128 v[41:44], off, off offset:112
	;; [unrolled: 1-line block ×3, first 2 shown]
	v_mov_b32_e32 v174, v29
	v_dual_mov_b32 v2, v1 :: v_dual_mov_b32 v29, v28
	v_mov_b32_e32 v16, v17
	s_waitcnt vmcnt(0)
	v_dual_mov_b32 v74, v48 :: v_dual_mov_b32 v71, v45
	v_dual_mov_b32 v68, v42 :: v_dual_mov_b32 v65, v39
	;; [unrolled: 1-line block ×18, first 2 shown]
	v_mov_b32_e32 v125, v65
	v_mov_b32_e32 v127, v4
	v_dual_mov_b32 v147, v159 :: v_dual_mov_b32 v148, v160
	v_dual_mov_b32 v153, v165 :: v_dual_mov_b32 v156, v168
	v_dual_mov_b32 v155, v167 :: v_dual_mov_b32 v158, v170
	v_mov_b32_e32 v157, v169
	v_dual_mov_b32 v151, v163 :: v_dual_mov_b32 v154, v166
	v_dual_mov_b32 v149, v161 :: v_dual_mov_b32 v152, v164
	;; [unrolled: 1-line block ×4, first 2 shown]
	v_mov_b32_e32 v38, v124
	v_dual_mov_b32 v152, v30 :: v_dual_mov_b32 v45, v131
	v_dual_mov_b32 v46, v132 :: v_dual_mov_b32 v47, v133
	;; [unrolled: 1-line block ×13, first 2 shown]
	s_clause 0x2
	scratch_store_b128 off, v[37:40], off
	scratch_store_b128 off, v[41:44], off offset:16
	scratch_store_b128 off, v[45:48], off offset:32
	v_dual_mov_b32 v57, v129 :: v_dual_mov_b32 v60, v132
	v_dual_mov_b32 v55, v127 :: v_dual_mov_b32 v58, v130
	v_mov_b32_e32 v61, v133
	v_mov_b32_e32 v57, v7
	v_dual_mov_b32 v39, v99 :: v_dual_mov_b32 v44, v104
	v_dual_mov_b32 v17, v1 :: v_dual_mov_b32 v52, v124
	;; [unrolled: 1-line block ×8, first 2 shown]
	v_mov_b32_e32 v122, v62
	v_dual_mov_b32 v46, v32 :: v_dual_mov_b32 v119, v59
	v_dual_mov_b32 v118, v58 :: v_dual_mov_b32 v111, v51
	v_dual_mov_b32 v118, v8 :: v_dual_mov_b32 v121, v61
	v_dual_mov_b32 v120, v60 :: v_dual_mov_b32 v117, v57
	v_dual_mov_b32 v116, v56 :: v_dual_mov_b32 v115, v55
	v_dual_mov_b32 v114, v54 :: v_dual_mov_b32 v113, v53
	v_mov_b32_e32 v112, v52
	v_dual_mov_b32 v98, v50 :: v_dual_mov_b32 v97, v49
	v_dual_mov_b32 v96, v48 :: v_dual_mov_b32 v95, v47
	;; [unrolled: 1-line block ×8, first 2 shown]
	v_mov_b32_e32 v135, v111
	v_dual_mov_b32 v145, v121 :: v_dual_mov_b32 v144, v120
	v_dual_mov_b32 v141, v117 :: v_dual_mov_b32 v140, v116
	v_mov_b32_e32 v143, v9
	v_dual_mov_b32 v139, v115 :: v_dual_mov_b32 v138, v114
	v_dual_mov_b32 v137, v113 :: v_dual_mov_b32 v136, v112
	s_clause 0x5
	scratch_store_b128 off, v[63:66], off offset:48
	scratch_store_b128 off, v[67:70], off offset:64
	scratch_store_b128 off, v[71:74], off offset:80
	scratch_store_b128 off, v[171:174], off offset:144
	scratch_store_b128 off, v[175:178], off offset:160
	scratch_store_b128 off, v[179:182], off offset:176
	v_dual_mov_b32 v63, v87 :: v_dual_mov_b32 v68, v92
	v_mov_b32_e32 v64, v88
	v_dual_mov_b32 v66, v90 :: v_dual_mov_b32 v75, v135
	v_dual_mov_b32 v78, v138 :: v_dual_mov_b32 v67, v91
	;; [unrolled: 1-line block ×14, first 2 shown]
.LBB130_33:
	s_or_b32 exec_lo, exec_lo, s2
	v_mov_b32_e32 v1, v18
	s_mov_b32 s2, exec_lo
	v_cmpx_lt_f32_e32 v2, v18
	s_cbranch_execz .LBB130_35
; %bb.34:
	s_clause 0x2
	scratch_load_b128 v[37:40], off, off offset:144
	scratch_load_b128 v[41:44], off, off offset:160
	;; [unrolled: 1-line block ×3, first 2 shown]
	s_waitcnt vmcnt(0)
	v_dual_mov_b32 v17, v18 :: v_dual_mov_b32 v170, v48
	v_dual_mov_b32 v169, v47 :: v_dual_mov_b32 v162, v40
	;; [unrolled: 1-line block ×6, first 2 shown]
	s_clause 0x2
	scratch_load_b128 v[37:40], off, off offset:48
	scratch_load_b128 v[41:44], off, off offset:64
	;; [unrolled: 1-line block ×3, first 2 shown]
	v_dual_mov_b32 v163, v30 :: v_dual_mov_b32 v30, v29
	s_waitcnt vmcnt(0)
	v_mov_b32_e32 v74, v48
	v_dual_mov_b32 v66, v40 :: v_dual_mov_b32 v63, v37
	v_dual_mov_b32 v73, v47 :: v_dual_mov_b32 v64, v38
	;; [unrolled: 1-line block ×5, first 2 shown]
	v_mov_b32_e32 v69, v43
	v_dual_mov_b32 v67, v6 :: v_dual_mov_b32 v148, v160
	v_dual_mov_b32 v134, v74 :: v_dual_mov_b32 v133, v73
	;; [unrolled: 1-line block ×12, first 2 shown]
	v_mov_b32_e32 v128, v5
	v_dual_mov_b32 v152, v29 :: v_dual_mov_b32 v51, v123
	v_dual_mov_b32 v99, v147 :: v_dual_mov_b32 v108, v156
	;; [unrolled: 1-line block ×13, first 2 shown]
	v_mov_b32_e32 v57, v7
	v_dual_mov_b32 v39, v99 :: v_dual_mov_b32 v40, v100
	v_dual_mov_b32 v49, v109 :: v_dual_mov_b32 v50, v110
	s_delay_alu instid0(VALU_DEP_4)
	v_dual_mov_b32 v122, v62 :: v_dual_mov_b32 v121, v61
	v_dual_mov_b32 v43, v103 :: v_dual_mov_b32 v44, v104
	;; [unrolled: 1-line block ×10, first 2 shown]
	v_mov_b32_e32 v46, v32
	v_mov_b32_e32 v118, v8
	v_dual_mov_b32 v98, v50 :: v_dual_mov_b32 v93, v45
	v_dual_mov_b32 v97, v49 :: v_dual_mov_b32 v146, v122
	;; [unrolled: 1-line block ×13, first 2 shown]
	v_mov_b32_e32 v137, v113
	s_clause 0x2
	scratch_store_b128 off, v[63:66], off
	scratch_store_b128 off, v[67:70], off offset:16
	scratch_store_b128 off, v[71:74], off offset:32
	v_dual_mov_b32 v63, v87 :: v_dual_mov_b32 v66, v90
	v_dual_mov_b32 v75, v135 :: v_dual_mov_b32 v78, v138
	;; [unrolled: 1-line block ×15, first 2 shown]
	v_mov_b32_e32 v86, v12
	v_mov_b32_e32 v6, v5
.LBB130_35:
	s_or_b32 exec_lo, exec_lo, s2
	v_mov_b32_e32 v2, v19
	s_mov_b32 s2, exec_lo
	v_cmpx_lt_f32_e32 v1, v19
	s_cbranch_execz .LBB130_37
; %bb.36:
	s_clause 0x2
	scratch_load_b128 v[37:40], off, off
	scratch_load_b128 v[41:44], off, off offset:16
	scratch_load_b128 v[45:48], off, off offset:32
	v_mov_b32_e32 v164, v31
	v_dual_mov_b32 v2, v1 :: v_dual_mov_b32 v31, v30
	v_mov_b32_e32 v18, v19
	s_waitcnt vmcnt(0)
	v_dual_mov_b32 v134, v48 :: v_dual_mov_b32 v133, v47
	v_dual_mov_b32 v130, v44 :: v_dual_mov_b32 v127, v41
	;; [unrolled: 1-line block ×17, first 2 shown]
	v_mov_b32_e32 v61, v133
	v_mov_b32_e32 v57, v6
	;; [unrolled: 1-line block ×3, first 2 shown]
	v_dual_mov_b32 v62, v134 :: v_dual_mov_b32 v39, v99
	v_dual_mov_b32 v147, v159 :: v_dual_mov_b32 v148, v160
	s_delay_alu instid0(VALU_DEP_2)
	v_dual_mov_b32 v149, v161 :: v_dual_mov_b32 v122, v62
	v_dual_mov_b32 v120, v60 :: v_dual_mov_b32 v49, v109
	v_mov_b32_e32 v50, v110
	v_dual_mov_b32 v40, v100 :: v_dual_mov_b32 v119, v59
	v_dual_mov_b32 v118, v58 :: v_dual_mov_b32 v115, v55
	;; [unrolled: 1-line block ×6, first 2 shown]
	v_mov_b32_e32 v121, v61
	v_dual_mov_b32 v117, v57 :: v_dual_mov_b32 v116, v56
	v_dual_mov_b32 v113, v53 :: v_dual_mov_b32 v112, v52
	;; [unrolled: 1-line block ×3, first 2 shown]
	v_mov_b32_e32 v46, v32
	v_mov_b32_e32 v118, v8
	v_dual_mov_b32 v98, v50 :: v_dual_mov_b32 v95, v47
	v_dual_mov_b32 v97, v49 :: v_dual_mov_b32 v146, v122
	;; [unrolled: 1-line block ×4, first 2 shown]
	v_mov_b32_e32 v87, v39
	v_dual_mov_b32 v143, v9 :: v_dual_mov_b32 v96, v48
	v_dual_mov_b32 v93, v45 :: v_dual_mov_b32 v88, v40
	;; [unrolled: 1-line block ×8, first 2 shown]
	v_mov_b32_e32 v137, v113
	v_dual_mov_b32 v75, v135 :: v_dual_mov_b32 v78, v138
	v_dual_mov_b32 v63, v87 :: v_dual_mov_b32 v66, v90
	;; [unrolled: 1-line block ×14, first 2 shown]
	v_mov_b32_e32 v74, v36
	v_dual_mov_b32 v84, v10 :: v_dual_mov_b32 v85, v11
	v_dual_mov_b32 v150, v162 :: v_dual_mov_b32 v151, v163
	;; [unrolled: 1-line block ×5, first 2 shown]
	v_mov_b32_e32 v158, v170
	v_mov_b32_e32 v7, v6
.LBB130_37:
	s_or_b32 exec_lo, exec_lo, s2
	v_mov_b32_e32 v1, v20
	s_mov_b32 s2, exec_lo
	v_cmpx_lt_f32_e32 v2, v20
	s_cbranch_execz .LBB130_39
; %bb.38:
	v_mov_b32_e32 v129, v8
	v_mov_b32_e32 v153, v32
	v_dual_mov_b32 v111, v123 :: v_dual_mov_b32 v114, v126
	v_dual_mov_b32 v39, v147 :: v_dual_mov_b32 v40, v148
	v_dual_mov_b32 v47, v155 :: v_dual_mov_b32 v50, v158
	v_dual_mov_b32 v42, v150 :: v_dual_mov_b32 v49, v157
	v_dual_mov_b32 v112, v124 :: v_dual_mov_b32 v117, v129
	v_dual_mov_b32 v122, v134 :: v_dual_mov_b32 v43, v151
	v_dual_mov_b32 v46, v154 :: v_dual_mov_b32 v113, v125
	v_dual_mov_b32 v118, v130 :: v_dual_mov_b32 v41, v149
	v_dual_mov_b32 v44, v152 :: v_dual_mov_b32 v45, v153
	v_dual_mov_b32 v48, v156 :: v_dual_mov_b32 v115, v127
	v_mov_b32_e32 v120, v132
	v_dual_mov_b32 v116, v128 :: v_dual_mov_b32 v121, v133
	v_mov_b32_e32 v46, v31
	v_dual_mov_b32 v119, v131 :: v_dual_mov_b32 v98, v50
	v_dual_mov_b32 v118, v7 :: v_dual_mov_b32 v97, v49
	;; [unrolled: 1-line block ×13, first 2 shown]
	v_mov_b32_e32 v95, v33
	v_dual_mov_b32 v19, v20 :: v_dual_mov_b32 v20, v2
	v_mov_b32_e32 v143, v9
	v_dual_mov_b32 v63, v87 :: v_dual_mov_b32 v68, v92
	v_dual_mov_b32 v64, v88 :: v_dual_mov_b32 v75, v135
	;; [unrolled: 1-line block ×11, first 2 shown]
	v_mov_b32_e32 v70, v94
	v_dual_mov_b32 v66, v90 :: v_dual_mov_b32 v71, v95
	v_dual_mov_b32 v76, v136 :: v_dual_mov_b32 v77, v137
	v_dual_mov_b32 v82, v142 :: v_dual_mov_b32 v83, v143
	v_dual_mov_b32 v72, v34 :: v_dual_mov_b32 v73, v35
	v_dual_mov_b32 v84, v10 :: v_dual_mov_b32 v85, v11
	v_dual_mov_b32 v86, v12 :: v_dual_mov_b32 v53, v125
	v_dual_mov_b32 v54, v126 :: v_dual_mov_b32 v55, v127
	v_dual_mov_b32 v56, v128 :: v_dual_mov_b32 v57, v129
	v_dual_mov_b32 v58, v130 :: v_dual_mov_b32 v59, v131
	v_dual_mov_b32 v60, v132 :: v_dual_mov_b32 v61, v133
	v_dual_mov_b32 v62, v134 :: v_dual_mov_b32 v101, v149
	v_dual_mov_b32 v102, v150 :: v_dual_mov_b32 v103, v151
	v_dual_mov_b32 v104, v152 :: v_dual_mov_b32 v105, v153
	v_dual_mov_b32 v106, v154 :: v_dual_mov_b32 v107, v155
	v_dual_mov_b32 v108, v156 :: v_dual_mov_b32 v109, v157
	v_mov_b32_e32 v110, v158
	v_dual_mov_b32 v1, v2 :: v_dual_mov_b32 v8, v7
	v_mov_b32_e32 v32, v31
.LBB130_39:
	s_or_b32 exec_lo, exec_lo, s2
	v_mov_b32_e32 v2, v21
	s_mov_b32 s2, exec_lo
	v_cmpx_lt_f32_e32 v1, v21
	s_cbranch_execz .LBB130_41
; %bb.40:
	v_mov_b32_e32 v58, v9
	v_mov_b32_e32 v106, v33
	v_dual_mov_b32 v146, v62 :: v_dual_mov_b32 v143, v59
	v_mov_b32_e32 v87, v99
	s_delay_alu instid0(VALU_DEP_3)
	v_dual_mov_b32 v141, v57 :: v_dual_mov_b32 v94, v106
	v_dual_mov_b32 v95, v107 :: v_dual_mov_b32 v140, v56
	;; [unrolled: 1-line block ×6, first 2 shown]
	v_mov_b32_e32 v95, v32
	v_dual_mov_b32 v143, v8 :: v_dual_mov_b32 v20, v21
	v_dual_mov_b32 v88, v100 :: v_dual_mov_b32 v89, v101
	;; [unrolled: 1-line block ×7, first 2 shown]
	s_delay_alu instid0(VALU_DEP_2)
	v_dual_mov_b32 v75, v135 :: v_dual_mov_b32 v76, v136
	v_dual_mov_b32 v122, v62 :: v_dual_mov_b32 v117, v57
	;; [unrolled: 1-line block ×25, first 2 shown]
	v_mov_b32_e32 v48, v108
	v_dual_mov_b32 v50, v110 :: v_dual_mov_b32 v9, v8
	v_dual_mov_b32 v2, v1 :: v_dual_mov_b32 v33, v32
.LBB130_41:
	s_or_b32 exec_lo, exec_lo, s2
	v_mov_b32_e32 v3, v22
	s_mov_b32 s2, exec_lo
	s_delay_alu instid0(VALU_DEP_2)
	v_cmpx_lt_f32_e32 v2, v22
	s_cbranch_execz .LBB130_43
; %bb.42:
	v_mov_b32_e32 v47, v34
	v_mov_b32_e32 v74, v50
	v_dual_mov_b32 v21, v22 :: v_dual_mov_b32 v72, v48
	v_dual_mov_b32 v72, v33 :: v_dual_mov_b32 v119, v10
	;; [unrolled: 1-line block ×3, first 2 shown]
	v_mov_b32_e32 v78, v114
	v_dual_mov_b32 v22, v2 :: v_dual_mov_b32 v73, v49
	v_dual_mov_b32 v81, v117 :: v_dual_mov_b32 v84, v120
	v_dual_mov_b32 v83, v119 :: v_dual_mov_b32 v86, v122
	v_dual_mov_b32 v85, v121 :: v_dual_mov_b32 v86, v12
	v_dual_mov_b32 v146, v122 :: v_dual_mov_b32 v145, v121
	v_dual_mov_b32 v98, v50 :: v_dual_mov_b32 v97, v49
	v_dual_mov_b32 v71, v47 :: v_dual_mov_b32 v70, v46
	v_mov_b32_e32 v69, v45
	v_dual_mov_b32 v67, v43 :: v_dual_mov_b32 v66, v42
	v_dual_mov_b32 v65, v41 :: v_dual_mov_b32 v64, v40
	v_dual_mov_b32 v63, v39 :: v_dual_mov_b32 v74, v36
	v_dual_mov_b32 v73, v35 :: v_dual_mov_b32 v76, v112
	v_dual_mov_b32 v77, v113 :: v_dual_mov_b32 v80, v116
	v_dual_mov_b32 v79, v115 :: v_dual_mov_b32 v82, v118
	v_dual_mov_b32 v84, v9 :: v_dual_mov_b32 v85, v11
	v_dual_mov_b32 v144, v120 :: v_dual_mov_b32 v143, v119
	v_dual_mov_b32 v142, v118 :: v_dual_mov_b32 v141, v117
	v_dual_mov_b32 v140, v116 :: v_dual_mov_b32 v139, v115
	v_dual_mov_b32 v138, v114 :: v_dual_mov_b32 v137, v113
	v_dual_mov_b32 v136, v112 :: v_dual_mov_b32 v135, v111
	v_dual_mov_b32 v96, v48 :: v_dual_mov_b32 v95, v47
	v_dual_mov_b32 v94, v46 :: v_dual_mov_b32 v93, v45
	v_dual_mov_b32 v92, v44 :: v_dual_mov_b32 v91, v43
	v_dual_mov_b32 v90, v42 :: v_dual_mov_b32 v89, v41
	v_dual_mov_b32 v88, v40 :: v_dual_mov_b32 v87, v39
	v_dual_mov_b32 v3, v2 :: v_dual_mov_b32 v10, v9
	v_mov_b32_e32 v34, v33
.LBB130_43:
	s_or_b32 exec_lo, exec_lo, s2
	v_mov_b32_e32 v1, v23
	s_mov_b32 s2, exec_lo
	v_cmpx_lt_f32_e32 v3, v23
	s_cbranch_execz .LBB130_45
; %bb.44:
	v_dual_mov_b32 v144, v11 :: v_dual_mov_b32 v145, v10
	v_dual_mov_b32 v96, v35 :: v_dual_mov_b32 v97, v34
	v_mov_b32_e32 v146, v12
	v_mov_b32_e32 v22, v23
	v_dual_mov_b32 v23, v3 :: v_dual_mov_b32 v98, v36
	v_dual_mov_b32 v75, v135 :: v_dual_mov_b32 v84, v144
	v_dual_mov_b32 v63, v87 :: v_dual_mov_b32 v76, v136
	v_mov_b32_e32 v79, v139
	v_dual_mov_b32 v77, v137 :: v_dual_mov_b32 v78, v138
	v_dual_mov_b32 v81, v141 :: v_dual_mov_b32 v80, v140
	;; [unrolled: 1-line block ×10, first 2 shown]
.LBB130_45:
	s_or_b32 exec_lo, exec_lo, s2
	s_delay_alu instid0(VALU_DEP_1)
	v_cmp_lt_f32_e32 vcc_lo, v1, v24
	v_mov_b32_e32 v42, v78
	v_cmp_lt_f32_e64 s2, v13, v14
	v_dual_mov_b32 v40, v76 :: v_dual_mov_b32 v41, v77
	v_dual_cndmask_b32 v12, v24, v1 :: v_dual_mov_b32 v43, v79
	v_dual_cndmask_b32 v23, v23, v24 :: v_dual_cndmask_b32 v50, v86, v85
	s_delay_alu instid0(VALU_DEP_2) | instskip(SKIP_2) | instid1(VALU_DEP_3)
	v_dual_mov_b32 v39, v75 :: v_dual_mov_b32 v24, v12
	v_dual_cndmask_b32 v49, v85, v86 :: v_dual_mov_b32 v44, v80
	v_dual_cndmask_b32 v61, v73, v74 :: v_dual_cndmask_b32 v62, v74, v73
	v_dual_mov_b32 v38, v24 :: v_dual_mov_b32 v35, v21
	v_dual_mov_b32 v37, v23 :: v_dual_mov_b32 v36, v22
	;; [unrolled: 1-line block ×13, first 2 shown]
	s_and_saveexec_b32 s3, s2
	s_delay_alu instid0(SALU_CYCLE_1)
	s_xor_b32 s2, exec_lo, s3
	s_cbranch_execz .LBB130_47
; %bb.46:
	v_dual_mov_b32 v1, v14 :: v_dual_mov_b32 v2, v13
	v_dual_mov_b32 v3, v15 :: v_dual_mov_b32 v4, v16
	;; [unrolled: 1-line block ×6, first 2 shown]
	s_delay_alu instid0(VALU_DEP_2) | instskip(NEXT) | instid1(VALU_DEP_2)
	v_dual_mov_b32 v38, v12 :: v_dual_mov_b32 v35, v9
	v_dual_mov_b32 v36, v10 :: v_dual_mov_b32 v37, v11
	;; [unrolled: 1-line block ×16, first 2 shown]
.LBB130_47:
	s_or_b32 exec_lo, exec_lo, s2
	v_dual_mov_b32 v13, v29 :: v_dual_mov_b32 v122, v50
	v_dual_mov_b32 v15, v39 :: v_dual_mov_b32 v16, v40
	;; [unrolled: 1-line block ×30, first 2 shown]
	v_mov_b32_e32 v135, v39
	s_clause 0x2
	scratch_store_b128 off, v[39:42], off offset:48
	scratch_store_b128 off, v[43:46], off offset:64
	;; [unrolled: 1-line block ×3, first 2 shown]
	v_dual_mov_b32 v1, v51 :: v_dual_mov_b32 v4, v54
	v_dual_mov_b32 v11, v61 :: v_dual_mov_b32 v74, v62
	;; [unrolled: 1-line block ×34, first 2 shown]
	v_mov_b32_e32 v159, v51
	s_mov_b32 s2, exec_lo
	v_dual_mov_b32 v73, v61 :: v_dual_mov_b32 v72, v60
	v_mov_b32_e32 v2, v52
	s_clause 0x2
	scratch_store_b128 off, v[51:54], off
	scratch_store_b128 off, v[55:58], off offset:16
	scratch_store_b128 off, v[59:62], off offset:32
	v_dual_mov_b32 v182, v50 :: v_dual_mov_b32 v181, v49
	v_dual_mov_b32 v180, v48 :: v_dual_mov_b32 v179, v47
	;; [unrolled: 1-line block ×6, first 2 shown]
	v_cmpx_lt_f32_e32 v14, v29
	s_cbranch_execz .LBB130_49
; %bb.48:
	v_dual_mov_b32 v170, v62 :: v_dual_mov_b32 v169, v61
	v_dual_mov_b32 v162, v54 :: v_dual_mov_b32 v161, v53
	;; [unrolled: 1-line block ×7, first 2 shown]
	s_clause 0x2
	scratch_store_b128 off, v[159:162], off
	scratch_store_b128 off, v[163:166], off offset:16
	scratch_store_b128 off, v[167:170], off offset:32
	v_dual_mov_b32 v182, v50 :: v_dual_mov_b32 v181, v49
	v_dual_mov_b32 v172, v40 :: v_dual_mov_b32 v171, v39
	;; [unrolled: 1-line block ×8, first 2 shown]
	s_delay_alu instid0(VALU_DEP_3)
	v_dual_mov_b32 v140, v176 :: v_dual_mov_b32 v141, v177
	v_dual_mov_b32 v138, v174 :: v_dual_mov_b32 v139, v175
	;; [unrolled: 1-line block ×3, first 2 shown]
	v_mov_b32_e32 v146, v182
	v_dual_mov_b32 v136, v172 :: v_dual_mov_b32 v137, v173
	v_mov_b32_e32 v138, v42
	v_dual_mov_b32 v142, v178 :: v_dual_mov_b32 v143, v179
	v_mov_b32_e32 v53, v52
	v_mov_b32_e32 v139, v43
	;; [unrolled: 1-line block ×3, first 2 shown]
	v_dual_mov_b32 v147, v159 :: v_dual_mov_b32 v148, v160
	v_mov_b32_e32 v151, v163
	v_dual_mov_b32 v149, v161 :: v_dual_mov_b32 v150, v162
	v_dual_mov_b32 v153, v165 :: v_dual_mov_b32 v152, v164
	;; [unrolled: 1-line block ×16, first 2 shown]
	v_mov_b32_e32 v122, v146
	v_dual_mov_b32 v114, v138 :: v_dual_mov_b32 v117, v141
	v_dual_mov_b32 v116, v140 :: v_dual_mov_b32 v119, v143
	;; [unrolled: 1-line block ×14, first 2 shown]
	v_mov_b32_e32 v82, v118
	v_dual_mov_b32 v76, v112 :: v_dual_mov_b32 v81, v117
	v_dual_mov_b32 v80, v116 :: v_dual_mov_b32 v85, v121
	;; [unrolled: 1-line block ×6, first 2 shown]
	v_mov_b32_e32 v81, v45
	v_dual_mov_b32 v65, v89 :: v_dual_mov_b32 v72, v96
	v_mov_b32_e32 v29, v14
	s_delay_alu instid0(VALU_DEP_3)
	v_dual_mov_b32 v110, v86 :: v_dual_mov_b32 v105, v81
	v_dual_mov_b32 v70, v94 :: v_dual_mov_b32 v73, v97
	;; [unrolled: 1-line block ×11, first 2 shown]
	v_mov_b32_e32 v106, v46
	s_clause 0x2
	scratch_store_b128 off, v[1:4], off offset:48
	scratch_store_b128 off, v[5:8], off offset:64
	;; [unrolled: 1-line block ×3, first 2 shown]
	v_dual_mov_b32 v100, v76 :: v_dual_mov_b32 v1, v63
	v_dual_mov_b32 v10, v72 :: v_dual_mov_b32 v3, v65
	;; [unrolled: 1-line block ×16, first 2 shown]
	v_mov_b32_e32 v26, v50
.LBB130_49:
	s_or_b32 exec_lo, exec_lo, s2
	v_mov_b32_e32 v14, v30
	s_mov_b32 s2, exec_lo
	v_cmpx_lt_f32_e32 v13, v30
	s_cbranch_execz .LBB130_51
; %bb.50:
	s_clause 0x2
	scratch_load_b128 v[1:4], off, off
	scratch_load_b128 v[5:8], off, off offset:16
	scratch_load_b128 v[9:12], off, off offset:32
	v_mov_b32_e32 v161, v54
	v_dual_mov_b32 v29, v30 :: v_dual_mov_b32 v30, v13
	v_mov_b32_e32 v54, v53
	s_waitcnt vmcnt(0)
	v_dual_mov_b32 v170, v12 :: v_dual_mov_b32 v169, v11
	v_mov_b32_e32 v162, v4
	v_dual_mov_b32 v162, v53 :: v_dual_mov_b32 v173, v42
	v_dual_mov_b32 v160, v2 :: v_dual_mov_b32 v135, v171
	;; [unrolled: 1-line block ×4, first 2 shown]
	v_mov_b32_e32 v165, v7
	s_delay_alu instid0(VALU_DEP_3)
	v_dual_mov_b32 v1, v159 :: v_dual_mov_b32 v2, v160
	v_dual_mov_b32 v136, v172 :: v_dual_mov_b32 v3, v161
	v_mov_b32_e32 v138, v174
	v_dual_mov_b32 v164, v6 :: v_dual_mov_b32 v163, v5
	s_clause 0x2
	scratch_store_b128 off, v[1:4], off
	scratch_store_b128 off, v[5:8], off offset:16
	scratch_store_b128 off, v[9:12], off offset:32
	v_dual_mov_b32 v137, v173 :: v_dual_mov_b32 v140, v176
	v_dual_mov_b32 v138, v41 :: v_dual_mov_b32 v147, v159
	;; [unrolled: 1-line block ×12, first 2 shown]
	v_mov_b32_e32 v139, v43
	v_dual_mov_b32 v123, v147 :: v_dual_mov_b32 v126, v150
	v_dual_mov_b32 v124, v148 :: v_dual_mov_b32 v111, v135
	;; [unrolled: 1-line block ×3, first 2 shown]
	s_delay_alu instid0(VALU_DEP_4)
	v_dual_mov_b32 v128, v152 :: v_dual_mov_b32 v115, v139
	v_dual_mov_b32 v116, v140 :: v_dual_mov_b32 v121, v145
	;; [unrolled: 1-line block ×6, first 2 shown]
	v_mov_b32_e32 v128, v56
	v_dual_mov_b32 v116, v44 :: v_dual_mov_b32 v87, v123
	v_dual_mov_b32 v113, v137 :: v_dual_mov_b32 v114, v138
	;; [unrolled: 1-line block ×17, first 2 shown]
	v_mov_b32_e32 v81, v45
	v_dual_mov_b32 v7, v141 :: v_dual_mov_b32 v8, v142
	v_dual_mov_b32 v9, v143 :: v_dual_mov_b32 v10, v144
	;; [unrolled: 1-line block ×5, first 2 shown]
	v_mov_b32_e32 v64, v88
	v_dual_mov_b32 v110, v86 :: v_dual_mov_b32 v109, v85
	v_dual_mov_b32 v65, v89 :: v_dual_mov_b32 v68, v92
	;; [unrolled: 1-line block ×10, first 2 shown]
	v_mov_b32_e32 v102, v78
	v_dual_mov_b32 v42, v41 :: v_dual_mov_b32 v103, v79
	v_mov_b32_e32 v100, v76
	v_mov_b32_e32 v106, v46
	s_clause 0x2
	scratch_store_b128 off, v[1:4], off offset:48
	scratch_store_b128 off, v[5:8], off offset:64
	;; [unrolled: 1-line block ×3, first 2 shown]
	v_mov_b32_e32 v1, v63
	v_mov_b32_e32 v5, v67
	v_dual_mov_b32 v3, v65 :: v_dual_mov_b32 v12, v74
	v_dual_mov_b32 v15, v99 :: v_dual_mov_b32 v4, v66
	v_dual_mov_b32 v9, v71 :: v_dual_mov_b32 v6, v68
	v_dual_mov_b32 v11, v73 :: v_dual_mov_b32 v10, v72
	v_dual_mov_b32 v11, v61 :: v_dual_mov_b32 v18, v102
	v_dual_mov_b32 v23, v107 :: v_dual_mov_b32 v20, v104
	v_dual_mov_b32 v25, v109 :: v_dual_mov_b32 v24, v108
	v_dual_mov_b32 v25, v49 :: v_dual_mov_b32 v26, v110
	v_dual_mov_b32 v2, v64 :: v_dual_mov_b32 v7, v69
	v_dual_mov_b32 v8, v70 :: v_dual_mov_b32 v9, v59
	v_dual_mov_b32 v10, v60 :: v_dual_mov_b32 v17, v101
	v_dual_mov_b32 v12, v62 :: v_dual_mov_b32 v19, v103
	v_dual_mov_b32 v16, v100 :: v_dual_mov_b32 v21, v105
	v_dual_mov_b32 v22, v106 :: v_dual_mov_b32 v23, v47
	v_mov_b32_e32 v24, v48
	v_mov_b32_e32 v26, v50
.LBB130_51:
	s_or_b32 exec_lo, exec_lo, s2
	v_mov_b32_e32 v13, v31
	s_mov_b32 s2, exec_lo
	v_cmpx_lt_f32_e32 v14, v31
	s_cbranch_execz .LBB130_53
; %bb.52:
	s_clause 0x2
	scratch_load_b128 v[1:4], off, off
	scratch_load_b128 v[5:8], off, off offset:16
	scratch_load_b128 v[9:12], off, off offset:32
	v_dual_mov_b32 v30, v31 :: v_dual_mov_b32 v31, v14
	v_dual_mov_b32 v13, v14 :: v_dual_mov_b32 v162, v55
	v_mov_b32_e32 v55, v54
	s_waitcnt vmcnt(2)
	v_dual_mov_b32 v161, v3 :: v_dual_mov_b32 v160, v2
	s_waitcnt vmcnt(0)
	v_dual_mov_b32 v159, v1 :: v_dual_mov_b32 v170, v12
	v_dual_mov_b32 v169, v11 :: v_dual_mov_b32 v168, v10
	;; [unrolled: 1-line block ×8, first 2 shown]
	s_delay_alu instid0(VALU_DEP_4)
	v_dual_mov_b32 v151, v163 :: v_dual_mov_b32 v156, v168
	v_dual_mov_b32 v157, v169 :: v_dual_mov_b32 v136, v172
	;; [unrolled: 1-line block ×8, first 2 shown]
	v_mov_b32_e32 v145, v181
	v_mov_b32_e32 v139, v42
	;; [unrolled: 1-line block ×3, first 2 shown]
	v_dual_mov_b32 v146, v182 :: v_dual_mov_b32 v123, v147
	v_dual_mov_b32 v111, v135 :: v_dual_mov_b32 v112, v136
	;; [unrolled: 1-line block ×3, first 2 shown]
	s_delay_alu instid0(VALU_DEP_4)
	v_dual_mov_b32 v124, v148 :: v_dual_mov_b32 v127, v151
	v_dual_mov_b32 v128, v152 :: v_dual_mov_b32 v131, v155
	;; [unrolled: 1-line block ×9, first 2 shown]
	v_mov_b32_e32 v120, v144
	v_dual_mov_b32 v116, v44 :: v_dual_mov_b32 v87, v123
	v_mov_b32_e32 v114, v138
	v_dual_mov_b32 v98, v134 :: v_dual_mov_b32 v75, v111
	v_dual_mov_b32 v88, v124 :: v_dual_mov_b32 v89, v125
	;; [unrolled: 1-line block ×3, first 2 shown]
	v_mov_b32_e32 v86, v122
	v_dual_mov_b32 v90, v126 :: v_dual_mov_b32 v91, v127
	v_dual_mov_b32 v92, v128 :: v_dual_mov_b32 v93, v129
	;; [unrolled: 1-line block ×8, first 2 shown]
	v_mov_b32_e32 v79, v115
	v_mov_b32_e32 v81, v45
	v_dual_mov_b32 v63, v87 :: v_dual_mov_b32 v66, v90
	v_dual_mov_b32 v64, v88 :: v_dual_mov_b32 v73, v97
	;; [unrolled: 1-line block ×9, first 2 shown]
	v_mov_b32_e32 v108, v84
	v_dual_mov_b32 v106, v46 :: v_dual_mov_b32 v1, v63
	v_dual_mov_b32 v105, v81 :: v_dual_mov_b32 v104, v80
	v_dual_mov_b32 v103, v79 :: v_dual_mov_b32 v102, v78
	v_dual_mov_b32 v101, v77 :: v_dual_mov_b32 v100, v76
	v_dual_mov_b32 v12, v74 :: v_dual_mov_b32 v15, v99
	v_dual_mov_b32 v8, v70 :: v_dual_mov_b32 v9, v71
	v_dual_mov_b32 v10, v72 :: v_dual_mov_b32 v11, v73
	v_dual_mov_b32 v22, v106 :: v_dual_mov_b32 v23, v107
	v_dual_mov_b32 v24, v108 :: v_dual_mov_b32 v25, v109
	v_dual_mov_b32 v26, v110 :: v_dual_mov_b32 v9, v59
	v_dual_mov_b32 v2, v64 :: v_dual_mov_b32 v3, v65
	v_dual_mov_b32 v4, v66 :: v_dual_mov_b32 v5, v67
	v_dual_mov_b32 v6, v68 :: v_dual_mov_b32 v7, v69
	v_dual_mov_b32 v16, v100 :: v_dual_mov_b32 v17, v101
	v_dual_mov_b32 v18, v102 :: v_dual_mov_b32 v19, v103
	v_dual_mov_b32 v20, v104 :: v_dual_mov_b32 v21, v105
	v_dual_mov_b32 v10, v60 :: v_dual_mov_b32 v11, v61
	v_dual_mov_b32 v12, v62 :: v_dual_mov_b32 v23, v47
	v_dual_mov_b32 v24, v48 :: v_dual_mov_b32 v25, v49
	v_mov_b32_e32 v26, v50
	v_mov_b32_e32 v43, v42
	s_clause 0x2
	scratch_store_b128 off, v[171:174], off offset:48
	scratch_store_b128 off, v[175:178], off offset:64
	;; [unrolled: 1-line block ×3, first 2 shown]
.LBB130_53:
	s_or_b32 exec_lo, exec_lo, s2
	v_mov_b32_e32 v14, v32
	s_mov_b32 s2, exec_lo
	v_cmpx_lt_f32_e32 v13, v32
	s_cbranch_execz .LBB130_55
; %bb.54:
	s_clause 0x2
	scratch_load_b128 v[1:4], off, off offset:48
	scratch_load_b128 v[5:8], off, off offset:64
	;; [unrolled: 1-line block ×3, first 2 shown]
	v_dual_mov_b32 v163, v56 :: v_dual_mov_b32 v14, v13
	v_dual_mov_b32 v56, v55 :: v_dual_mov_b32 v31, v32
	s_waitcnt vmcnt(2)
	v_dual_mov_b32 v138, v4 :: v_dual_mov_b32 v137, v3
	s_waitcnt vmcnt(0)
	v_dual_mov_b32 v146, v12 :: v_dual_mov_b32 v145, v11
	v_dual_mov_b32 v136, v2 :: v_dual_mov_b32 v135, v1
	;; [unrolled: 1-line block ×17, first 2 shown]
	v_mov_b32_e32 v120, v144
	v_mov_b32_e32 v116, v43
	v_dual_mov_b32 v87, v123 :: v_dual_mov_b32 v88, v124
	v_dual_mov_b32 v89, v125 :: v_dual_mov_b32 v98, v134
	;; [unrolled: 1-line block ×12, first 2 shown]
	v_mov_b32_e32 v79, v115
	v_mov_b32_e32 v81, v45
	v_dual_mov_b32 v63, v87 :: v_dual_mov_b32 v66, v90
	v_dual_mov_b32 v64, v88 :: v_dual_mov_b32 v73, v97
	;; [unrolled: 1-line block ×8, first 2 shown]
	v_mov_b32_e32 v70, v58
	v_dual_mov_b32 v106, v46 :: v_dual_mov_b32 v65, v89
	v_dual_mov_b32 v68, v92 :: v_dual_mov_b32 v105, v81
	;; [unrolled: 1-line block ×4, first 2 shown]
	v_mov_b32_e32 v100, v76
	v_dual_mov_b32 v32, v13 :: v_dual_mov_b32 v1, v63
	v_dual_mov_b32 v12, v74 :: v_dual_mov_b32 v15, v99
	v_mov_b32_e32 v26, v110
	v_dual_mov_b32 v8, v70 :: v_dual_mov_b32 v9, v71
	v_dual_mov_b32 v10, v72 :: v_dual_mov_b32 v11, v73
	;; [unrolled: 1-line block ×20, first 2 shown]
	v_mov_b32_e32 v44, v43
.LBB130_55:
	s_or_b32 exec_lo, exec_lo, s2
	v_mov_b32_e32 v13, v33
	s_mov_b32 s2, exec_lo
	v_cmpx_lt_f32_e32 v14, v33
	s_cbranch_execz .LBB130_57
; %bb.56:
	v_mov_b32_e32 v140, v45
	v_dual_mov_b32 v152, v57 :: v_dual_mov_b32 v75, v135
	v_dual_mov_b32 v87, v147 :: v_dual_mov_b32 v90, v150
	;; [unrolled: 1-line block ×3, first 2 shown]
	s_delay_alu instid0(VALU_DEP_3)
	v_dual_mov_b32 v92, v152 :: v_dual_mov_b32 v93, v153
	v_dual_mov_b32 v76, v136 :: v_dual_mov_b32 v79, v139
	v_dual_mov_b32 v88, v148 :: v_dual_mov_b32 v89, v149
	v_dual_mov_b32 v94, v154 :: v_dual_mov_b32 v95, v155
	v_dual_mov_b32 v96, v156 :: v_dual_mov_b32 v97, v157
	v_dual_mov_b32 v98, v158 :: v_dual_mov_b32 v77, v137
	v_mov_b32_e32 v93, v56
	v_dual_mov_b32 v84, v144 :: v_dual_mov_b32 v63, v87
	v_dual_mov_b32 v78, v138 :: v_dual_mov_b32 v81, v141
	;; [unrolled: 1-line block ×5, first 2 shown]
	s_delay_alu instid0(VALU_DEP_3) | instskip(SKIP_1) | instid1(VALU_DEP_4)
	v_dual_mov_b32 v110, v86 :: v_dual_mov_b32 v109, v85
	v_dual_mov_b32 v100, v76 :: v_dual_mov_b32 v99, v75
	;; [unrolled: 1-line block ×11, first 2 shown]
	v_mov_b32_e32 v106, v46
	v_dual_mov_b32 v70, v58 :: v_dual_mov_b32 v15, v99
	v_dual_mov_b32 v1, v63 :: v_dual_mov_b32 v24, v108
	;; [unrolled: 1-line block ×3, first 2 shown]
	s_delay_alu instid0(VALU_DEP_3)
	v_dual_mov_b32 v8, v70 :: v_dual_mov_b32 v9, v71
	v_dual_mov_b32 v10, v72 :: v_dual_mov_b32 v11, v73
	;; [unrolled: 1-line block ×26, first 2 shown]
	v_mov_b32_e32 v13, v14
	v_dual_mov_b32 v134, v158 :: v_dual_mov_b32 v45, v44
	v_mov_b32_e32 v57, v56
.LBB130_57:
	s_or_b32 exec_lo, exec_lo, s2
	v_mov_b32_e32 v14, v34
	s_mov_b32 s2, exec_lo
	v_cmpx_lt_f32_e32 v13, v34
	s_cbranch_execz .LBB130_59
; %bb.58:
	v_mov_b32_e32 v129, v58
	v_dual_mov_b32 v63, v123 :: v_dual_mov_b32 v70, v130
	v_dual_mov_b32 v70, v57 :: v_dual_mov_b32 v71, v131
	;; [unrolled: 1-line block ×22, first 2 shown]
	v_mov_b32_e32 v34, v13
	v_dual_mov_b32 v3, v65 :: v_dual_mov_b32 v4, v66
	v_dual_mov_b32 v5, v67 :: v_dual_mov_b32 v6, v68
	;; [unrolled: 1-line block ×20, first 2 shown]
	v_mov_b32_e32 v14, v13
	v_mov_b32_e32 v46, v45
	v_mov_b32_e32 v58, v57
.LBB130_59:
	s_or_b32 exec_lo, exec_lo, s2
	v_mov_b32_e32 v13, v35
	s_mov_b32 s2, exec_lo
	v_cmpx_lt_f32_e32 v14, v35
	s_cbranch_execz .LBB130_61
; %bb.60:
	v_mov_b32_e32 v94, v59
	v_dual_mov_b32 v34, v35 :: v_dual_mov_b32 v35, v14
	v_mov_b32_e32 v82, v47
	v_dual_mov_b32 v1, v87 :: v_dual_mov_b32 v2, v88
	v_dual_mov_b32 v10, v96 :: v_dual_mov_b32 v7, v93
	v_dual_mov_b32 v10, v60 :: v_dual_mov_b32 v15, v75
	v_dual_mov_b32 v110, v86 :: v_dual_mov_b32 v105, v81
	v_dual_mov_b32 v6, v92 :: v_dual_mov_b32 v9, v95
	v_dual_mov_b32 v8, v94 :: v_dual_mov_b32 v11, v97
	v_dual_mov_b32 v12, v98 :: v_dual_mov_b32 v11, v61
	v_dual_mov_b32 v20, v80 :: v_dual_mov_b32 v23, v83
	v_dual_mov_b32 v22, v82 :: v_dual_mov_b32 v25, v85
	v_dual_mov_b32 v24, v84 :: v_dual_mov_b32 v23, v46
	v_dual_mov_b32 v26, v86 :: v_dual_mov_b32 v25, v49
	v_dual_mov_b32 v102, v78 :: v_dual_mov_b32 v63, v87
	v_dual_mov_b32 v3, v89 :: v_dual_mov_b32 v4, v90
	v_mov_b32_e32 v5, v91
	v_mov_b32_e32 v9, v58
	v_dual_mov_b32 v12, v62 :: v_dual_mov_b32 v17, v77
	v_dual_mov_b32 v16, v76 :: v_dual_mov_b32 v19, v79
	;; [unrolled: 1-line block ×14, first 2 shown]
	v_mov_b32_e32 v47, v46
	v_mov_b32_e32 v59, v58
	;; [unrolled: 1-line block ×3, first 2 shown]
.LBB130_61:
	s_or_b32 exec_lo, exec_lo, s2
	v_mov_b32_e32 v39, v36
	s_mov_b32 s2, exec_lo
	v_cmpx_lt_f32_e32 v13, v36
	s_cbranch_execz .LBB130_63
; %bb.62:
	v_dual_mov_b32 v71, v60 :: v_dual_mov_b32 v72, v59
	v_dual_mov_b32 v73, v61 :: v_dual_mov_b32 v108, v47
	;; [unrolled: 1-line block ×17, first 2 shown]
	v_mov_b32_e32 v39, v13
.LBB130_63:
	s_or_b32 exec_lo, exec_lo, s2
	s_delay_alu instid0(VALU_DEP_1)
	v_cmp_lt_f32_e32 vcc_lo, v39, v37
	v_dual_mov_b32 v40, v28 :: v_dual_mov_b32 v43, v31
	v_dual_mov_b32 v42, v30 :: v_dual_mov_b32 v45, v33
	v_dual_cndmask_b32 v13, v25, v24 :: v_dual_cndmask_b32 v24, v24, v25
	v_dual_cndmask_b32 v14, v11, v10 :: v_dual_cndmask_b32 v49, v37, v39
	v_dual_cndmask_b32 v10, v10, v11 :: v_dual_mov_b32 v39, v27
	v_dual_cndmask_b32 v48, v36, v37 :: v_dual_mov_b32 v41, v29
	v_dual_mov_b32 v44, v32 :: v_dual_mov_b32 v47, v35
	v_mov_b32_e32 v46, v34
	v_mov_b32_e32 v50, v38
	s_mov_b32 s2, exec_lo
	v_cmpx_lt_f32_e32 v27, v28
	s_cbranch_execz .LBB130_65
; %bb.64:
	v_dual_mov_b32 v28, v40 :: v_dual_mov_b32 v29, v39
	v_dual_mov_b32 v38, v49 :: v_dual_mov_b32 v39, v50
	v_dual_mov_b32 v30, v41 :: v_dual_mov_b32 v31, v42
	v_dual_mov_b32 v32, v43 :: v_dual_mov_b32 v33, v44
	v_dual_mov_b32 v34, v45 :: v_dual_mov_b32 v35, v46
	v_dual_mov_b32 v36, v47 :: v_dual_mov_b32 v37, v48
	v_dual_mov_b32 v25, v1 :: v_dual_mov_b32 v50, v39
	v_mov_b32_e32 v11, v15
	v_swap_b32 v15, v16
	s_delay_alu instid0(VALU_DEP_4)
	v_mov_b32_e32 v48, v37
	v_swap_b32 v1, v2
	v_dual_mov_b32 v49, v38 :: v_dual_mov_b32 v46, v35
	v_dual_mov_b32 v47, v36 :: v_dual_mov_b32 v44, v33
	;; [unrolled: 1-line block ×4, first 2 shown]
	v_mov_b32_e32 v41, v30
	v_dual_mov_b32 v39, v28 :: v_dual_mov_b32 v28, v27
.LBB130_65:
	s_or_b32 exec_lo, exec_lo, s2
	v_mov_b32_e32 v11, v14
	v_dual_mov_b32 v25, v13 :: v_dual_mov_b32 v62, v12
	v_dual_mov_b32 v74, v26 :: v_dual_mov_b32 v63, v15
	v_mov_b32_e32 v86, v26
	v_dual_mov_b32 v72, v24 :: v_dual_mov_b32 v75, v15
	v_dual_mov_b32 v110, v26 :: v_dual_mov_b32 v53, v3
	;; [unrolled: 1-line block ×61, first 2 shown]
	v_mov_b32_e32 v149, v3
	v_mov_b32_e32 v147, v1
	;; [unrolled: 1-line block ×3, first 2 shown]
	s_mov_b32 s2, exec_lo
	v_dual_mov_b32 v85, v25 :: v_dual_mov_b32 v84, v24
	v_dual_mov_b32 v83, v23 :: v_dual_mov_b32 v82, v22
	s_clause 0x2
	scratch_store_b128 off, v[1:4], off
	scratch_store_b128 off, v[5:8], off offset:16
	scratch_store_b128 off, v[9:12], off offset:32
	v_cmpx_lt_f32_e32 v28, v41
	s_cbranch_execz .LBB130_67
; %bb.66:
	v_dual_mov_b32 v158, v12 :: v_dual_mov_b32 v157, v11
	v_dual_mov_b32 v150, v4 :: v_dual_mov_b32 v149, v3
	;; [unrolled: 1-line block ×7, first 2 shown]
	s_clause 0x2
	scratch_store_b128 off, v[147:150], off
	scratch_store_b128 off, v[151:154], off offset:16
	scratch_store_b128 off, v[155:158], off offset:32
	v_dual_mov_b32 v182, v26 :: v_dual_mov_b32 v181, v25
	v_dual_mov_b32 v172, v16 :: v_dual_mov_b32 v171, v15
	;; [unrolled: 1-line block ×8, first 2 shown]
	s_delay_alu instid0(VALU_DEP_4) | instskip(SKIP_1) | instid1(VALU_DEP_4)
	v_dual_mov_b32 v160, v172 :: v_dual_mov_b32 v161, v173
	v_dual_mov_b32 v162, v174 :: v_dual_mov_b32 v163, v175
	;; [unrolled: 1-line block ×4, first 2 shown]
	v_mov_b32_e32 v170, v182
	v_dual_mov_b32 v166, v178 :: v_dual_mov_b32 v167, v179
	v_mov_b32_e32 v162, v18
	v_dual_mov_b32 v40, v41 :: v_dual_mov_b32 v41, v28
	v_mov_b32_e32 v3, v2
	v_mov_b32_e32 v17, v16
	;; [unrolled: 1-line block ×3, first 2 shown]
	v_dual_mov_b32 v137, v149 :: v_dual_mov_b32 v144, v156
	v_dual_mov_b32 v123, v159 :: v_dual_mov_b32 v136, v148
	;; [unrolled: 1-line block ×12, first 2 shown]
	v_mov_b32_e32 v133, v169
	v_dual_mov_b32 v111, v135 :: v_dual_mov_b32 v112, v136
	v_dual_mov_b32 v99, v123 :: v_dual_mov_b32 v100, v124
	;; [unrolled: 1-line block ×12, first 2 shown]
	v_mov_b32_e32 v104, v20
	v_dual_mov_b32 v116, v6 :: v_dual_mov_b32 v75, v99
	v_mov_b32_e32 v87, v111
	v_dual_mov_b32 v93, v117 :: v_dual_mov_b32 v78, v102
	s_delay_alu instid0(VALU_DEP_3)
	v_dual_mov_b32 v81, v105 :: v_dual_mov_b32 v92, v116
	v_dual_mov_b32 v90, v114 :: v_dual_mov_b32 v91, v115
	v_dual_mov_b32 v94, v118 :: v_dual_mov_b32 v95, v119
	v_dual_mov_b32 v96, v120 :: v_dual_mov_b32 v97, v121
	v_dual_mov_b32 v98, v122 :: v_dual_mov_b32 v77, v101
	v_dual_mov_b32 v76, v100 :: v_dual_mov_b32 v79, v103
	v_dual_mov_b32 v80, v104 :: v_dual_mov_b32 v83, v107
	v_dual_mov_b32 v82, v106 :: v_dual_mov_b32 v85, v109
	v_dual_mov_b32 v84, v108 :: v_dual_mov_b32 v93, v7
	v_dual_mov_b32 v86, v110 :: v_dual_mov_b32 v81, v21
	v_dual_mov_b32 v88, v112 :: v_dual_mov_b32 v89, v113
	v_mov_b32_e32 v51, v87
	v_dual_mov_b32 v63, v75 :: v_dual_mov_b32 v66, v78
	v_dual_mov_b32 v55, v91 :: v_dual_mov_b32 v58, v94
	;; [unrolled: 1-line block ×13, first 2 shown]
	v_mov_b32_e32 v60, v10
	v_dual_mov_b32 v61, v14 :: v_dual_mov_b32 v62, v12
	v_dual_mov_b32 v70, v22 :: v_dual_mov_b32 v71, v23
	;; [unrolled: 1-line block ×3, first 2 shown]
	v_mov_b32_e32 v74, v26
.LBB130_67:
	s_or_b32 exec_lo, exec_lo, s2
	v_mov_b32_e32 v1, v42
	v_cmp_lt_f32_e32 vcc_lo, v11, v42
	s_mov_b32 s2, exec_lo
	s_clause 0x2
	scratch_load_b128 v[27:30], off, off
	scratch_load_b128 v[31:34], off, off offset:16
	scratch_load_b128 v[35:38], off, off offset:32
	s_and_b32 s3, s2, vcc_lo
	s_delay_alu instid0(SALU_CYCLE_1)
	s_mov_b32 exec_lo, s3
	s_cbranch_execz .LBB130_69
; %bb.68:
	v_mov_b32_e32 v173, v18
	s_waitcnt vmcnt(2)
	v_mov_b32_e32 v29, v4
	v_dual_mov_b32 v159, v171 :: v_dual_mov_b32 v162, v174
	s_waitcnt vmcnt(0)
	v_dual_mov_b32 v158, v38 :: v_dual_mov_b32 v157, v37
	v_dual_mov_b32 v156, v36 :: v_dual_mov_b32 v147, v27
	;; [unrolled: 1-line block ×6, first 2 shown]
	v_mov_b32_e32 v168, v180
	v_dual_mov_b32 v164, v176 :: v_dual_mov_b32 v165, v177
	v_dual_mov_b32 v170, v182 :: v_dual_mov_b32 v155, v35
	;; [unrolled: 1-line block ×4, first 2 shown]
	v_mov_b32_e32 v162, v17
	v_dual_mov_b32 v169, v181 :: v_dual_mov_b32 v150, v3
	v_dual_mov_b32 v123, v159 :: v_dual_mov_b32 v124, v160
	;; [unrolled: 1-line block ×3, first 2 shown]
	s_delay_alu instid0(VALU_DEP_3)
	v_dual_mov_b32 v137, v149 :: v_dual_mov_b32 v138, v150
	v_dual_mov_b32 v139, v151 :: v_dual_mov_b32 v140, v152
	;; [unrolled: 1-line block ×10, first 2 shown]
	v_mov_b32_e32 v127, v19
	v_mov_b32_e32 v139, v5
	v_dual_mov_b32 v99, v123 :: v_dual_mov_b32 v100, v124
	v_dual_mov_b32 v111, v135 :: v_dual_mov_b32 v114, v138
	;; [unrolled: 1-line block ×4, first 2 shown]
	v_mov_b32_e32 v120, v144
	v_dual_mov_b32 v104, v128 :: v_dual_mov_b32 v105, v129
	v_dual_mov_b32 v110, v134 :: v_dual_mov_b32 v115, v139
	;; [unrolled: 1-line block ×22, first 2 shown]
	v_mov_b32_e32 v93, v7
	v_dual_mov_b32 v63, v75 :: v_dual_mov_b32 v68, v80
	v_dual_mov_b32 v64, v76 :: v_dual_mov_b32 v51, v87
	;; [unrolled: 1-line block ×3, first 2 shown]
	s_delay_alu instid0(VALU_DEP_4)
	v_dual_mov_b32 v58, v94 :: v_dual_mov_b32 v57, v93
	v_dual_mov_b32 v60, v96 :: v_dual_mov_b32 v59, v95
	;; [unrolled: 1-line block ×8, first 2 shown]
	v_mov_b32_e32 v60, v10
	v_dual_mov_b32 v52, v88 :: v_dual_mov_b32 v53, v89
	v_dual_mov_b32 v56, v92 :: v_dual_mov_b32 v59, v9
	;; [unrolled: 1-line block ×3, first 2 shown]
	v_mov_b32_e32 v72, v24
	v_dual_mov_b32 v70, v22 :: v_dual_mov_b32 v71, v23
	v_dual_mov_b32 v73, v13 :: v_dual_mov_b32 v74, v26
	;; [unrolled: 1-line block ×3, first 2 shown]
	v_mov_b32_e32 v4, v3
.LBB130_69:
	s_or_b32 exec_lo, exec_lo, s2
	v_mov_b32_e32 v2, v43
	s_mov_b32 s2, exec_lo
	v_cmpx_lt_f32_e32 v1, v43
	s_cbranch_execz .LBB130_71
; %bb.70:
	v_mov_b32_e32 v174, v19
	s_waitcnt vmcnt(2)
	v_dual_mov_b32 v30, v5 :: v_dual_mov_b32 v123, v171
	s_waitcnt vmcnt(0)
	v_dual_mov_b32 v146, v38 :: v_dual_mov_b32 v143, v35
	v_dual_mov_b32 v145, v37 :: v_dual_mov_b32 v142, v34
	s_delay_alu instid0(VALU_DEP_3)
	v_dual_mov_b32 v139, v31 :: v_dual_mov_b32 v138, v30
	v_dual_mov_b32 v135, v27 :: v_dual_mov_b32 v124, v172
	;; [unrolled: 1-line block ×5, first 2 shown]
	v_mov_b32_e32 v127, v18
	v_dual_mov_b32 v134, v182 :: v_dual_mov_b32 v139, v4
	v_dual_mov_b32 v144, v36 :: v_dual_mov_b32 v141, v33
	v_dual_mov_b32 v136, v28 :: v_dual_mov_b32 v125, v173
	v_dual_mov_b32 v126, v174 :: v_dual_mov_b32 v129, v177
	v_dual_mov_b32 v130, v178 :: v_dual_mov_b32 v133, v181
	s_delay_alu instid0(VALU_DEP_3)
	v_dual_mov_b32 v111, v135 :: v_dual_mov_b32 v112, v136
	v_dual_mov_b32 v99, v123 :: v_dual_mov_b32 v100, v124
	;; [unrolled: 1-line block ×12, first 2 shown]
	v_mov_b32_e32 v104, v20
	v_dual_mov_b32 v116, v6 :: v_dual_mov_b32 v75, v99
	v_mov_b32_e32 v87, v111
	v_dual_mov_b32 v93, v117 :: v_dual_mov_b32 v78, v102
	s_delay_alu instid0(VALU_DEP_3)
	v_dual_mov_b32 v81, v105 :: v_dual_mov_b32 v92, v116
	v_dual_mov_b32 v80, v104 :: v_dual_mov_b32 v83, v107
	v_dual_mov_b32 v84, v108 :: v_dual_mov_b32 v93, v7
	v_dual_mov_b32 v94, v118 :: v_dual_mov_b32 v95, v119
	v_dual_mov_b32 v96, v120 :: v_dual_mov_b32 v97, v121
	v_dual_mov_b32 v98, v122 :: v_dual_mov_b32 v77, v101
	v_dual_mov_b32 v82, v106 :: v_dual_mov_b32 v85, v109
	v_dual_mov_b32 v86, v110 :: v_dual_mov_b32 v81, v21
	v_dual_mov_b32 v88, v112 :: v_dual_mov_b32 v89, v113
	v_dual_mov_b32 v90, v114 :: v_dual_mov_b32 v91, v115
	v_dual_mov_b32 v76, v100 :: v_dual_mov_b32 v79, v103
	v_mov_b32_e32 v63, v75
	s_delay_alu instid0(VALU_DEP_4)
	v_dual_mov_b32 v51, v87 :: v_dual_mov_b32 v52, v88
	v_dual_mov_b32 v71, v83 :: v_dual_mov_b32 v72, v84
	;; [unrolled: 1-line block ×14, first 2 shown]
	v_mov_b32_e32 v68, v80
	v_dual_mov_b32 v58, v8 :: v_dual_mov_b32 v59, v9
	v_dual_mov_b32 v60, v10 :: v_dual_mov_b32 v71, v23
	;; [unrolled: 1-line block ×16, first 2 shown]
	v_mov_b32_e32 v2, v1
.LBB130_71:
	s_or_b32 exec_lo, exec_lo, s2
	v_mov_b32_e32 v1, v44
	s_mov_b32 s2, exec_lo
	s_delay_alu instid0(VALU_DEP_2)
	v_cmpx_lt_f32_e32 v2, v44
	s_cbranch_execz .LBB130_73
; %bb.72:
	v_mov_b32_e32 v163, v20
	v_mov_b32_e32 v151, v6
	v_dual_mov_b32 v99, v159 :: v_dual_mov_b32 v100, v160
	v_dual_mov_b32 v111, v147 :: v_dual_mov_b32 v112, v148
	;; [unrolled: 1-line block ×10, first 2 shown]
	v_mov_b32_e32 v108, v168
	v_dual_mov_b32 v104, v164 :: v_dual_mov_b32 v107, v167
	v_mov_b32_e32 v116, v5
	v_dual_mov_b32 v109, v169 :: v_dual_mov_b32 v104, v19
	v_dual_mov_b32 v87, v111 :: v_dual_mov_b32 v88, v112
	v_dual_mov_b32 v75, v99 :: v_dual_mov_b32 v76, v100
	v_dual_mov_b32 v93, v117 :: v_dual_mov_b32 v94, v118
	v_dual_mov_b32 v81, v105 :: v_dual_mov_b32 v82, v106
	v_dual_mov_b32 v89, v113 :: v_dual_mov_b32 v90, v114
	v_dual_mov_b32 v91, v115 :: v_dual_mov_b32 v92, v116
	v_dual_mov_b32 v95, v119 :: v_dual_mov_b32 v96, v120
	v_dual_mov_b32 v97, v121 :: v_dual_mov_b32 v98, v122
	v_dual_mov_b32 v77, v101 :: v_dual_mov_b32 v78, v102
	v_dual_mov_b32 v79, v103 :: v_dual_mov_b32 v80, v104
	v_dual_mov_b32 v83, v107 :: v_dual_mov_b32 v84, v108
	v_dual_mov_b32 v85, v109 :: v_dual_mov_b32 v86, v110
	v_mov_b32_e32 v93, v7
	v_dual_mov_b32 v43, v44 :: v_dual_mov_b32 v44, v2
	v_mov_b32_e32 v81, v21
	v_dual_mov_b32 v51, v87 :: v_dual_mov_b32 v56, v92
	v_dual_mov_b32 v52, v88 :: v_dual_mov_b32 v63, v75
	;; [unrolled: 1-line block ×14, first 2 shown]
	v_mov_b32_e32 v136, v148
	v_dual_mov_b32 v54, v90 :: v_dual_mov_b32 v59, v9
	v_dual_mov_b32 v62, v12 :: v_dual_mov_b32 v61, v14
	v_mov_b32_e32 v72, v24
	v_dual_mov_b32 v70, v22 :: v_dual_mov_b32 v71, v23
	v_dual_mov_b32 v73, v13 :: v_dual_mov_b32 v74, v26
	v_dual_mov_b32 v125, v161 :: v_dual_mov_b32 v126, v162
	v_dual_mov_b32 v127, v163 :: v_dual_mov_b32 v128, v164
	v_dual_mov_b32 v129, v165 :: v_dual_mov_b32 v130, v166
	v_dual_mov_b32 v131, v167 :: v_dual_mov_b32 v132, v168
	v_dual_mov_b32 v133, v169 :: v_dual_mov_b32 v134, v170
	v_dual_mov_b32 v137, v149 :: v_dual_mov_b32 v138, v150
	v_dual_mov_b32 v139, v151 :: v_dual_mov_b32 v140, v152
	v_dual_mov_b32 v141, v153 :: v_dual_mov_b32 v142, v154
	v_dual_mov_b32 v143, v155 :: v_dual_mov_b32 v144, v156
	v_dual_mov_b32 v145, v157 :: v_dual_mov_b32 v146, v158
	v_dual_mov_b32 v1, v2 :: v_dual_mov_b32 v20, v19
	v_mov_b32_e32 v6, v5
.LBB130_73:
	s_or_b32 exec_lo, exec_lo, s2
	v_mov_b32_e32 v2, v45
	s_mov_b32 s2, exec_lo
	v_cmpx_lt_f32_e32 v1, v45
	s_cbranch_execz .LBB130_75
; %bb.74:
	v_mov_b32_e32 v140, v7
	v_dual_mov_b32 v128, v21 :: v_dual_mov_b32 v87, v135
	v_mov_b32_e32 v93, v141
	v_mov_b32_e32 v93, v6
	;; [unrolled: 1-line block ×3, first 2 shown]
	v_dual_mov_b32 v92, v140 :: v_dual_mov_b32 v95, v143
	v_dual_mov_b32 v96, v144 :: v_dual_mov_b32 v97, v145
	;; [unrolled: 1-line block ×42, first 2 shown]
	v_mov_b32_e32 v2, v1
.LBB130_75:
	s_or_b32 exec_lo, exec_lo, s2
	v_mov_b32_e32 v1, v46
	s_mov_b32 s2, exec_lo
	s_delay_alu instid0(VALU_DEP_2)
	v_cmpx_lt_f32_e32 v2, v46
	s_cbranch_execz .LBB130_77
; %bb.76:
	v_mov_b32_e32 v117, v8
	v_mov_b32_e32 v45, v46
	;; [unrolled: 1-line block ×4, first 2 shown]
	v_dual_mov_b32 v51, v111 :: v_dual_mov_b32 v54, v114
	v_dual_mov_b32 v56, v116 :: v_dual_mov_b32 v63, v99
	v_dual_mov_b32 v66, v102 :: v_dual_mov_b32 v53, v113
	v_dual_mov_b32 v58, v118 :: v_dual_mov_b32 v55, v115
	v_dual_mov_b32 v60, v120 :: v_dual_mov_b32 v57, v117
	v_dual_mov_b32 v62, v122 :: v_dual_mov_b32 v59, v119
	v_dual_mov_b32 v60, v10 :: v_dual_mov_b32 v61, v121
	v_mov_b32_e32 v58, v7
	v_dual_mov_b32 v67, v103 :: v_dual_mov_b32 v70, v106
	v_dual_mov_b32 v69, v105 :: v_dual_mov_b32 v72, v108
	v_dual_mov_b32 v71, v107 :: v_dual_mov_b32 v74, v110
	v_dual_mov_b32 v73, v109 :: v_dual_mov_b32 v72, v24
	v_dual_mov_b32 v75, v99 :: v_dual_mov_b32 v76, v100
	v_dual_mov_b32 v87, v111 :: v_dual_mov_b32 v88, v112
	v_dual_mov_b32 v52, v112 :: v_dual_mov_b32 v59, v9
	v_dual_mov_b32 v62, v12 :: v_dual_mov_b32 v61, v14
	v_dual_mov_b32 v64, v100 :: v_dual_mov_b32 v65, v101
	v_mov_b32_e32 v68, v104
	v_dual_mov_b32 v70, v21 :: v_dual_mov_b32 v71, v23
	v_dual_mov_b32 v73, v13 :: v_dual_mov_b32 v74, v26
	;; [unrolled: 10-line block ×3, first 2 shown]
	v_dual_mov_b32 v95, v119 :: v_dual_mov_b32 v96, v120
	v_dual_mov_b32 v97, v121 :: v_dual_mov_b32 v98, v122
.LBB130_77:
	s_or_b32 exec_lo, exec_lo, s2
	v_mov_b32_e32 v2, v47
	s_mov_b32 s2, exec_lo
	v_cmpx_lt_f32_e32 v1, v47
	s_cbranch_execz .LBB130_79
; %bb.78:
	v_dual_mov_b32 v83, v22 :: v_dual_mov_b32 v84, v24
	v_dual_mov_b32 v94, v9 :: v_dual_mov_b32 v95, v8
	;; [unrolled: 1-line block ×4, first 2 shown]
	v_mov_b32_e32 v86, v26
	v_dual_mov_b32 v46, v47 :: v_dual_mov_b32 v47, v1
	v_dual_mov_b32 v98, v12 :: v_dual_mov_b32 v63, v75
	;; [unrolled: 1-line block ×13, first 2 shown]
	v_mov_b32_e32 v62, v98
	v_mov_b32_e32 v2, v1
.LBB130_79:
	s_or_b32 exec_lo, exec_lo, s2
	s_delay_alu instid0(VALU_DEP_1)
	v_cmp_lt_f32_e32 vcc_lo, v2, v48
	v_dual_mov_b32 v1, v39 :: v_dual_mov_b32 v6, v44
	v_dual_mov_b32 v3, v41 :: v_dual_mov_b32 v8, v46
	s_waitcnt vmcnt(0)
	v_dual_cndmask_b32 v37, v72, v71 :: v_dual_mov_b32 v4, v42
	v_dual_cndmask_b32 v71, v71, v72 :: v_dual_cndmask_b32 v38, v60, v59
	v_dual_cndmask_b32 v59, v59, v60 :: v_dual_cndmask_b32 v10, v48, v2
	v_dual_cndmask_b32 v9, v47, v48 :: v_dual_mov_b32 v2, v40
	v_dual_mov_b32 v5, v43 :: v_dual_mov_b32 v12, v50
	v_mov_b32_e32 v7, v45
	v_mov_b32_e32 v11, v49
	s_mov_b32 s2, exec_lo
	v_cmpx_lt_f32_e32 v39, v40
	s_cbranch_execz .LBB130_81
; %bb.80:
	v_dual_mov_b32 v13, v2 :: v_dual_mov_b32 v14, v1
	v_dual_mov_b32 v15, v3 :: v_dual_mov_b32 v16, v4
	;; [unrolled: 1-line block ×6, first 2 shown]
	v_mov_b32_e32 v25, v63
	v_dual_mov_b32 v26, v51 :: v_dual_mov_b32 v1, v13
	v_swap_b32 v63, v64
	v_swap_b32 v51, v52
	v_dual_mov_b32 v2, v14 :: v_dual_mov_b32 v3, v15
	v_dual_mov_b32 v4, v16 :: v_dual_mov_b32 v5, v17
	;; [unrolled: 1-line block ×5, first 2 shown]
	v_mov_b32_e32 v12, v24
	v_mov_b32_e32 v40, v39
.LBB130_81:
	s_or_b32 exec_lo, exec_lo, s2
	v_mov_b32_e32 v60, v38
	v_dual_mov_b32 v72, v37 :: v_dual_mov_b32 v13, v51
	v_dual_mov_b32 v25, v63 :: v_dual_mov_b32 v98, v74
	;; [unrolled: 1-line block ×60, first 2 shown]
	s_mov_b32 s2, exec_lo
	v_dual_mov_b32 v96, v72 :: v_dual_mov_b32 v93, v69
	v_cmpx_lt_f32_e32 v40, v3
	s_cbranch_execz .LBB130_83
; %bb.82:
	v_dual_mov_b32 v134, v62 :: v_dual_mov_b32 v133, v61
	v_dual_mov_b32 v124, v52 :: v_dual_mov_b32 v123, v51
	v_mov_b32_e32 v124, v53
	v_dual_mov_b32 v128, v56 :: v_dual_mov_b32 v127, v55
	v_dual_mov_b32 v132, v60 :: v_dual_mov_b32 v131, v59
	;; [unrolled: 1-line block ×11, first 2 shown]
	v_mov_b32_e32 v141, v69
	v_dual_mov_b32 v136, v65 :: v_dual_mov_b32 v137, v64
	v_dual_mov_b32 v160, v124 :: v_dual_mov_b32 v159, v123
	;; [unrolled: 1-line block ×40, first 2 shown]
	v_mov_b32_e32 v22, v84
	v_dual_mov_b32 v22, v38 :: v_dual_mov_b32 v25, v87
	v_dual_mov_b32 v16, v78 :: v_dual_mov_b32 v19, v81
	v_dual_mov_b32 v18, v80 :: v_dual_mov_b32 v21, v83
	v_dual_mov_b32 v20, v82 :: v_dual_mov_b32 v23, v85
	v_dual_mov_b32 v24, v86 :: v_dual_mov_b32 v21, v59
	v_dual_mov_b32 v28, v90 :: v_dual_mov_b32 v31, v93
	v_dual_mov_b32 v30, v92 :: v_dual_mov_b32 v33, v95
	v_dual_mov_b32 v32, v94 :: v_dual_mov_b32 v35, v97
	v_dual_mov_b32 v34, v96 :: v_dual_mov_b32 v31, v69
	v_dual_mov_b32 v36, v98 :: v_dual_mov_b32 v33, v71
	v_dual_mov_b32 v2, v3 :: v_dual_mov_b32 v3, v40
	v_dual_mov_b32 v14, v76 :: v_dual_mov_b32 v17, v79
	v_dual_mov_b32 v19, v57 :: v_dual_mov_b32 v20, v58
	v_dual_mov_b32 v23, v61 :: v_dual_mov_b32 v24, v62
	v_dual_mov_b32 v27, v89 :: v_dual_mov_b32 v26, v88
	v_dual_mov_b32 v29, v91 :: v_dual_mov_b32 v32, v70
	v_mov_b32_e32 v35, v73
	v_dual_mov_b32 v34, v37 :: v_dual_mov_b32 v39, v40
	v_dual_mov_b32 v36, v74 :: v_dual_mov_b32 v65, v64
	v_mov_b32_e32 v53, v52
.LBB130_83:
	s_or_b32 exec_lo, exec_lo, s2
	v_mov_b32_e32 v40, v4
	s_mov_b32 s2, exec_lo
	v_cmpx_lt_f32_e32 v39, v4
	s_cbranch_execz .LBB130_85
; %bb.84:
	v_mov_b32_e32 v137, v66
	v_mov_b32_e32 v125, v54
	;; [unrolled: 1-line block ×4, first 2 shown]
	v_dual_mov_b32 v170, v134 :: v_dual_mov_b32 v169, v133
	v_dual_mov_b32 v168, v132 :: v_dual_mov_b32 v159, v123
	;; [unrolled: 1-line block ×9, first 2 shown]
	v_mov_b32_e32 v157, v145
	v_dual_mov_b32 v155, v143 :: v_dual_mov_b32 v152, v140
	v_mov_b32_e32 v162, v53
	v_mov_b32_e32 v149, v137
	v_dual_mov_b32 v150, v65 :: v_dual_mov_b32 v111, v159
	v_dual_mov_b32 v112, v160 :: v_dual_mov_b32 v99, v147
	;; [unrolled: 1-line block ×13, first 2 shown]
	v_mov_b32_e32 v115, v55
	v_dual_mov_b32 v87, v99 :: v_dual_mov_b32 v88, v100
	v_dual_mov_b32 v75, v111 :: v_dual_mov_b32 v78, v114
	v_dual_mov_b32 v76, v112 :: v_dual_mov_b32 v77, v113
	s_delay_alu instid0(VALU_DEP_4)
	v_dual_mov_b32 v80, v116 :: v_dual_mov_b32 v79, v115
	v_dual_mov_b32 v82, v118 :: v_dual_mov_b32 v81, v117
	;; [unrolled: 1-line block ×6, first 2 shown]
	v_mov_b32_e32 v96, v108
	v_dual_mov_b32 v92, v104 :: v_dual_mov_b32 v93, v105
	v_dual_mov_b32 v98, v110 :: v_dual_mov_b32 v95, v107
	;; [unrolled: 1-line block ×21, first 2 shown]
	v_mov_b32_e32 v34, v37
	v_dual_mov_b32 v35, v73 :: v_dual_mov_b32 v36, v74
	v_mov_b32_e32 v40, v39
	v_mov_b32_e32 v66, v65
	;; [unrolled: 1-line block ×3, first 2 shown]
.LBB130_85:
	s_or_b32 exec_lo, exec_lo, s2
	v_mov_b32_e32 v39, v5
	s_mov_b32 s2, exec_lo
	v_cmpx_lt_f32_e32 v40, v5
	s_cbranch_execz .LBB130_87
; %bb.86:
	v_mov_b32_e32 v126, v55
	v_mov_b32_e32 v111, v123
	;; [unrolled: 1-line block ×3, first 2 shown]
	v_dual_mov_b32 v115, v54 :: v_dual_mov_b32 v116, v128
	v_dual_mov_b32 v138, v67 :: v_dual_mov_b32 v113, v125
	v_mov_b32_e32 v112, v124
	v_dual_mov_b32 v118, v130 :: v_dual_mov_b32 v119, v131
	v_dual_mov_b32 v120, v132 :: v_dual_mov_b32 v121, v133
	;; [unrolled: 1-line block ×24, first 2 shown]
	v_mov_b32_e32 v22, v84
	v_dual_mov_b32 v22, v38 :: v_dual_mov_b32 v25, v87
	v_dual_mov_b32 v16, v78 :: v_dual_mov_b32 v19, v81
	;; [unrolled: 1-line block ×18, first 2 shown]
	v_mov_b32_e32 v35, v73
	v_dual_mov_b32 v34, v37 :: v_dual_mov_b32 v155, v143
	v_dual_mov_b32 v36, v74 :: v_dual_mov_b32 v157, v145
	;; [unrolled: 1-line block ×12, first 2 shown]
	v_mov_b32_e32 v55, v54
.LBB130_87:
	s_or_b32 exec_lo, exec_lo, s2
	v_mov_b32_e32 v40, v6
	s_mov_b32 s2, exec_lo
	v_cmpx_lt_f32_e32 v39, v6
	s_cbranch_execz .LBB130_89
; %bb.88:
	v_mov_b32_e32 v163, v56
	v_dual_mov_b32 v75, v159 :: v_dual_mov_b32 v80, v164
	v_dual_mov_b32 v80, v55 :: v_dual_mov_b32 v81, v165
	;; [unrolled: 1-line block ×7, first 2 shown]
	v_mov_b32_e32 v85, v169
	v_dual_mov_b32 v89, v149 :: v_dual_mov_b32 v92, v152
	v_dual_mov_b32 v91, v151 :: v_dual_mov_b32 v94, v154
	;; [unrolled: 1-line block ×6, first 2 shown]
	v_mov_b32_e32 v88, v148
	v_mov_b32_e32 v6, v39
	s_delay_alu instid0(VALU_DEP_3) | instskip(NEXT) | instid1(VALU_DEP_3)
	v_dual_mov_b32 v13, v75 :: v_dual_mov_b32 v14, v76
	v_dual_mov_b32 v25, v87 :: v_dual_mov_b32 v26, v88
	;; [unrolled: 1-line block ×30, first 2 shown]
	v_mov_b32_e32 v40, v39
	v_mov_b32_e32 v68, v67
	v_mov_b32_e32 v56, v55
.LBB130_89:
	s_or_b32 exec_lo, exec_lo, s2
	v_mov_b32_e32 v39, v7
	s_mov_b32 s2, exec_lo
	v_cmpx_lt_f32_e32 v40, v7
	s_cbranch_execz .LBB130_91
; %bb.90:
	v_mov_b32_e32 v116, v57
	v_dual_mov_b32 v6, v7 :: v_dual_mov_b32 v7, v40
	v_dual_mov_b32 v104, v69 :: v_dual_mov_b32 v13, v111
	v_mov_b32_e32 v22, v120
	v_dual_mov_b32 v22, v38 :: v_dual_mov_b32 v25, v99
	v_mov_b32_e32 v34, v108
	v_dual_mov_b32 v34, v37 :: v_dual_mov_b32 v87, v99
	v_dual_mov_b32 v16, v114 :: v_dual_mov_b32 v19, v117
	;; [unrolled: 1-line block ×12, first 2 shown]
	v_mov_b32_e32 v23, v61
	v_dual_mov_b32 v21, v59 :: v_dual_mov_b32 v24, v62
	v_dual_mov_b32 v27, v101 :: v_dual_mov_b32 v26, v100
	;; [unrolled: 1-line block ×3, first 2 shown]
	v_mov_b32_e32 v35, v73
	v_dual_mov_b32 v33, v71 :: v_dual_mov_b32 v36, v74
	v_dual_mov_b32 v89, v101 :: v_dual_mov_b32 v88, v100
	;; [unrolled: 1-line block ×9, first 2 shown]
	v_mov_b32_e32 v39, v40
	v_mov_b32_e32 v69, v68
	v_dual_mov_b32 v57, v56 :: v_dual_mov_b32 v94, v106
	v_dual_mov_b32 v97, v109 :: v_dual_mov_b32 v82, v118
	;; [unrolled: 1-line block ×3, first 2 shown]
.LBB130_91:
	s_or_b32 exec_lo, exec_lo, s2
	v_mov_b32_e32 v40, v8
	s_mov_b32 s2, exec_lo
	v_cmpx_lt_f32_e32 v39, v8
	s_cbranch_execz .LBB130_93
; %bb.92:
	v_dual_mov_b32 v81, v58 :: v_dual_mov_b32 v82, v57
	v_dual_mov_b32 v83, v59 :: v_dual_mov_b32 v84, v38
	;; [unrolled: 1-line block ×19, first 2 shown]
	v_mov_b32_e32 v40, v39
.LBB130_93:
	s_or_b32 exec_lo, exec_lo, s2
	s_delay_alu instid0(VALU_DEP_1)
	v_cmp_lt_f32_e32 vcc_lo, v40, v9
	v_dual_mov_b32 v38, v2 :: v_dual_mov_b32 v41, v5
	v_dual_mov_b32 v42, v6 :: v_dual_mov_b32 v47, v11
	v_dual_cndmask_b32 v145, v33, v32 :: v_dual_cndmask_b32 v32, v32, v33
	v_dual_cndmask_b32 v146, v21, v20 :: v_dual_mov_b32 v39, v3
	v_dual_cndmask_b32 v20, v20, v21 :: v_dual_cndmask_b32 v45, v9, v40
	v_dual_cndmask_b32 v44, v8, v9 :: v_dual_mov_b32 v37, v1
	v_dual_mov_b32 v40, v4 :: v_dual_mov_b32 v43, v7
	v_mov_b32_e32 v46, v10
	v_mov_b32_e32 v48, v12
	s_mov_b32 s2, exec_lo
	v_cmpx_lt_f32_e32 v1, v2
	s_cbranch_execz .LBB130_95
; %bb.94:
	v_dual_mov_b32 v49, v38 :: v_dual_mov_b32 v50, v37
	v_dual_mov_b32 v51, v39 :: v_dual_mov_b32 v52, v40
	;; [unrolled: 1-line block ×6, first 2 shown]
	v_mov_b32_e32 v3, v25
	v_mov_b32_e32 v4, v13
	v_dual_mov_b32 v37, v49 :: v_dual_mov_b32 v40, v52
	v_swap_b32 v25, v26
	v_swap_b32 v13, v14
	v_dual_mov_b32 v38, v50 :: v_dual_mov_b32 v39, v51
	v_dual_mov_b32 v41, v53 :: v_dual_mov_b32 v42, v54
	;; [unrolled: 1-line block ×5, first 2 shown]
	v_mov_b32_e32 v2, v1
.LBB130_95:
	s_or_b32 exec_lo, exec_lo, s2
	v_mov_b32_e32 v21, v146
	v_dual_mov_b32 v33, v145 :: v_dual_mov_b32 v60, v24
	v_dual_mov_b32 v72, v36 :: v_dual_mov_b32 v61, v25
	;; [unrolled: 1-line block ×43, first 2 shown]
	v_mov_b32_e32 v97, v13
	v_mov_b32_e32 v1, v39
	s_mov_b32 s2, exec_lo
	v_dual_mov_b32 v95, v35 :: v_dual_mov_b32 v94, v34
	v_dual_mov_b32 v93, v33 :: v_dual_mov_b32 v92, v32
	;; [unrolled: 1-line block ×5, first 2 shown]
	v_cmpx_lt_f32_e32 v2, v39
	s_cbranch_execz .LBB130_97
; %bb.96:
	v_dual_mov_b32 v108, v24 :: v_dual_mov_b32 v107, v23
	v_dual_mov_b32 v98, v14 :: v_dual_mov_b32 v97, v13
	v_mov_b32_e32 v98, v15
	v_dual_mov_b32 v104, v20 :: v_dual_mov_b32 v103, v19
	v_dual_mov_b32 v100, v16 :: v_dual_mov_b32 v99, v15
	;; [unrolled: 1-line block ×26, first 2 shown]
	v_mov_b32_e32 v84, v144
	v_dual_mov_b32 v74, v134 :: v_dual_mov_b32 v77, v137
	v_mov_b32_e32 v75, v135
	v_dual_mov_b32 v38, v39 :: v_dual_mov_b32 v85, v121
	v_dual_mov_b32 v76, v136 :: v_dual_mov_b32 v79, v139
	;; [unrolled: 1-line block ×10, first 2 shown]
	v_mov_b32_e32 v39, v2
	v_dual_mov_b32 v49, v73 :: v_dual_mov_b32 v50, v74
	v_dual_mov_b32 v59, v83 :: v_dual_mov_b32 v60, v84
	;; [unrolled: 1-line block ×18, first 2 shown]
	v_mov_b32_e32 v70, v34
	v_dual_mov_b32 v72, v36 :: v_dual_mov_b32 v1, v2
	v_mov_b32_e32 v27, v26
	v_mov_b32_e32 v15, v14
.LBB130_97:
	s_or_b32 exec_lo, exec_lo, s2
	v_mov_b32_e32 v2, v40
	s_mov_b32 s2, exec_lo
	v_cmpx_lt_f32_e32 v1, v40
	s_cbranch_execz .LBB130_99
; %bb.98:
	v_mov_b32_e32 v99, v16
	v_mov_b32_e32 v144, v108
	;; [unrolled: 1-line block ×3, first 2 shown]
	v_dual_mov_b32 v136, v15 :: v_dual_mov_b32 v111, v28
	v_dual_mov_b32 v142, v106 :: v_dual_mov_b32 v133, v97
	;; [unrolled: 1-line block ×4, first 2 shown]
	v_mov_b32_e32 v135, v99
	v_dual_mov_b32 v125, v113 :: v_dual_mov_b32 v124, v112
	v_mov_b32_e32 v143, v107
	v_dual_mov_b32 v141, v105 :: v_dual_mov_b32 v140, v104
	v_dual_mov_b32 v139, v103 :: v_dual_mov_b32 v138, v102
	;; [unrolled: 1-line block ×18, first 2 shown]
	v_mov_b32_e32 v95, v131
	v_dual_mov_b32 v89, v29 :: v_dual_mov_b32 v88, v124
	v_dual_mov_b32 v49, v73 :: v_dual_mov_b32 v54, v78
	v_mov_b32_e32 v50, v74
	v_dual_mov_b32 v52, v76 :: v_dual_mov_b32 v61, v85
	s_delay_alu instid0(VALU_DEP_4)
	v_dual_mov_b32 v64, v88 :: v_dual_mov_b32 v51, v75
	v_dual_mov_b32 v56, v80 :: v_dual_mov_b32 v53, v77
	;; [unrolled: 1-line block ×12, first 2 shown]
	v_mov_b32_e32 v58, v22
	v_dual_mov_b32 v57, v146 :: v_dual_mov_b32 v60, v24
	v_dual_mov_b32 v59, v23 :: v_dual_mov_b32 v62, v86
	;; [unrolled: 1-line block ×5, first 2 shown]
	v_mov_b32_e32 v2, v1
	v_mov_b32_e32 v28, v27
	;; [unrolled: 1-line block ×3, first 2 shown]
.LBB130_99:
	s_or_b32 exec_lo, exec_lo, s2
	v_mov_b32_e32 v1, v41
	s_mov_b32 s2, exec_lo
	v_cmpx_lt_f32_e32 v2, v41
	s_cbranch_execz .LBB130_101
; %bb.100:
	v_mov_b32_e32 v100, v17
	v_mov_b32_e32 v73, v97
	;; [unrolled: 1-line block ×3, first 2 shown]
	v_dual_mov_b32 v77, v16 :: v_dual_mov_b32 v78, v102
	v_dual_mov_b32 v112, v29 :: v_dual_mov_b32 v75, v99
	;; [unrolled: 1-line block ×3, first 2 shown]
	v_mov_b32_e32 v84, v108
	v_dual_mov_b32 v74, v98 :: v_dual_mov_b32 v85, v109
	v_mov_b32_e32 v86, v110
	v_dual_mov_b32 v76, v100 :: v_dual_mov_b32 v79, v103
	v_dual_mov_b32 v80, v104 :: v_dual_mov_b32 v81, v105
	;; [unrolled: 1-line block ×8, first 2 shown]
	v_mov_b32_e32 v49, v73
	v_dual_mov_b32 v89, v28 :: v_dual_mov_b32 v50, v74
	v_dual_mov_b32 v59, v83 :: v_dual_mov_b32 v60, v84
	;; [unrolled: 1-line block ×32, first 2 shown]
	v_mov_b32_e32 v17, v16
.LBB130_101:
	s_or_b32 exec_lo, exec_lo, s2
	v_mov_b32_e32 v2, v42
	s_mov_b32 s2, exec_lo
	v_cmpx_lt_f32_e32 v1, v42
	s_cbranch_execz .LBB130_103
; %bb.102:
	v_mov_b32_e32 v137, v18
	v_mov_b32_e32 v125, v30
	v_dual_mov_b32 v41, v42 :: v_dual_mov_b32 v42, v1
	v_dual_mov_b32 v49, v133 :: v_dual_mov_b32 v50, v134
	;; [unrolled: 1-line block ×13, first 2 shown]
	v_mov_b32_e32 v66, v29
	v_dual_mov_b32 v85, v121 :: v_dual_mov_b32 v86, v122
	v_dual_mov_b32 v73, v133 :: v_dual_mov_b32 v74, v134
	;; [unrolled: 1-line block ×4, first 2 shown]
	v_mov_b32_e32 v64, v124
	v_dual_mov_b32 v58, v22 :: v_dual_mov_b32 v59, v23
	v_dual_mov_b32 v67, v31 :: v_dual_mov_b32 v68, v32
	;; [unrolled: 1-line block ×8, first 2 shown]
	v_mov_b32_e32 v2, v1
	v_mov_b32_e32 v30, v29
	v_dual_mov_b32 v18, v17 :: v_dual_mov_b32 v91, v127
	v_dual_mov_b32 v92, v128 :: v_dual_mov_b32 v93, v129
	;; [unrolled: 1-line block ×6, first 2 shown]
	v_mov_b32_e32 v84, v144
.LBB130_103:
	s_or_b32 exec_lo, exec_lo, s2
	v_mov_b32_e32 v1, v43
	s_mov_b32 s2, exec_lo
	v_cmpx_lt_f32_e32 v2, v43
	s_cbranch_execz .LBB130_105
; %bb.104:
	v_dual_mov_b32 v94, v34 :: v_dual_mov_b32 v95, v35
	v_dual_mov_b32 v78, v19 :: v_dual_mov_b32 v79, v18
	;; [unrolled: 1-line block ×6, first 2 shown]
	v_mov_b32_e32 v96, v36
	v_dual_mov_b32 v42, v43 :: v_dual_mov_b32 v43, v2
	v_dual_mov_b32 v84, v24 :: v_dual_mov_b32 v61, v85
	;; [unrolled: 1-line block ×14, first 2 shown]
.LBB130_105:
	s_or_b32 exec_lo, exec_lo, s2
	s_delay_alu instid0(VALU_DEP_1)
	v_cmp_lt_f32_e32 vcc_lo, v1, v44
	v_dual_mov_b32 v3, v39 :: v_dual_mov_b32 v10, v46
	v_dual_mov_b32 v5, v41 :: v_dual_mov_b32 v12, v48
	v_dual_cndmask_b32 v121, v68, v67 :: v_dual_mov_b32 v2, v38
	v_dual_cndmask_b32 v67, v67, v68 :: v_dual_cndmask_b32 v122, v56, v55
	v_dual_cndmask_b32 v55, v55, v56 :: v_dual_cndmask_b32 v8, v44, v1
	v_dual_cndmask_b32 v7, v43, v44 :: v_dual_mov_b32 v4, v40
	v_dual_mov_b32 v1, v37 :: v_dual_mov_b32 v6, v42
	v_mov_b32_e32 v9, v45
	v_mov_b32_e32 v11, v47
	s_mov_b32 s2, exec_lo
	v_cmpx_lt_f32_e32 v37, v38
	s_cbranch_execz .LBB130_107
; %bb.106:
	v_dual_mov_b32 v13, v2 :: v_dual_mov_b32 v14, v1
	v_dual_mov_b32 v15, v3 :: v_dual_mov_b32 v16, v4
	;; [unrolled: 1-line block ×6, first 2 shown]
	v_mov_b32_e32 v25, v61
	v_mov_b32_e32 v26, v49
	v_dual_mov_b32 v1, v13 :: v_dual_mov_b32 v4, v16
	v_swap_b32 v61, v62
	v_swap_b32 v49, v50
	v_dual_mov_b32 v2, v14 :: v_dual_mov_b32 v3, v15
	v_dual_mov_b32 v5, v17 :: v_dual_mov_b32 v6, v18
	;; [unrolled: 1-line block ×5, first 2 shown]
	v_mov_b32_e32 v38, v37
.LBB130_107:
	s_or_b32 exec_lo, exec_lo, s2
	v_mov_b32_e32 v56, v122
	v_mov_b32_e32 v68, v121
	;; [unrolled: 1-line block ×3, first 2 shown]
	v_dual_mov_b32 v27, v51 :: v_dual_mov_b32 v84, v72
	v_mov_b32_e32 v81, v69
	v_dual_mov_b32 v83, v71 :: v_dual_mov_b32 v96, v60
	v_dual_mov_b32 v91, v55 :: v_dual_mov_b32 v120, v72
	;; [unrolled: 1-line block ×31, first 2 shown]
	v_mov_b32_e32 v24, v60
	s_mov_b32 s2, exec_lo
	v_dual_mov_b32 v118, v70 :: v_dual_mov_b32 v115, v67
	v_dual_mov_b32 v116, v68 :: v_dual_mov_b32 v113, v65
	;; [unrolled: 1-line block ×3, first 2 shown]
	v_cmpx_lt_f32_e32 v38, v3
	s_cbranch_execz .LBB130_109
; %bb.108:
	v_dual_mov_b32 v13, v49 :: v_dual_mov_b32 v14, v50
	v_dual_mov_b32 v23, v59 :: v_dual_mov_b32 v24, v60
	;; [unrolled: 1-line block ×30, first 2 shown]
	v_mov_b32_e32 v112, v64
	v_dual_mov_b32 v34, v94 :: v_dual_mov_b32 v35, v95
	v_dual_mov_b32 v35, v59 :: v_dual_mov_b32 v34, v58
	;; [unrolled: 1-line block ×15, first 2 shown]
	v_mov_b32_e32 v81, v69
	v_dual_mov_b32 v80, v121 :: v_dual_mov_b32 v83, v71
	v_mov_b32_e32 v82, v70
	v_dual_mov_b32 v84, v72 :: v_dual_mov_b32 v37, v38
	v_mov_b32_e32 v63, v62
	v_mov_b32_e32 v51, v50
.LBB130_109:
	s_or_b32 exec_lo, exec_lo, s2
	v_mov_b32_e32 v38, v4
	s_mov_b32 s2, exec_lo
	v_cmpx_lt_f32_e32 v37, v4
	s_cbranch_execz .LBB130_111
; %bb.110:
	v_mov_b32_e32 v15, v52
	v_mov_b32_e32 v96, v24
	;; [unrolled: 1-line block ×3, first 2 shown]
	v_dual_mov_b32 v88, v51 :: v_dual_mov_b32 v99, v64
	v_dual_mov_b32 v94, v22 :: v_dual_mov_b32 v85, v13
	v_dual_mov_b32 v120, v108 :: v_dual_mov_b32 v109, v97
	v_mov_b32_e32 v95, v23
	v_dual_mov_b32 v93, v21 :: v_dual_mov_b32 v92, v20
	v_dual_mov_b32 v91, v19 :: v_dual_mov_b32 v90, v18
	;; [unrolled: 1-line block ×7, first 2 shown]
	v_mov_b32_e32 v87, v15
	v_dual_mov_b32 v111, v99 :: v_dual_mov_b32 v110, v98
	v_dual_mov_b32 v112, v63 :: v_dual_mov_b32 v25, v85
	;; [unrolled: 1-line block ×3, first 2 shown]
	s_delay_alu instid0(VALU_DEP_3)
	v_dual_mov_b32 v74, v110 :: v_dual_mov_b32 v29, v89
	v_dual_mov_b32 v30, v90 :: v_dual_mov_b32 v31, v91
	;; [unrolled: 1-line block ×8, first 2 shown]
	v_mov_b32_e32 v84, v120
	v_dual_mov_b32 v3, v4 :: v_dual_mov_b32 v4, v37
	v_dual_mov_b32 v27, v87 :: v_dual_mov_b32 v28, v88
	;; [unrolled: 1-line block ×11, first 2 shown]
	v_mov_b32_e32 v38, v37
	v_mov_b32_e32 v64, v63
	;; [unrolled: 1-line block ×3, first 2 shown]
.LBB130_111:
	s_or_b32 exec_lo, exec_lo, s2
	v_mov_b32_e32 v16, v5
	s_mov_b32 s2, exec_lo
	v_cmpx_lt_f32_e32 v38, v5
	s_cbranch_execz .LBB130_113
; %bb.112:
	v_mov_b32_e32 v100, v65
	v_mov_b32_e32 v16, v53
	v_dual_mov_b32 v4, v5 :: v_dual_mov_b32 v5, v38
	v_dual_mov_b32 v36, v24 :: v_dual_mov_b32 v33, v21
	;; [unrolled: 1-line block ×3, first 2 shown]
	v_mov_b32_e32 v31, v19
	v_dual_mov_b32 v35, v59 :: v_dual_mov_b32 v34, v58
	v_dual_mov_b32 v73, v97 :: v_dual_mov_b32 v32, v20
	;; [unrolled: 1-line block ×8, first 2 shown]
	v_mov_b32_e32 v77, v64
	v_dual_mov_b32 v84, v108 :: v_dual_mov_b32 v79, v67
	v_dual_mov_b32 v120, v108 :: v_dual_mov_b32 v115, v103
	;; [unrolled: 1-line block ×19, first 2 shown]
	v_mov_b32_e32 v88, v16
	v_dual_mov_b32 v86, v14 :: v_dual_mov_b32 v65, v64
	v_dual_mov_b32 v16, v38 :: v_dual_mov_b32 v53, v52
	v_dual_mov_b32 v118, v106 :: v_dual_mov_b32 v113, v101
.LBB130_113:
	s_or_b32 exec_lo, exec_lo, s2
	v_mov_b32_e32 v13, v6
	s_mov_b32 s2, exec_lo
	v_cmpx_lt_f32_e32 v16, v6
	s_cbranch_execz .LBB130_115
; %bb.114:
	v_dual_mov_b32 v89, v54 :: v_dual_mov_b32 v90, v53
	v_dual_mov_b32 v91, v55 :: v_dual_mov_b32 v92, v122
	;; [unrolled: 1-line block ×21, first 2 shown]
	v_mov_b32_e32 v13, v16
.LBB130_115:
	s_or_b32 exec_lo, exec_lo, s2
	s_delay_alu instid0(VALU_DEP_1)
	v_cmp_lt_f32_e32 vcc_lo, v13, v7
	v_dual_mov_b32 v14, v2 :: v_dual_mov_b32 v17, v5
	v_dual_mov_b32 v16, v4 :: v_dual_mov_b32 v21, v9
	v_dual_cndmask_b32 v37, v79, v78 :: v_dual_cndmask_b32 v78, v78, v79
	v_cndmask_b32_e32 v38, v31, v30, vcc_lo
	v_dual_cndmask_b32 v30, v30, v31 :: v_dual_cndmask_b32 v19, v7, v13
	v_dual_cndmask_b32 v18, v6, v7 :: v_dual_mov_b32 v15, v3
	v_dual_mov_b32 v13, v1 :: v_dual_mov_b32 v20, v8
	v_dual_mov_b32 v23, v11 :: v_dual_mov_b32 v22, v10
	v_mov_b32_e32 v24, v12
	s_mov_b32 s2, exec_lo
	v_cmpx_lt_f32_e32 v1, v2
	s_cbranch_execz .LBB130_117
; %bb.116:
	v_dual_mov_b32 v2, v14 :: v_dual_mov_b32 v3, v13
	v_dual_mov_b32 v12, v23 :: v_dual_mov_b32 v13, v24
	;; [unrolled: 1-line block ×6, first 2 shown]
	v_mov_b32_e32 v24, v13
	v_mov_b32_e32 v31, v73
	v_dual_mov_b32 v39, v25 :: v_dual_mov_b32 v18, v7
	v_swap_b32 v73, v74
	v_swap_b32 v25, v26
	v_dual_mov_b32 v23, v12 :: v_dual_mov_b32 v20, v9
	v_dual_mov_b32 v22, v11 :: v_dual_mov_b32 v21, v10
	v_dual_mov_b32 v16, v5 :: v_dual_mov_b32 v19, v8
	v_dual_mov_b32 v14, v3 :: v_dual_mov_b32 v17, v6
	v_mov_b32_e32 v15, v4
	v_dual_mov_b32 v13, v2 :: v_dual_mov_b32 v2, v1
.LBB130_117:
	s_or_b32 exec_lo, exec_lo, s2
	v_mov_b32_e32 v31, v38
	v_dual_mov_b32 v79, v37 :: v_dual_mov_b32 v50, v36
	v_dual_mov_b32 v51, v73 :: v_dual_mov_b32 v52, v74
	;; [unrolled: 1-line block ×24, first 2 shown]
	v_mov_b32_e32 v85, v25
	v_mov_b32_e32 v1, v15
	s_mov_b32 s2, exec_lo
	v_cmpx_lt_f32_e32 v2, v15
	s_cbranch_execz .LBB130_119
; %bb.118:
	v_dual_mov_b32 v96, v36 :: v_dual_mov_b32 v95, v35
	v_dual_mov_b32 v86, v26 :: v_dual_mov_b32 v85, v25
	;; [unrolled: 1-line block ×8, first 2 shown]
	v_mov_b32_e32 v105, v81
	v_dual_mov_b32 v43, v89 :: v_dual_mov_b32 v44, v90
	v_dual_mov_b32 v100, v76 :: v_dual_mov_b32 v97, v73
	;; [unrolled: 1-line block ×6, first 2 shown]
	v_mov_b32_e32 v98, v74
	v_dual_mov_b32 v98, v75 :: v_dual_mov_b32 v99, v74
	v_dual_mov_b32 v49, v95 :: v_dual_mov_b32 v50, v96
	;; [unrolled: 1-line block ×12, first 2 shown]
	v_mov_b32_e32 v40, v86
	v_dual_mov_b32 v42, v28 :: v_dual_mov_b32 v43, v29
	v_dual_mov_b32 v45, v38 :: v_dual_mov_b32 v46, v32
	;; [unrolled: 1-line block ×9, first 2 shown]
	v_mov_b32_e32 v75, v74
	v_mov_b32_e32 v27, v26
.LBB130_119:
	s_or_b32 exec_lo, exec_lo, s2
	v_mov_b32_e32 v2, v16
	s_mov_b32 s2, exec_lo
	v_cmpx_lt_f32_e32 v1, v16
	s_cbranch_execz .LBB130_121
; %bb.120:
	v_mov_b32_e32 v87, v28
	v_mov_b32_e32 v99, v76
	v_dual_mov_b32 v15, v16 :: v_dual_mov_b32 v16, v1
	v_dual_mov_b32 v39, v85 :: v_dual_mov_b32 v42, v88
	;; [unrolled: 1-line block ×13, first 2 shown]
	v_mov_b32_e32 v56, v78
	v_mov_b32_e32 v40, v86
	v_dual_mov_b32 v42, v27 :: v_dual_mov_b32 v43, v29
	v_dual_mov_b32 v45, v38 :: v_dual_mov_b32 v46, v32
	;; [unrolled: 1-line block ×8, first 2 shown]
	v_mov_b32_e32 v2, v1
	v_mov_b32_e32 v76, v75
	;; [unrolled: 1-line block ×3, first 2 shown]
.LBB130_121:
	s_or_b32 exec_lo, exec_lo, s2
	v_mov_b32_e32 v1, v17
	s_mov_b32 s2, exec_lo
	v_cmpx_lt_f32_e32 v2, v17
	s_cbranch_execz .LBB130_123
; %bb.122:
	v_dual_mov_b32 v106, v82 :: v_dual_mov_b32 v107, v83
	v_dual_mov_b32 v88, v29 :: v_dual_mov_b32 v89, v28
	;; [unrolled: 1-line block ×8, first 2 shown]
	v_mov_b32_e32 v108, v84
	v_dual_mov_b32 v16, v17 :: v_dual_mov_b32 v17, v2
	v_dual_mov_b32 v96, v36 :: v_dual_mov_b32 v51, v97
	;; [unrolled: 1-line block ×14, first 2 shown]
.LBB130_123:
	s_or_b32 exec_lo, exec_lo, s2
	s_delay_alu instid0(VALU_DEP_1)
	v_cmp_lt_f32_e32 vcc_lo, v1, v18
	v_dual_mov_b32 v27, v13 :: v_dual_mov_b32 v34, v20
	v_dual_mov_b32 v29, v15 :: v_dual_mov_b32 v36, v22
	v_dual_cndmask_b32 v63, v56, v55 :: v_dual_cndmask_b32 v32, v18, v1
	v_dual_cndmask_b32 v55, v55, v56 :: v_dual_cndmask_b32 v64, v44, v43
	v_dual_cndmask_b32 v43, v43, v44 :: v_dual_mov_b32 v28, v14
	v_dual_cndmask_b32 v31, v17, v18 :: v_dual_mov_b32 v30, v16
	v_dual_mov_b32 v33, v19 :: v_dual_mov_b32 v38, v24
	v_mov_b32_e32 v35, v21
	v_mov_b32_e32 v37, v23
	s_mov_b32 s2, exec_lo
	v_cmpx_lt_f32_e32 v13, v14
	s_cbranch_execz .LBB130_125
; %bb.124:
	s_delay_alu instid0(VALU_DEP_2)
	v_dual_mov_b32 v11, v37 :: v_dual_mov_b32 v12, v38
	v_dual_mov_b32 v1, v28 :: v_dual_mov_b32 v2, v27
	;; [unrolled: 1-line block ×7, first 2 shown]
	s_delay_alu instid0(VALU_DEP_2)
	v_dual_mov_b32 v16, v39 :: v_dual_mov_b32 v35, v9
	v_swap_b32 v51, v52
	v_swap_b32 v39, v40
	v_dual_mov_b32 v37, v11 :: v_dual_mov_b32 v36, v10
	v_dual_mov_b32 v34, v8 :: v_dual_mov_b32 v33, v7
	;; [unrolled: 1-line block ×5, first 2 shown]
	v_mov_b32_e32 v14, v13
.LBB130_125:
	s_or_b32 exec_lo, exec_lo, s2
	v_mov_b32_e32 v44, v64
	v_mov_b32_e32 v56, v63
	;; [unrolled: 1-line block ×4, first 2 shown]
	v_dual_mov_b32 v15, v51 :: v_dual_mov_b32 v2, v40
	v_dual_mov_b32 v16, v52 :: v_dual_mov_b32 v17, v53
	;; [unrolled: 1-line block ×11, first 2 shown]
	v_mov_b32_e32 v12, v50
	s_mov_b32 s2, exec_lo
	v_cmpx_lt_f32_e32 v14, v29
	s_cbranch_execz .LBB130_127
; %bb.126:
	v_dual_mov_b32 v1, v39 :: v_dual_mov_b32 v2, v40
	v_dual_mov_b32 v11, v49 :: v_dual_mov_b32 v12, v50
	;; [unrolled: 1-line block ×25, first 2 shown]
	v_mov_b32_e32 v41, v40
.LBB130_127:
	s_or_b32 exec_lo, exec_lo, s2
	v_mov_b32_e32 v39, v30
	s_mov_b32 s2, exec_lo
	v_cmpx_lt_f32_e32 v13, v30
	s_cbranch_execz .LBB130_129
; %bb.128:
	v_dual_mov_b32 v29, v30 :: v_dual_mov_b32 v30, v13
	v_dual_mov_b32 v3, v42 :: v_dual_mov_b32 v4, v41
	;; [unrolled: 1-line block ×11, first 2 shown]
	v_mov_b32_e32 v39, v13
.LBB130_129:
	s_or_b32 exec_lo, exec_lo, s2
	s_delay_alu instid0(VALU_DEP_1)
	v_cmp_lt_f32_e32 vcc_lo, v39, v31
	v_dual_mov_b32 v40, v28 :: v_dual_mov_b32 v45, v33
	v_dual_mov_b32 v44, v32 :: v_dual_mov_b32 v47, v35
	v_dual_cndmask_b32 v13, v19, v18 :: v_dual_cndmask_b32 v18, v18, v19
	v_dual_cndmask_b32 v14, v5, v4 :: v_dual_cndmask_b32 v43, v31, v39
	v_dual_cndmask_b32 v4, v4, v5 :: v_dual_mov_b32 v39, v27
	v_dual_cndmask_b32 v42, v30, v31 :: v_dual_mov_b32 v41, v29
	v_dual_mov_b32 v46, v34 :: v_dual_mov_b32 v49, v37
	v_mov_b32_e32 v48, v36
	v_mov_b32_e32 v50, v38
	s_mov_b32 s2, exec_lo
	v_cmpx_lt_f32_e32 v27, v28
	s_cbranch_execz .LBB130_131
; %bb.130:
	v_dual_mov_b32 v28, v40 :: v_dual_mov_b32 v29, v39
	v_dual_mov_b32 v38, v49 :: v_dual_mov_b32 v39, v50
	;; [unrolled: 1-line block ×7, first 2 shown]
	v_mov_b32_e32 v5, v15
	v_swap_b32 v15, v16
	s_delay_alu instid0(VALU_DEP_4)
	v_mov_b32_e32 v48, v37
	v_swap_b32 v1, v2
	v_dual_mov_b32 v49, v38 :: v_dual_mov_b32 v46, v35
	v_dual_mov_b32 v47, v36 :: v_dual_mov_b32 v44, v33
	;; [unrolled: 1-line block ×4, first 2 shown]
	v_mov_b32_e32 v41, v30
	v_dual_mov_b32 v39, v28 :: v_dual_mov_b32 v28, v27
.LBB130_131:
	s_or_b32 exec_lo, exec_lo, s2
	v_mov_b32_e32 v5, v14
	v_mov_b32_e32 v19, v13
	;; [unrolled: 1-line block ×3, first 2 shown]
	s_mov_b32 s2, exec_lo
	v_cmpx_lt_f32_e32 v28, v41
	s_cbranch_execz .LBB130_133
; %bb.132:
	v_dual_mov_b32 v74, v26 :: v_dual_mov_b32 v73, v25
	v_dual_mov_b32 v62, v12 :: v_dual_mov_b32 v61, v11
	;; [unrolled: 1-line block ×22, first 2 shown]
	v_mov_b32_e32 v74, v26
	v_dual_mov_b32 v40, v41 :: v_dual_mov_b32 v41, v28
	v_dual_mov_b32 v62, v12 :: v_dual_mov_b32 v15, v63
	;; [unrolled: 1-line block ×14, first 2 shown]
.LBB130_133:
	s_or_b32 exec_lo, exec_lo, s2
	s_delay_alu instid0(VALU_DEP_1)
	v_cmp_lt_f32_e32 vcc_lo, v27, v42
	v_dual_mov_b32 v28, v23 :: v_dual_mov_b32 v29, v24
	v_dual_mov_b32 v30, v25 :: v_dual_mov_b32 v31, v26
	v_dual_cndmask_b32 v13, v18, v17 :: v_dual_cndmask_b32 v14, v4, v3
	v_dual_cndmask_b32 v51, v17, v18 :: v_dual_cndmask_b32 v56, v3, v4
	;; [unrolled: 1-line block ×3, first 2 shown]
	v_cmp_lt_f32_e32 vcc_lo, v39, v40
	v_dual_mov_b32 v4, v19 :: v_dual_mov_b32 v17, v20
	v_dual_mov_b32 v18, v21 :: v_dual_mov_b32 v27, v22
	;; [unrolled: 1-line block ×10, first 2 shown]
	v_mov_b32_e32 v59, v50
	s_and_saveexec_b32 s2, vcc_lo
	s_cbranch_execz .LBB130_135
; %bb.134:
	v_dual_mov_b32 v42, v40 :: v_dual_mov_b32 v27, v22
	v_dual_mov_b32 v4, v15 :: v_dual_mov_b32 v17, v20
	;; [unrolled: 1-line block ×3, first 2 shown]
	v_swap_b32 v15, v16
	v_swap_b32 v1, v2
	v_dual_mov_b32 v40, v39 :: v_dual_mov_b32 v29, v24
	v_dual_mov_b32 v4, v19 :: v_dual_mov_b32 v31, v26
	;; [unrolled: 1-line block ×11, first 2 shown]
	v_mov_b32_e32 v54, v46
	v_mov_b32_e32 v58, v49
.LBB130_135:
	s_or_b32 exec_lo, exec_lo, s2
	s_clause 0x1
	s_load_b32 s8, s[0:1], 0x28
	s_load_b128 s[4:7], s[0:1], 0x10
	s_waitcnt lgkmcnt(0)
	s_cmp_lt_i32 s8, 1
	s_cbranch_scc1 .LBB130_141
; %bb.136:
	v_cmp_lt_f32_e32 vcc_lo, v40, v60
	v_dual_mov_b32 v7, 0 :: v_dual_mov_b32 v6, 0
	s_mov_b32 s9, 0x76543210
	s_mov_b32 s10, s8
	v_dual_cndmask_b32 v5, v56, v2 :: v_dual_cndmask_b32 v12, v61, v60
	v_dual_cndmask_b32 v10, v2, v56 :: v_dual_cndmask_b32 v19, v16, v51
	v_cndmask_b32_e32 v2, v60, v40, vcc_lo
	v_cndmask_b32_e32 v8, v51, v16, vcc_lo
	s_delay_alu instid0(VALU_DEP_4) | instskip(NEXT) | instid1(VALU_DEP_1)
	v_cmp_lt_f32_e64 s2, v39, v12
	v_cndmask_b32_e64 v9, v10, v1, s2
	v_cndmask_b32_e64 v10, v1, v10, s2
	;; [unrolled: 1-line block ×6, first 2 shown]
	v_mov_b32_e32 v19, v0
	v_mov_b32_e32 v1, 0
.LBB130_137:                            ; =>This Inner Loop Header: Depth=1
	v_cmp_eq_u32_e32 vcc_lo, 1, v7
	v_cmp_eq_u32_e64 s2, 2, v7
	v_cmp_gt_u32_e64 s3, 12, v7
	v_dual_cndmask_b32 v20, v12, v11 :: v_dual_cndmask_b32 v21, v10, v9
	s_delay_alu instid0(VALU_DEP_1) | instskip(NEXT) | instid1(VALU_DEP_2)
	v_cndmask_b32_e64 v20, v20, v2, s2
	v_cndmask_b32_e64 v21, v21, v5, s2
	v_cndmask_b32_e32 v22, v15, v16, vcc_lo
	v_cmp_eq_u32_e32 vcc_lo, 3, v7
	s_delay_alu instid0(VALU_DEP_3) | instskip(NEXT) | instid1(VALU_DEP_3)
	v_cndmask_b32_e32 v21, v21, v14, vcc_lo
	v_cndmask_b32_e64 v22, v22, v8, s2
	v_cmp_eq_u32_e64 s2, 4, v7
	s_delay_alu instid0(VALU_DEP_2) | instskip(NEXT) | instid1(VALU_DEP_2)
	v_cndmask_b32_e32 v22, v22, v13, vcc_lo
	v_cndmask_b32_e64 v21, v21, v32, s2
	v_cndmask_b32_e32 v20, v20, v3, vcc_lo
	v_cmp_eq_u32_e32 vcc_lo, 5, v7
	s_delay_alu instid0(VALU_DEP_4) | instskip(NEXT) | instid1(VALU_DEP_4)
	v_cndmask_b32_e64 v22, v22, v4, s2
	v_cndmask_b32_e32 v21, v21, v33, vcc_lo
	s_delay_alu instid0(VALU_DEP_4) | instskip(SKIP_1) | instid1(VALU_DEP_4)
	v_cndmask_b32_e64 v20, v20, v42, s2
	v_cmp_eq_u32_e64 s2, 6, v7
	v_cndmask_b32_e32 v22, v22, v17, vcc_lo
	s_delay_alu instid0(VALU_DEP_3) | instskip(SKIP_1) | instid1(VALU_DEP_4)
	v_cndmask_b32_e32 v20, v20, v52, vcc_lo
	v_cmp_eq_u32_e32 vcc_lo, 7, v7
	v_cndmask_b32_e64 v21, v21, v34, s2
	s_delay_alu instid0(VALU_DEP_4) | instskip(NEXT) | instid1(VALU_DEP_4)
	v_cndmask_b32_e64 v22, v22, v18, s2
	v_cndmask_b32_e64 v20, v20, v53, s2
	v_cmp_eq_u32_e64 s2, 8, v7
	s_delay_alu instid0(VALU_DEP_4) | instskip(NEXT) | instid1(VALU_DEP_4)
	v_cndmask_b32_e32 v21, v21, v35, vcc_lo
	v_cndmask_b32_e32 v22, v22, v27, vcc_lo
	s_delay_alu instid0(VALU_DEP_4) | instskip(SKIP_1) | instid1(VALU_DEP_4)
	v_cndmask_b32_e32 v20, v20, v54, vcc_lo
	v_cmp_eq_u32_e32 vcc_lo, 9, v7
	v_cndmask_b32_e64 v21, v21, v36, s2
	s_delay_alu instid0(VALU_DEP_4) | instskip(NEXT) | instid1(VALU_DEP_4)
	v_cndmask_b32_e64 v22, v22, v28, s2
	v_cndmask_b32_e64 v20, v20, v55, s2
	v_cmp_eq_u32_e64 s2, 10, v7
	s_delay_alu instid0(VALU_DEP_4) | instskip(NEXT) | instid1(VALU_DEP_4)
	v_cndmask_b32_e32 v21, v21, v37, vcc_lo
	v_cndmask_b32_e32 v22, v22, v29, vcc_lo
	s_delay_alu instid0(VALU_DEP_4) | instskip(SKIP_1) | instid1(VALU_DEP_4)
	v_cndmask_b32_e32 v20, v20, v57, vcc_lo
	v_cmp_eq_u32_e32 vcc_lo, 11, v7
	v_cndmask_b32_e64 v21, v21, v38, s2
	s_delay_alu instid0(VALU_DEP_3) | instskip(NEXT) | instid1(VALU_DEP_1)
	v_cndmask_b32_e64 v20, v20, v58, s2
	v_dual_cndmask_b32 v21, v21, v41 :: v_dual_cndmask_b32 v20, v20, v59
	s_delay_alu instid0(VALU_DEP_1)
	v_cndmask_b32_e64 v20, 0xff800000, v20, s3
	;;#ASMSTART
	v_max_f32 v23, v20, v20 quad_perm:[1,0,3,2] row_mask:0xf bank_mask:0xf bound_ctrl:1
	;;#ASMEND
	;;#ASMSTART
	v_max_f32 v24, v23, v23 quad_perm:[2,3,0,1] row_mask:0xf bank_mask:0xf bound_ctrl:1
	;;#ASMEND
	;;#ASMSTART
	v_max_f32 v23, v24, v24 row_half_mirror row_mask:0xf bank_mask:0xf bound_ctrl:1
	;;#ASMEND
	;;#ASMSTART
	v_max_f32 v24, v23, v23 row_mirror row_mask:0xf bank_mask:0xf bound_ctrl:1
	;;#ASMEND
	v_permlanex16_b32 v23, v24, s9, 0xfedcba98 op_sel:[1,1]
	s_delay_alu instid0(VALU_DEP_1) | instskip(NEXT) | instid1(VALU_DEP_1)
	v_dual_max_f32 v24, v24, v24 :: v_dual_max_f32 v23, v23, v23
	v_max_f32_e32 v23, v24, v23
	v_cndmask_b32_e64 v22, v22, v30, s2
	s_delay_alu instid0(VALU_DEP_2) | instskip(SKIP_1) | instid1(VALU_DEP_2)
	v_cmp_eq_f32_e64 s2, v20, v23
	v_cndmask_b32_e64 v20, 0, v21, s3
	s_ctz_i32_b32 s11, s2
	s_cmp_lg_u32 s2, 0
	s_cselect_b32 s2, s11, 0
	s_add_i32 s10, s10, -1
	v_readlane_b32 s11, v20, s2
	v_cndmask_b32_e32 v20, v22, v31, vcc_lo
	s_delay_alu instid0(VALU_DEP_2)
	v_cmp_eq_u32_e32 vcc_lo, s11, v21
	s_and_b32 s2, s11, 31
	s_and_b32 vcc_lo, s3, vcc_lo
	s_cmp_eq_u32 s10, 0
	v_cndmask_b32_e32 v20, 0, v20, vcc_lo
	v_add_co_ci_u32_e32 v7, vcc_lo, 0, v7, vcc_lo
	s_delay_alu instid0(VALU_DEP_2) | instskip(SKIP_2) | instid1(VALU_DEP_2)
	v_readlane_b32 s3, v20, s2
	v_cmp_eq_u32_e64 s2, 0, v19
	v_add_nc_u32_e32 v19, -1, v19
	v_cndmask_b32_e64 v6, v6, s3, s2
	v_cndmask_b32_e64 v1, v1, s11, s2
	s_cbranch_scc0 .LBB130_137
; %bb.138:
	s_mov_b32 s2, exec_lo
	v_cmpx_gt_i32_e64 s8, v0
	s_cbranch_execz .LBB130_140
.LBB130_139:
	s_clause 0x1
	s_load_b64 s[2:3], s[0:1], 0x20
	s_load_b32 s8, s[0:1], 0x30
	s_ashr_i32 s0, s15, 31
	s_waitcnt lgkmcnt(0)
	s_mul_i32 s1, s15, s3
	s_mul_hi_u32 s3, s15, s2
	s_mul_i32 s0, s0, s2
	s_add_i32 s1, s3, s1
	v_mul_f32_e32 v0, s8, v6
	s_add_i32 s1, s1, s0
	s_mul_i32 s0, s15, s2
	s_delay_alu instid0(SALU_CYCLE_1) | instskip(NEXT) | instid1(SALU_CYCLE_1)
	s_lshl_b64 s[0:1], s[0:1], 2
	s_add_u32 s2, s4, s0
	s_addc_u32 s3, s5, s1
	s_add_u32 s0, s6, s0
	s_addc_u32 s1, s7, s1
	s_clause 0x1
	global_store_b32 v183, v0, s[2:3]
	global_store_b32 v183, v1, s[0:1]
.LBB130_140:
	s_endpgm
.LBB130_141:
	v_dual_mov_b32 v1, 0 :: v_dual_mov_b32 v6, 0
	s_mov_b32 s2, exec_lo
	v_cmpx_gt_i32_e64 s8, v0
	s_cbranch_execnz .LBB130_139
	s_branch .LBB130_140
	.section	.rodata,"a",@progbits
	.p2align	6, 0x0
	.amdhsa_kernel _ZN5aiter24topk_softplus_kernel_optI6__halffLi384ELb0ELi0EEEvPKT_PKT0_PfPimiif
		.amdhsa_group_segment_fixed_size 0
		.amdhsa_private_segment_fixed_size 196
		.amdhsa_kernarg_size 52
		.amdhsa_user_sgpr_count 15
		.amdhsa_user_sgpr_dispatch_ptr 0
		.amdhsa_user_sgpr_queue_ptr 0
		.amdhsa_user_sgpr_kernarg_segment_ptr 1
		.amdhsa_user_sgpr_dispatch_id 0
		.amdhsa_user_sgpr_private_segment_size 0
		.amdhsa_wavefront_size32 1
		.amdhsa_uses_dynamic_stack 0
		.amdhsa_enable_private_segment 1
		.amdhsa_system_sgpr_workgroup_id_x 1
		.amdhsa_system_sgpr_workgroup_id_y 0
		.amdhsa_system_sgpr_workgroup_id_z 0
		.amdhsa_system_sgpr_workgroup_info 0
		.amdhsa_system_vgpr_workitem_id 0
		.amdhsa_next_free_vgpr 184
		.amdhsa_next_free_sgpr 16
		.amdhsa_reserve_vcc 1
		.amdhsa_float_round_mode_32 0
		.amdhsa_float_round_mode_16_64 0
		.amdhsa_float_denorm_mode_32 3
		.amdhsa_float_denorm_mode_16_64 3
		.amdhsa_dx10_clamp 1
		.amdhsa_ieee_mode 1
		.amdhsa_fp16_overflow 0
		.amdhsa_workgroup_processor_mode 1
		.amdhsa_memory_ordered 1
		.amdhsa_forward_progress 0
		.amdhsa_shared_vgpr_count 0
		.amdhsa_exception_fp_ieee_invalid_op 0
		.amdhsa_exception_fp_denorm_src 0
		.amdhsa_exception_fp_ieee_div_zero 0
		.amdhsa_exception_fp_ieee_overflow 0
		.amdhsa_exception_fp_ieee_underflow 0
		.amdhsa_exception_fp_ieee_inexact 0
		.amdhsa_exception_int_div_zero 0
	.end_amdhsa_kernel
	.section	.text._ZN5aiter24topk_softplus_kernel_optI6__halffLi384ELb0ELi0EEEvPKT_PKT0_PfPimiif,"axG",@progbits,_ZN5aiter24topk_softplus_kernel_optI6__halffLi384ELb0ELi0EEEvPKT_PKT0_PfPimiif,comdat
.Lfunc_end130:
	.size	_ZN5aiter24topk_softplus_kernel_optI6__halffLi384ELb0ELi0EEEvPKT_PKT0_PfPimiif, .Lfunc_end130-_ZN5aiter24topk_softplus_kernel_optI6__halffLi384ELb0ELi0EEEvPKT_PKT0_PfPimiif
                                        ; -- End function
	.section	.AMDGPU.csdata,"",@progbits
; Kernel info:
; codeLenInByte = 30356
; NumSgprs: 18
; NumVgprs: 184
; ScratchSize: 196
; MemoryBound: 0
; FloatMode: 240
; IeeeMode: 1
; LDSByteSize: 0 bytes/workgroup (compile time only)
; SGPRBlocks: 2
; VGPRBlocks: 22
; NumSGPRsForWavesPerEU: 18
; NumVGPRsForWavesPerEU: 184
; Occupancy: 8
; WaveLimiterHint : 0
; COMPUTE_PGM_RSRC2:SCRATCH_EN: 1
; COMPUTE_PGM_RSRC2:USER_SGPR: 15
; COMPUTE_PGM_RSRC2:TRAP_HANDLER: 0
; COMPUTE_PGM_RSRC2:TGID_X_EN: 1
; COMPUTE_PGM_RSRC2:TGID_Y_EN: 0
; COMPUTE_PGM_RSRC2:TGID_Z_EN: 0
; COMPUTE_PGM_RSRC2:TIDIG_COMP_CNT: 0
	.section	.text._ZN5aiter20topk_softplus_kernelI6__halffDv4_fLb1ELi0EEEvPKT_PKT0_PfPimiiif,"axG",@progbits,_ZN5aiter20topk_softplus_kernelI6__halffDv4_fLb1ELi0EEEvPKT_PKT0_PfPimiiif,comdat
	.protected	_ZN5aiter20topk_softplus_kernelI6__halffDv4_fLb1ELi0EEEvPKT_PKT0_PfPimiiif ; -- Begin function _ZN5aiter20topk_softplus_kernelI6__halffDv4_fLb1ELi0EEEvPKT_PKT0_PfPimiiif
	.globl	_ZN5aiter20topk_softplus_kernelI6__halffDv4_fLb1ELi0EEEvPKT_PKT0_PfPimiiif
	.p2align	8
	.type	_ZN5aiter20topk_softplus_kernelI6__halffDv4_fLb1ELi0EEEvPKT_PKT0_PfPimiiif,@function
_ZN5aiter20topk_softplus_kernelI6__halffDv4_fLb1ELi0EEEvPKT_PKT0_PfPimiiif: ; @_ZN5aiter20topk_softplus_kernelI6__halffDv4_fLb1ELi0EEEvPKT_PKT0_PfPimiiif
; %bb.0:
	s_clause 0x1
	s_load_b64 s[12:13], s[0:1], 0x28
	s_load_b256 s[4:11], s[0:1], 0x0
	v_lshlrev_b32_e32 v11, 2, v0
	v_lshl_add_u32 v12, v0, 4, 0
	s_waitcnt lgkmcnt(0)
	s_ashr_i32 s2, s12, 31
	s_mul_i32 s16, s15, s12
	s_lshr_b32 s2, s2, 30
	s_ashr_i32 s17, s16, 31
	s_add_i32 s2, s12, s2
	s_delay_alu instid0(SALU_CYCLE_1) | instskip(NEXT) | instid1(SALU_CYCLE_1)
	s_ashr_i32 s14, s2, 2
	v_cmp_gt_i32_e64 s2, s14, v0
	s_delay_alu instid0(VALU_DEP_1)
	s_and_saveexec_b32 s18, s2
	s_cbranch_execz .LBB131_11
; %bb.1:
	s_load_b32 s3, s[0:1], 0x44
	s_cmp_lg_u64 s[6:7], 0
	v_dual_mov_b32 v6, 0 :: v_dual_lshlrev_b32 v1, 3, v0
	s_cselect_b32 s20, -1, 0
	v_dual_mov_b32 v14, v0 :: v_dual_lshlrev_b32 v5, 2, v0
	v_lshl_add_u32 v13, v0, 4, 0
	s_mov_b32 s19, 0
	s_mov_b32 s31, 0x3fb8aa3b
	s_waitcnt lgkmcnt(0)
	s_and_b32 s21, s3, 0xffff
	s_add_u32 s22, s6, 4
	s_addc_u32 s23, s7, 0
	s_add_u32 s24, s6, 8
	s_addc_u32 s25, s7, 0
	;; [unrolled: 2-line block ×3, first 2 shown]
	s_lshl_b64 s[28:29], s[16:17], 1
	s_delay_alu instid0(SALU_CYCLE_1) | instskip(SKIP_2) | instid1(VALU_DEP_1)
	s_add_u32 s3, s4, s28
	s_addc_u32 s29, s5, s29
	v_add_co_u32 v7, s3, s3, v1
	v_add_co_ci_u32_e64 v8, null, s29, 0, s3
	s_lshl_b32 s28, s21, 3
	s_lshl_b32 s29, s21, 2
	;; [unrolled: 1-line block ×3, first 2 shown]
	s_branch .LBB131_3
.LBB131_2:                              ;   in Loop: Header=BB131_3 Depth=1
	v_add_nc_u32_e32 v14, s21, v14
	v_add_co_u32 v7, s3, v7, s28
	ds_store_b128 v13, v[1:4]
	v_add_co_ci_u32_e64 v8, s3, 0, v8, s3
	v_cmp_le_i32_e32 vcc_lo, s14, v14
	v_add_nc_u32_e32 v5, s29, v5
	v_add_nc_u32_e32 v13, s30, v13
	s_or_b32 s19, vcc_lo, s19
	s_delay_alu instid0(SALU_CYCLE_1)
	s_and_not1_b32 exec_lo, exec_lo, s19
	s_cbranch_execz .LBB131_11
.LBB131_3:                              ; =>This Inner Loop Header: Depth=1
	global_load_b64 v[3:4], v[7:8], off
	s_waitcnt vmcnt(0)
	v_cvt_f32_f16_e32 v1, v3
	s_delay_alu instid0(VALU_DEP_1) | instskip(NEXT) | instid1(VALU_DEP_1)
	v_mul_f32_e32 v2, 0x3fb8aa3b, v1
	v_cmp_gt_f32_e32 vcc_lo, 0xc2fc0000, v2
	v_cndmask_b32_e64 v9, 0, 0x42800000, vcc_lo
	v_cndmask_b32_e64 v2, 1.0, 0x1f800000, vcc_lo
	s_delay_alu instid0(VALU_DEP_2) | instskip(NEXT) | instid1(VALU_DEP_1)
	v_fma_mix_f32 v9, v3, s31, v9 op_sel_hi:[1,0,0]
	v_exp_f32_e32 v9, v9
	s_waitcnt_depctr 0xfff
	v_fma_f32 v2, v9, v2, 1.0
	s_delay_alu instid0(VALU_DEP_1) | instskip(SKIP_1) | instid1(VALU_DEP_1)
	v_cmp_gt_f32_e32 vcc_lo, 0x800000, v2
	v_cndmask_b32_e64 v9, 1.0, 0x4f800000, vcc_lo
	v_mul_f32_e32 v2, v2, v9
	v_cndmask_b32_e64 v9, 0, 0x42000000, vcc_lo
	v_cmp_lt_f16_e32 vcc_lo, 0x4d00, v3
	s_delay_alu instid0(VALU_DEP_3) | instskip(SKIP_2) | instid1(VALU_DEP_1)
	v_log_f32_e32 v2, v2
	s_waitcnt_depctr 0xfff
	v_sub_f32_e32 v2, v2, v9
	v_mul_f32_e32 v2, 0x3f317218, v2
	s_delay_alu instid0(VALU_DEP_1) | instskip(NEXT) | instid1(VALU_DEP_1)
	v_cndmask_b32_e32 v1, v2, v1, vcc_lo
	v_mul_f32_e32 v2, 0x4f800000, v1
	v_cmp_gt_f32_e32 vcc_lo, 0xf800000, v1
	s_delay_alu instid0(VALU_DEP_2) | instskip(NEXT) | instid1(VALU_DEP_1)
	v_cndmask_b32_e32 v1, v1, v2, vcc_lo
	v_sqrt_f32_e32 v2, v1
	s_waitcnt_depctr 0xfff
	v_add_nc_u32_e32 v9, -1, v2
	v_add_nc_u32_e32 v10, 1, v2
	s_delay_alu instid0(VALU_DEP_2) | instskip(NEXT) | instid1(VALU_DEP_2)
	v_fma_f32 v15, -v9, v2, v1
	v_fma_f32 v16, -v10, v2, v1
	s_delay_alu instid0(VALU_DEP_2) | instskip(NEXT) | instid1(VALU_DEP_1)
	v_cmp_ge_f32_e64 s3, 0, v15
	v_cndmask_b32_e64 v2, v2, v9, s3
	s_delay_alu instid0(VALU_DEP_3) | instskip(NEXT) | instid1(VALU_DEP_1)
	v_cmp_lt_f32_e64 s3, 0, v16
	v_cndmask_b32_e64 v2, v2, v10, s3
	s_delay_alu instid0(VALU_DEP_1) | instskip(NEXT) | instid1(VALU_DEP_1)
	v_mul_f32_e32 v9, 0x37800000, v2
	v_cndmask_b32_e32 v2, v2, v9, vcc_lo
	v_cmp_class_f32_e64 vcc_lo, v1, 0x260
	v_lshlrev_b64 v[9:10], 2, v[5:6]
	s_delay_alu instid0(VALU_DEP_3)
	v_cndmask_b32_e32 v1, v2, v1, vcc_lo
	s_and_not1_b32 vcc_lo, exec_lo, s20
	s_cbranch_vccnz .LBB131_5
; %bb.4:                                ;   in Loop: Header=BB131_3 Depth=1
	s_delay_alu instid0(VALU_DEP_2) | instskip(NEXT) | instid1(VALU_DEP_3)
	v_add_co_u32 v15, vcc_lo, s6, v9
	v_add_co_ci_u32_e32 v16, vcc_lo, s7, v10, vcc_lo
	global_load_b32 v2, v[15:16], off
	s_waitcnt vmcnt(0)
	v_add_f32_e32 v1, v1, v2
.LBB131_5:                              ;   in Loop: Header=BB131_3 Depth=1
	v_lshrrev_b32_e32 v2, 16, v3
	s_delay_alu instid0(VALU_DEP_1) | instskip(NEXT) | instid1(VALU_DEP_1)
	v_cvt_f32_f16_e32 v15, v2
	v_mul_f32_e32 v16, 0x3fb8aa3b, v15
	s_delay_alu instid0(VALU_DEP_1) | instskip(SKIP_2) | instid1(VALU_DEP_2)
	v_cmp_gt_f32_e32 vcc_lo, 0xc2fc0000, v16
	v_cndmask_b32_e64 v17, 0, 0x42800000, vcc_lo
	v_cndmask_b32_e64 v16, 1.0, 0x1f800000, vcc_lo
	v_fma_mix_f32 v3, v3, s31, v17 op_sel:[1,0,0] op_sel_hi:[1,0,0]
	s_delay_alu instid0(VALU_DEP_1) | instskip(SKIP_2) | instid1(VALU_DEP_1)
	v_exp_f32_e32 v3, v3
	s_waitcnt_depctr 0xfff
	v_fma_f32 v3, v3, v16, 1.0
	v_cmp_gt_f32_e32 vcc_lo, 0x800000, v3
	v_cndmask_b32_e64 v16, 1.0, 0x4f800000, vcc_lo
	s_delay_alu instid0(VALU_DEP_1) | instskip(SKIP_2) | instid1(VALU_DEP_3)
	v_mul_f32_e32 v3, v3, v16
	v_cndmask_b32_e64 v16, 0, 0x42000000, vcc_lo
	v_cmp_lt_f16_e32 vcc_lo, 0x4d00, v2
	v_log_f32_e32 v3, v3
	s_waitcnt_depctr 0xfff
	v_sub_f32_e32 v3, v3, v16
	s_delay_alu instid0(VALU_DEP_1) | instskip(NEXT) | instid1(VALU_DEP_1)
	v_mul_f32_e32 v3, 0x3f317218, v3
	v_cndmask_b32_e32 v2, v3, v15, vcc_lo
	s_delay_alu instid0(VALU_DEP_1) | instskip(SKIP_1) | instid1(VALU_DEP_2)
	v_mul_f32_e32 v3, 0x4f800000, v2
	v_cmp_gt_f32_e32 vcc_lo, 0xf800000, v2
	v_cndmask_b32_e32 v2, v2, v3, vcc_lo
	s_delay_alu instid0(VALU_DEP_1) | instskip(SKIP_3) | instid1(VALU_DEP_2)
	v_sqrt_f32_e32 v3, v2
	s_waitcnt_depctr 0xfff
	v_add_nc_u32_e32 v15, -1, v3
	v_add_nc_u32_e32 v16, 1, v3
	v_fma_f32 v17, -v15, v3, v2
	s_delay_alu instid0(VALU_DEP_2) | instskip(NEXT) | instid1(VALU_DEP_2)
	v_fma_f32 v18, -v16, v3, v2
	v_cmp_ge_f32_e64 s3, 0, v17
	s_delay_alu instid0(VALU_DEP_1) | instskip(NEXT) | instid1(VALU_DEP_3)
	v_cndmask_b32_e64 v3, v3, v15, s3
	v_cmp_lt_f32_e64 s3, 0, v18
	s_delay_alu instid0(VALU_DEP_1) | instskip(NEXT) | instid1(VALU_DEP_1)
	v_cndmask_b32_e64 v3, v3, v16, s3
	v_mul_f32_e32 v15, 0x37800000, v3
	s_delay_alu instid0(VALU_DEP_1) | instskip(SKIP_1) | instid1(VALU_DEP_2)
	v_cndmask_b32_e32 v3, v3, v15, vcc_lo
	v_cmp_class_f32_e64 vcc_lo, v2, 0x260
	v_cndmask_b32_e32 v2, v3, v2, vcc_lo
	s_and_not1_b32 vcc_lo, exec_lo, s20
	s_cbranch_vccnz .LBB131_7
; %bb.6:                                ;   in Loop: Header=BB131_3 Depth=1
	v_add_co_u32 v15, vcc_lo, s22, v9
	v_add_co_ci_u32_e32 v16, vcc_lo, s23, v10, vcc_lo
	global_load_b32 v3, v[15:16], off
	s_waitcnt vmcnt(0)
	v_add_f32_e32 v2, v2, v3
.LBB131_7:                              ;   in Loop: Header=BB131_3 Depth=1
	v_cvt_f32_f16_e32 v3, v4
	s_delay_alu instid0(VALU_DEP_1) | instskip(NEXT) | instid1(VALU_DEP_1)
	v_mul_f32_e32 v15, 0x3fb8aa3b, v3
	v_cmp_gt_f32_e32 vcc_lo, 0xc2fc0000, v15
	v_cndmask_b32_e64 v16, 0, 0x42800000, vcc_lo
	v_cndmask_b32_e64 v15, 1.0, 0x1f800000, vcc_lo
	s_delay_alu instid0(VALU_DEP_2) | instskip(NEXT) | instid1(VALU_DEP_1)
	v_fma_mix_f32 v16, v4, s31, v16 op_sel_hi:[1,0,0]
	v_exp_f32_e32 v16, v16
	s_waitcnt_depctr 0xfff
	v_fma_f32 v15, v16, v15, 1.0
	s_delay_alu instid0(VALU_DEP_1) | instskip(SKIP_1) | instid1(VALU_DEP_1)
	v_cmp_gt_f32_e32 vcc_lo, 0x800000, v15
	v_cndmask_b32_e64 v16, 1.0, 0x4f800000, vcc_lo
	v_mul_f32_e32 v15, v15, v16
	v_cndmask_b32_e64 v16, 0, 0x42000000, vcc_lo
	v_cmp_lt_f16_e32 vcc_lo, 0x4d00, v4
	s_delay_alu instid0(VALU_DEP_3) | instskip(SKIP_2) | instid1(VALU_DEP_1)
	v_log_f32_e32 v15, v15
	s_waitcnt_depctr 0xfff
	v_sub_f32_e32 v15, v15, v16
	v_mul_f32_e32 v15, 0x3f317218, v15
	s_delay_alu instid0(VALU_DEP_1) | instskip(NEXT) | instid1(VALU_DEP_1)
	v_cndmask_b32_e32 v3, v15, v3, vcc_lo
	v_mul_f32_e32 v15, 0x4f800000, v3
	v_cmp_gt_f32_e32 vcc_lo, 0xf800000, v3
	s_delay_alu instid0(VALU_DEP_2) | instskip(NEXT) | instid1(VALU_DEP_1)
	v_cndmask_b32_e32 v3, v3, v15, vcc_lo
	v_sqrt_f32_e32 v15, v3
	s_waitcnt_depctr 0xfff
	v_add_nc_u32_e32 v16, -1, v15
	v_add_nc_u32_e32 v17, 1, v15
	s_delay_alu instid0(VALU_DEP_2) | instskip(NEXT) | instid1(VALU_DEP_2)
	v_fma_f32 v18, -v16, v15, v3
	v_fma_f32 v19, -v17, v15, v3
	s_delay_alu instid0(VALU_DEP_2) | instskip(NEXT) | instid1(VALU_DEP_1)
	v_cmp_ge_f32_e64 s3, 0, v18
	v_cndmask_b32_e64 v15, v15, v16, s3
	s_delay_alu instid0(VALU_DEP_3) | instskip(NEXT) | instid1(VALU_DEP_1)
	v_cmp_lt_f32_e64 s3, 0, v19
	v_cndmask_b32_e64 v15, v15, v17, s3
	s_delay_alu instid0(VALU_DEP_1) | instskip(NEXT) | instid1(VALU_DEP_1)
	v_mul_f32_e32 v16, 0x37800000, v15
	v_cndmask_b32_e32 v15, v15, v16, vcc_lo
	v_cmp_class_f32_e64 vcc_lo, v3, 0x260
	s_delay_alu instid0(VALU_DEP_2)
	v_cndmask_b32_e32 v3, v15, v3, vcc_lo
	s_and_not1_b32 vcc_lo, exec_lo, s20
	s_cbranch_vccnz .LBB131_9
; %bb.8:                                ;   in Loop: Header=BB131_3 Depth=1
	v_add_co_u32 v15, vcc_lo, s24, v9
	v_add_co_ci_u32_e32 v16, vcc_lo, s25, v10, vcc_lo
	global_load_b32 v15, v[15:16], off
	s_waitcnt vmcnt(0)
	v_add_f32_e32 v3, v3, v15
.LBB131_9:                              ;   in Loop: Header=BB131_3 Depth=1
	v_lshrrev_b32_e32 v15, 16, v4
	s_delay_alu instid0(VALU_DEP_1) | instskip(NEXT) | instid1(VALU_DEP_1)
	v_cvt_f32_f16_e32 v16, v15
	v_mul_f32_e32 v17, 0x3fb8aa3b, v16
	s_delay_alu instid0(VALU_DEP_1) | instskip(SKIP_2) | instid1(VALU_DEP_2)
	v_cmp_gt_f32_e32 vcc_lo, 0xc2fc0000, v17
	v_cndmask_b32_e64 v18, 0, 0x42800000, vcc_lo
	v_cndmask_b32_e64 v17, 1.0, 0x1f800000, vcc_lo
	v_fma_mix_f32 v4, v4, s31, v18 op_sel:[1,0,0] op_sel_hi:[1,0,0]
	s_delay_alu instid0(VALU_DEP_1) | instskip(SKIP_2) | instid1(VALU_DEP_1)
	v_exp_f32_e32 v4, v4
	s_waitcnt_depctr 0xfff
	v_fma_f32 v4, v4, v17, 1.0
	v_cmp_gt_f32_e32 vcc_lo, 0x800000, v4
	v_cndmask_b32_e64 v17, 1.0, 0x4f800000, vcc_lo
	s_delay_alu instid0(VALU_DEP_1) | instskip(SKIP_2) | instid1(VALU_DEP_3)
	v_mul_f32_e32 v4, v4, v17
	v_cndmask_b32_e64 v17, 0, 0x42000000, vcc_lo
	v_cmp_lt_f16_e32 vcc_lo, 0x4d00, v15
	v_log_f32_e32 v4, v4
	s_waitcnt_depctr 0xfff
	v_sub_f32_e32 v4, v4, v17
	s_delay_alu instid0(VALU_DEP_1) | instskip(NEXT) | instid1(VALU_DEP_1)
	v_mul_f32_e32 v4, 0x3f317218, v4
	v_cndmask_b32_e32 v4, v4, v16, vcc_lo
	s_delay_alu instid0(VALU_DEP_1) | instskip(SKIP_1) | instid1(VALU_DEP_2)
	v_mul_f32_e32 v15, 0x4f800000, v4
	v_cmp_gt_f32_e32 vcc_lo, 0xf800000, v4
	v_cndmask_b32_e32 v4, v4, v15, vcc_lo
	s_delay_alu instid0(VALU_DEP_1) | instskip(SKIP_3) | instid1(VALU_DEP_2)
	v_sqrt_f32_e32 v15, v4
	s_waitcnt_depctr 0xfff
	v_add_nc_u32_e32 v16, -1, v15
	v_add_nc_u32_e32 v17, 1, v15
	v_fma_f32 v18, -v16, v15, v4
	s_delay_alu instid0(VALU_DEP_2) | instskip(NEXT) | instid1(VALU_DEP_2)
	v_fma_f32 v19, -v17, v15, v4
	v_cmp_ge_f32_e64 s3, 0, v18
	s_delay_alu instid0(VALU_DEP_1) | instskip(NEXT) | instid1(VALU_DEP_3)
	v_cndmask_b32_e64 v15, v15, v16, s3
	v_cmp_lt_f32_e64 s3, 0, v19
	s_delay_alu instid0(VALU_DEP_1) | instskip(NEXT) | instid1(VALU_DEP_1)
	v_cndmask_b32_e64 v15, v15, v17, s3
	v_mul_f32_e32 v16, 0x37800000, v15
	s_delay_alu instid0(VALU_DEP_1) | instskip(SKIP_1) | instid1(VALU_DEP_2)
	v_cndmask_b32_e32 v15, v15, v16, vcc_lo
	v_cmp_class_f32_e64 vcc_lo, v4, 0x260
	v_cndmask_b32_e32 v4, v15, v4, vcc_lo
	s_and_not1_b32 vcc_lo, exec_lo, s20
	s_cbranch_vccnz .LBB131_2
; %bb.10:                               ;   in Loop: Header=BB131_3 Depth=1
	v_add_co_u32 v9, vcc_lo, s26, v9
	v_add_co_ci_u32_e32 v10, vcc_lo, s27, v10, vcc_lo
	global_load_b32 v9, v[9:10], off
	s_waitcnt vmcnt(0)
	v_add_f32_e32 v4, v4, v9
	s_branch .LBB131_2
.LBB131_11:
	s_or_b32 exec_lo, exec_lo, s18
	v_lshl_add_u32 v1, s14, 2, v0
	s_mov_b32 s18, exec_lo
	s_delay_alu instid0(VALU_DEP_1)
	v_cmpx_gt_i32_e64 s12, v1
	s_cbranch_execz .LBB131_16
; %bb.12:
	s_load_b32 s3, s[0:1], 0x44
	s_lshl_b64 s[16:17], s[16:17], 1
	v_lshlrev_b32_e32 v2, 2, v0
	s_add_u32 s4, s4, s16
	s_addc_u32 s5, s5, s17
	s_cmp_lg_u64 s[6:7], 0
	s_mov_b32 s19, 0
	s_cselect_b32 s16, -1, 0
	s_lshl_b32 s17, s14, 4
	s_mov_b32 s21, 0x3fb8aa3b
	v_add3_u32 v3, 0, s17, v2
	s_waitcnt lgkmcnt(0)
	s_and_b32 s17, s3, 0xffff
	s_delay_alu instid0(SALU_CYCLE_1)
	s_lshl_b32 s20, s17, 2
	s_branch .LBB131_14
.LBB131_13:                             ;   in Loop: Header=BB131_14 Depth=1
	v_add_nc_u32_e32 v1, s17, v1
	v_add_nc_u32_e32 v3, s20, v3
	s_delay_alu instid0(VALU_DEP_2) | instskip(SKIP_1) | instid1(SALU_CYCLE_1)
	v_cmp_le_i32_e32 vcc_lo, s12, v1
	s_or_b32 s19, vcc_lo, s19
	s_and_not1_b32 exec_lo, exec_lo, s19
	s_cbranch_execz .LBB131_16
.LBB131_14:                             ; =>This Inner Loop Header: Depth=1
	v_ashrrev_i32_e32 v2, 31, v1
	s_delay_alu instid0(VALU_DEP_1) | instskip(NEXT) | instid1(VALU_DEP_1)
	v_lshlrev_b64 v[4:5], 1, v[1:2]
	v_add_co_u32 v4, vcc_lo, s4, v4
	s_delay_alu instid0(VALU_DEP_2) | instskip(SKIP_3) | instid1(VALU_DEP_1)
	v_add_co_ci_u32_e32 v5, vcc_lo, s5, v5, vcc_lo
	global_load_u16 v4, v[4:5], off
	s_waitcnt vmcnt(0)
	v_cvt_f32_f16_e32 v5, v4
	v_mul_f32_e32 v6, 0x3fb8aa3b, v5
	s_delay_alu instid0(VALU_DEP_1) | instskip(SKIP_2) | instid1(VALU_DEP_2)
	v_cmp_gt_f32_e32 vcc_lo, 0xc2fc0000, v6
	v_cndmask_b32_e64 v6, 0, 0x42800000, vcc_lo
	v_cndmask_b32_e64 v7, 1.0, 0x1f800000, vcc_lo
	v_fma_mix_f32 v6, v4, s21, v6 op_sel_hi:[1,0,0]
	s_delay_alu instid0(VALU_DEP_1) | instskip(SKIP_2) | instid1(VALU_DEP_1)
	v_exp_f32_e32 v6, v6
	s_waitcnt_depctr 0xfff
	v_fma_f32 v6, v6, v7, 1.0
	v_cmp_gt_f32_e32 vcc_lo, 0x800000, v6
	v_cndmask_b32_e64 v7, 1.0, 0x4f800000, vcc_lo
	s_delay_alu instid0(VALU_DEP_1) | instskip(SKIP_2) | instid1(VALU_DEP_3)
	v_mul_f32_e32 v6, v6, v7
	v_cndmask_b32_e64 v7, 0, 0x42000000, vcc_lo
	v_cmp_lt_f16_e32 vcc_lo, 0x4d00, v4
	v_log_f32_e32 v6, v6
	s_waitcnt_depctr 0xfff
	v_sub_f32_e32 v6, v6, v7
	s_delay_alu instid0(VALU_DEP_1) | instskip(NEXT) | instid1(VALU_DEP_1)
	v_mul_f32_e32 v6, 0x3f317218, v6
	v_cndmask_b32_e32 v4, v6, v5, vcc_lo
	s_delay_alu instid0(VALU_DEP_1) | instskip(SKIP_1) | instid1(VALU_DEP_2)
	v_mul_f32_e32 v5, 0x4f800000, v4
	v_cmp_gt_f32_e32 vcc_lo, 0xf800000, v4
	v_cndmask_b32_e32 v4, v4, v5, vcc_lo
	s_delay_alu instid0(VALU_DEP_1) | instskip(SKIP_3) | instid1(VALU_DEP_2)
	v_sqrt_f32_e32 v5, v4
	s_waitcnt_depctr 0xfff
	v_add_nc_u32_e32 v6, -1, v5
	v_add_nc_u32_e32 v7, 1, v5
	v_fma_f32 v8, -v6, v5, v4
	s_delay_alu instid0(VALU_DEP_2) | instskip(NEXT) | instid1(VALU_DEP_2)
	v_fma_f32 v9, -v7, v5, v4
	v_cmp_ge_f32_e64 s3, 0, v8
	s_delay_alu instid0(VALU_DEP_1) | instskip(NEXT) | instid1(VALU_DEP_3)
	v_cndmask_b32_e64 v5, v5, v6, s3
	v_cmp_lt_f32_e64 s3, 0, v9
	s_delay_alu instid0(VALU_DEP_1) | instskip(NEXT) | instid1(VALU_DEP_1)
	v_cndmask_b32_e64 v5, v5, v7, s3
	v_mul_f32_e32 v6, 0x37800000, v5
	s_delay_alu instid0(VALU_DEP_1) | instskip(SKIP_1) | instid1(VALU_DEP_2)
	v_cndmask_b32_e32 v5, v5, v6, vcc_lo
	v_cmp_class_f32_e64 vcc_lo, v4, 0x260
	v_cndmask_b32_e32 v4, v5, v4, vcc_lo
	s_and_not1_b32 vcc_lo, exec_lo, s16
	ds_store_b32 v3, v4
	s_cbranch_vccnz .LBB131_13
; %bb.15:                               ;   in Loop: Header=BB131_14 Depth=1
	v_lshlrev_b64 v[5:6], 2, v[1:2]
	s_delay_alu instid0(VALU_DEP_1) | instskip(NEXT) | instid1(VALU_DEP_2)
	v_add_co_u32 v5, vcc_lo, s6, v5
	v_add_co_ci_u32_e32 v6, vcc_lo, s7, v6, vcc_lo
	global_load_b32 v2, v[5:6], off
	s_waitcnt vmcnt(0)
	v_add_f32_e32 v2, v4, v2
	ds_store_b32 v3, v2
	s_branch .LBB131_13
.LBB131_16:
	s_or_b32 exec_lo, exec_lo, s18
	v_mov_b32_e32 v2, 0
	s_cmp_lt_i32 s13, 1
	s_waitcnt lgkmcnt(0)
	s_barrier
	buffer_gl0_inv
	s_cbranch_scc1 .LBB131_25
; %bb.17:
	s_add_u32 s4, s0, 56
	s_addc_u32 s5, s1, 0
	v_dual_mov_b32 v2, 0 :: v_dual_mov_b32 v1, 0
	v_dual_mov_b32 v4, 0xff800000 :: v_dual_mov_b32 v3, 0
	s_cmp_lg_u64 s[6:7], 0
	s_mov_b32 s18, 0
	s_cselect_b32 s12, -1, 0
	s_mov_b32 s19, 0x76543210
	s_branch .LBB131_19
.LBB131_18:                             ;   in Loop: Header=BB131_19 Depth=1
	v_cmp_eq_u32_e32 vcc_lo, s18, v0
	s_delay_alu instid0(VALU_DEP_2) | instskip(NEXT) | instid1(VALU_DEP_2)
	s_lshl_b32 s3, s16, 2
	v_add_f32_e32 v3, v3, v7
	s_add_i32 s3, s3, 0
	s_add_i32 s18, s18, 1
	v_cndmask_b32_e64 v1, v1, s16, vcc_lo
	v_dual_mov_b32 v5, s3 :: v_dual_cndmask_b32 v2, v2, v7
	s_cmp_eq_u32 s18, s13
	ds_store_b32 v5, v4
	s_cbranch_scc1 .LBB131_26
.LBB131_19:                             ; =>This Loop Header: Depth=1
                                        ;     Child Loop BB131_21 Depth 2
	v_dual_mov_b32 v5, s18 :: v_dual_mov_b32 v6, 0xff800000
	s_and_saveexec_b32 s16, s2
	s_cbranch_execz .LBB131_23
; %bb.20:                               ;   in Loop: Header=BB131_19 Depth=1
	s_load_b32 s3, s[4:5], 0xc
	v_dual_mov_b32 v5, s18 :: v_dual_mov_b32 v6, 0xff800000
	v_dual_mov_b32 v7, v12 :: v_dual_mov_b32 v8, v11
	v_mov_b32_e32 v9, v0
	s_mov_b32 s21, 0
	s_waitcnt lgkmcnt(0)
	s_and_b32 s17, s3, 0xffff
	s_delay_alu instid0(SALU_CYCLE_1)
	s_lshl_b32 s20, s17, 2
	s_lshl_b32 s22, s17, 4
	.p2align	6
.LBB131_21:                             ;   Parent Loop BB131_19 Depth=1
                                        ; =>  This Inner Loop Header: Depth=2
	ds_load_b128 v[13:16], v7
	v_add_nc_u32_e32 v7, s22, v7
	s_waitcnt lgkmcnt(0)
	v_cmp_gt_f32_e32 vcc_lo, v13, v6
	v_dual_cndmask_b32 v6, v6, v13 :: v_dual_cndmask_b32 v5, v5, v8
	v_add_nc_u32_e32 v13, 2, v8
	v_add_nc_u32_e32 v10, 1, v8
	s_delay_alu instid0(VALU_DEP_3) | instskip(SKIP_1) | instid1(VALU_DEP_3)
	v_cmp_gt_f32_e32 vcc_lo, v14, v6
	v_cndmask_b32_e32 v6, v6, v14, vcc_lo
	v_dual_cndmask_b32 v5, v5, v10 :: v_dual_add_nc_u32 v10, 3, v8
	s_delay_alu instid0(VALU_DEP_2) | instskip(NEXT) | instid1(VALU_DEP_2)
	v_cmp_gt_f32_e32 vcc_lo, v15, v6
	v_dual_cndmask_b32 v6, v6, v15 :: v_dual_cndmask_b32 v5, v5, v13
	s_delay_alu instid0(VALU_DEP_1) | instskip(SKIP_1) | instid1(VALU_DEP_3)
	v_cmp_gt_f32_e32 vcc_lo, v16, v6
	v_add_nc_u32_e32 v9, s17, v9
	v_dual_cndmask_b32 v5, v5, v10 :: v_dual_add_nc_u32 v8, s20, v8
	v_cndmask_b32_e32 v6, v6, v16, vcc_lo
	s_delay_alu instid0(VALU_DEP_3) | instskip(NEXT) | instid1(VALU_DEP_1)
	v_cmp_le_i32_e64 s3, s14, v9
	s_or_b32 s21, s3, s21
	s_delay_alu instid0(SALU_CYCLE_1)
	s_and_not1_b32 exec_lo, exec_lo, s21
	s_cbranch_execnz .LBB131_21
; %bb.22:                               ;   in Loop: Header=BB131_19 Depth=1
	s_or_b32 exec_lo, exec_lo, s21
.LBB131_23:                             ;   in Loop: Header=BB131_19 Depth=1
	s_delay_alu instid0(SALU_CYCLE_1)
	s_or_b32 exec_lo, exec_lo, s16
	;;#ASMSTART
	v_max_f32 v7, v6, v6 quad_perm:[1,0,3,2] row_mask:0xf bank_mask:0xf bound_ctrl:1
	;;#ASMEND
	;;#ASMSTART
	v_max_f32 v8, v7, v7 quad_perm:[2,3,0,1] row_mask:0xf bank_mask:0xf bound_ctrl:1
	;;#ASMEND
	;;#ASMSTART
	v_max_f32 v7, v8, v8 row_half_mirror row_mask:0xf bank_mask:0xf bound_ctrl:1
	;;#ASMEND
	;;#ASMSTART
	v_max_f32 v8, v7, v7 row_mirror row_mask:0xf bank_mask:0xf bound_ctrl:1
	;;#ASMEND
	v_permlanex16_b32 v7, v8, s19, 0xfedcba98 op_sel:[1,1]
	s_delay_alu instid0(VALU_DEP_1) | instskip(NEXT) | instid1(VALU_DEP_1)
	v_dual_max_f32 v8, v8, v8 :: v_dual_max_f32 v7, v7, v7
	v_max_f32_e32 v7, v8, v7
	s_delay_alu instid0(VALU_DEP_1)
	v_cmp_eq_f32_e32 vcc_lo, v6, v7
	s_ctz_i32_b32 s3, vcc_lo
	s_cmp_lg_u32 vcc_lo, 0
	s_cselect_b32 s3, s3, 0
	s_and_b32 vcc_lo, exec_lo, s12
	v_readlane_b32 s16, v5, s3
	s_cbranch_vccz .LBB131_18
; %bb.24:                               ;   in Loop: Header=BB131_19 Depth=1
	s_delay_alu instid0(VALU_DEP_1) | instskip(NEXT) | instid1(SALU_CYCLE_1)
	s_ashr_i32 s17, s16, 31
	s_lshl_b64 s[20:21], s[16:17], 2
	s_delay_alu instid0(SALU_CYCLE_1)
	s_add_u32 s20, s6, s20
	s_addc_u32 s21, s7, s21
	s_load_b32 s3, s[20:21], 0x0
	s_waitcnt lgkmcnt(0)
	v_subrev_f32_e32 v7, s3, v7
	s_branch .LBB131_18
.LBB131_25:
	v_mov_b32_e32 v1, 0
	v_mov_b32_e32 v3, 0
.LBB131_26:
	s_mov_b32 s2, exec_lo
	v_cmpx_gt_i32_e64 s13, v0
	s_cbranch_execz .LBB131_29
; %bb.27:
	s_clause 0x1
	s_load_b32 s2, s[0:1], 0x34
	s_load_b32 s3, s[0:1], 0x44
	v_max_f32_e32 v3, v3, v3
	s_load_b64 s[0:1], s[0:1], 0x20
	s_ashr_i32 s4, s15, 31
	s_delay_alu instid0(VALU_DEP_1) | instskip(SKIP_1) | instid1(VALU_DEP_1)
	v_max_f32_e32 v3, 0x1e3ce508, v3
	s_waitcnt lgkmcnt(0)
	v_div_scale_f32 v4, null, v3, v3, s2
	v_div_scale_f32 v7, vcc_lo, s2, v3, s2
	s_mul_i32 s1, s15, s1
	s_delay_alu instid0(VALU_DEP_2) | instskip(SKIP_4) | instid1(VALU_DEP_1)
	v_rcp_f32_e32 v5, v4
	s_mul_i32 s4, s4, s0
	s_and_b32 s3, s3, 0xffff
	s_waitcnt_depctr 0xfff
	v_fma_f32 v6, -v4, v5, 1.0
	v_fmac_f32_e32 v5, v6, v5
	s_delay_alu instid0(VALU_DEP_1) | instskip(NEXT) | instid1(VALU_DEP_1)
	v_mul_f32_e32 v6, v7, v5
	v_fma_f32 v8, -v4, v6, v7
	s_delay_alu instid0(VALU_DEP_1) | instskip(NEXT) | instid1(VALU_DEP_1)
	v_fmac_f32_e32 v6, v8, v5
	v_fma_f32 v4, -v4, v6, v7
	s_delay_alu instid0(VALU_DEP_1) | instskip(NEXT) | instid1(VALU_DEP_1)
	v_div_fmas_f32 v4, v4, v5, v6
	v_div_fixup_f32 v3, v4, v3, s2
	s_mul_hi_u32 s2, s15, s0
	s_delay_alu instid0(SALU_CYCLE_1) | instskip(SKIP_1) | instid1(VALU_DEP_1)
	s_add_i32 s1, s2, s1
	s_mul_i32 s2, s15, s0
	v_mul_f32_e32 v2, v2, v3
	s_add_i32 s1, s1, s4
	s_mov_b32 s4, 0
	.p2align	6
.LBB131_28:                             ; =>This Inner Loop Header: Depth=1
	v_ashrrev_i32_e32 v4, 31, v0
	v_add_co_u32 v3, vcc_lo, s2, v0
	v_add_nc_u32_e32 v0, s3, v0
	s_delay_alu instid0(VALU_DEP_3) | instskip(NEXT) | instid1(VALU_DEP_2)
	v_add_co_ci_u32_e32 v4, vcc_lo, s1, v4, vcc_lo
	v_cmp_le_i32_e32 vcc_lo, s13, v0
	s_delay_alu instid0(VALU_DEP_2) | instskip(SKIP_1) | instid1(VALU_DEP_1)
	v_lshlrev_b64 v[3:4], 2, v[3:4]
	s_or_b32 s4, vcc_lo, s4
	v_add_co_u32 v5, s0, s8, v3
	s_delay_alu instid0(VALU_DEP_1) | instskip(SKIP_1) | instid1(VALU_DEP_1)
	v_add_co_ci_u32_e64 v6, s0, s9, v4, s0
	v_add_co_u32 v3, s0, s10, v3
	v_add_co_ci_u32_e64 v4, s0, s11, v4, s0
	global_store_b32 v[5:6], v2, off
	global_store_b32 v[3:4], v1, off
	s_and_not1_b32 exec_lo, exec_lo, s4
	s_cbranch_execnz .LBB131_28
.LBB131_29:
	s_nop 0
	s_sendmsg sendmsg(MSG_DEALLOC_VGPRS)
	s_endpgm
	.section	.rodata,"a",@progbits
	.p2align	6, 0x0
	.amdhsa_kernel _ZN5aiter20topk_softplus_kernelI6__halffDv4_fLb1ELi0EEEvPKT_PKT0_PfPimiiif
		.amdhsa_group_segment_fixed_size 0
		.amdhsa_private_segment_fixed_size 0
		.amdhsa_kernarg_size 312
		.amdhsa_user_sgpr_count 15
		.amdhsa_user_sgpr_dispatch_ptr 0
		.amdhsa_user_sgpr_queue_ptr 0
		.amdhsa_user_sgpr_kernarg_segment_ptr 1
		.amdhsa_user_sgpr_dispatch_id 0
		.amdhsa_user_sgpr_private_segment_size 0
		.amdhsa_wavefront_size32 1
		.amdhsa_uses_dynamic_stack 0
		.amdhsa_enable_private_segment 0
		.amdhsa_system_sgpr_workgroup_id_x 1
		.amdhsa_system_sgpr_workgroup_id_y 0
		.amdhsa_system_sgpr_workgroup_id_z 0
		.amdhsa_system_sgpr_workgroup_info 0
		.amdhsa_system_vgpr_workitem_id 0
		.amdhsa_next_free_vgpr 20
		.amdhsa_next_free_sgpr 32
		.amdhsa_reserve_vcc 1
		.amdhsa_float_round_mode_32 0
		.amdhsa_float_round_mode_16_64 0
		.amdhsa_float_denorm_mode_32 3
		.amdhsa_float_denorm_mode_16_64 3
		.amdhsa_dx10_clamp 1
		.amdhsa_ieee_mode 1
		.amdhsa_fp16_overflow 0
		.amdhsa_workgroup_processor_mode 1
		.amdhsa_memory_ordered 1
		.amdhsa_forward_progress 0
		.amdhsa_shared_vgpr_count 0
		.amdhsa_exception_fp_ieee_invalid_op 0
		.amdhsa_exception_fp_denorm_src 0
		.amdhsa_exception_fp_ieee_div_zero 0
		.amdhsa_exception_fp_ieee_overflow 0
		.amdhsa_exception_fp_ieee_underflow 0
		.amdhsa_exception_fp_ieee_inexact 0
		.amdhsa_exception_int_div_zero 0
	.end_amdhsa_kernel
	.section	.text._ZN5aiter20topk_softplus_kernelI6__halffDv4_fLb1ELi0EEEvPKT_PKT0_PfPimiiif,"axG",@progbits,_ZN5aiter20topk_softplus_kernelI6__halffDv4_fLb1ELi0EEEvPKT_PKT0_PfPimiiif,comdat
.Lfunc_end131:
	.size	_ZN5aiter20topk_softplus_kernelI6__halffDv4_fLb1ELi0EEEvPKT_PKT0_PfPimiiif, .Lfunc_end131-_ZN5aiter20topk_softplus_kernelI6__halffDv4_fLb1ELi0EEEvPKT_PKT0_PfPimiiif
                                        ; -- End function
	.section	.AMDGPU.csdata,"",@progbits
; Kernel info:
; codeLenInByte = 3036
; NumSgprs: 34
; NumVgprs: 20
; ScratchSize: 0
; MemoryBound: 0
; FloatMode: 240
; IeeeMode: 1
; LDSByteSize: 0 bytes/workgroup (compile time only)
; SGPRBlocks: 4
; VGPRBlocks: 2
; NumSGPRsForWavesPerEU: 34
; NumVGPRsForWavesPerEU: 20
; Occupancy: 16
; WaveLimiterHint : 0
; COMPUTE_PGM_RSRC2:SCRATCH_EN: 0
; COMPUTE_PGM_RSRC2:USER_SGPR: 15
; COMPUTE_PGM_RSRC2:TRAP_HANDLER: 0
; COMPUTE_PGM_RSRC2:TGID_X_EN: 1
; COMPUTE_PGM_RSRC2:TGID_Y_EN: 0
; COMPUTE_PGM_RSRC2:TGID_Z_EN: 0
; COMPUTE_PGM_RSRC2:TIDIG_COMP_CNT: 0
	.section	.text._ZN5aiter20topk_softplus_kernelI6__halffDv4_fLb0ELi0EEEvPKT_PKT0_PfPimiiif,"axG",@progbits,_ZN5aiter20topk_softplus_kernelI6__halffDv4_fLb0ELi0EEEvPKT_PKT0_PfPimiiif,comdat
	.protected	_ZN5aiter20topk_softplus_kernelI6__halffDv4_fLb0ELi0EEEvPKT_PKT0_PfPimiiif ; -- Begin function _ZN5aiter20topk_softplus_kernelI6__halffDv4_fLb0ELi0EEEvPKT_PKT0_PfPimiiif
	.globl	_ZN5aiter20topk_softplus_kernelI6__halffDv4_fLb0ELi0EEEvPKT_PKT0_PfPimiiif
	.p2align	8
	.type	_ZN5aiter20topk_softplus_kernelI6__halffDv4_fLb0ELi0EEEvPKT_PKT0_PfPimiiif,@function
_ZN5aiter20topk_softplus_kernelI6__halffDv4_fLb0ELi0EEEvPKT_PKT0_PfPimiiif: ; @_ZN5aiter20topk_softplus_kernelI6__halffDv4_fLb0ELi0EEEvPKT_PKT0_PfPimiiif
; %bb.0:
	s_clause 0x1
	s_load_b64 s[12:13], s[0:1], 0x28
	s_load_b256 s[4:11], s[0:1], 0x0
	v_lshlrev_b32_e32 v11, 2, v0
	v_lshl_add_u32 v12, v0, 4, 0
	s_waitcnt lgkmcnt(0)
	s_ashr_i32 s2, s12, 31
	s_mul_i32 s16, s15, s12
	s_lshr_b32 s2, s2, 30
	s_ashr_i32 s17, s16, 31
	s_add_i32 s2, s12, s2
	s_delay_alu instid0(SALU_CYCLE_1) | instskip(NEXT) | instid1(SALU_CYCLE_1)
	s_ashr_i32 s14, s2, 2
	v_cmp_gt_i32_e64 s2, s14, v0
	s_delay_alu instid0(VALU_DEP_1)
	s_and_saveexec_b32 s18, s2
	s_cbranch_execz .LBB132_11
; %bb.1:
	s_load_b32 s3, s[0:1], 0x44
	s_cmp_lg_u64 s[6:7], 0
	v_dual_mov_b32 v6, 0 :: v_dual_lshlrev_b32 v1, 3, v0
	s_cselect_b32 s20, -1, 0
	v_dual_mov_b32 v14, v0 :: v_dual_lshlrev_b32 v5, 2, v0
	v_lshl_add_u32 v13, v0, 4, 0
	s_mov_b32 s19, 0
	s_mov_b32 s31, 0x3fb8aa3b
	s_waitcnt lgkmcnt(0)
	s_and_b32 s21, s3, 0xffff
	s_add_u32 s22, s6, 4
	s_addc_u32 s23, s7, 0
	s_add_u32 s24, s6, 8
	s_addc_u32 s25, s7, 0
	;; [unrolled: 2-line block ×3, first 2 shown]
	s_lshl_b64 s[28:29], s[16:17], 1
	s_delay_alu instid0(SALU_CYCLE_1) | instskip(SKIP_2) | instid1(VALU_DEP_1)
	s_add_u32 s3, s4, s28
	s_addc_u32 s29, s5, s29
	v_add_co_u32 v7, s3, s3, v1
	v_add_co_ci_u32_e64 v8, null, s29, 0, s3
	s_lshl_b32 s28, s21, 3
	s_lshl_b32 s29, s21, 2
	;; [unrolled: 1-line block ×3, first 2 shown]
	s_branch .LBB132_3
.LBB132_2:                              ;   in Loop: Header=BB132_3 Depth=1
	v_add_nc_u32_e32 v14, s21, v14
	v_add_co_u32 v7, s3, v7, s28
	ds_store_b128 v13, v[1:4]
	v_add_co_ci_u32_e64 v8, s3, 0, v8, s3
	v_cmp_le_i32_e32 vcc_lo, s14, v14
	v_add_nc_u32_e32 v5, s29, v5
	v_add_nc_u32_e32 v13, s30, v13
	s_or_b32 s19, vcc_lo, s19
	s_delay_alu instid0(SALU_CYCLE_1)
	s_and_not1_b32 exec_lo, exec_lo, s19
	s_cbranch_execz .LBB132_11
.LBB132_3:                              ; =>This Inner Loop Header: Depth=1
	global_load_b64 v[3:4], v[7:8], off
	s_waitcnt vmcnt(0)
	v_cvt_f32_f16_e32 v1, v3
	s_delay_alu instid0(VALU_DEP_1) | instskip(NEXT) | instid1(VALU_DEP_1)
	v_mul_f32_e32 v2, 0x3fb8aa3b, v1
	v_cmp_gt_f32_e32 vcc_lo, 0xc2fc0000, v2
	v_cndmask_b32_e64 v9, 0, 0x42800000, vcc_lo
	v_cndmask_b32_e64 v2, 1.0, 0x1f800000, vcc_lo
	s_delay_alu instid0(VALU_DEP_2) | instskip(NEXT) | instid1(VALU_DEP_1)
	v_fma_mix_f32 v9, v3, s31, v9 op_sel_hi:[1,0,0]
	v_exp_f32_e32 v9, v9
	s_waitcnt_depctr 0xfff
	v_fma_f32 v2, v9, v2, 1.0
	s_delay_alu instid0(VALU_DEP_1) | instskip(SKIP_1) | instid1(VALU_DEP_1)
	v_cmp_gt_f32_e32 vcc_lo, 0x800000, v2
	v_cndmask_b32_e64 v9, 1.0, 0x4f800000, vcc_lo
	v_mul_f32_e32 v2, v2, v9
	v_cndmask_b32_e64 v9, 0, 0x42000000, vcc_lo
	v_cmp_lt_f16_e32 vcc_lo, 0x4d00, v3
	s_delay_alu instid0(VALU_DEP_3) | instskip(SKIP_2) | instid1(VALU_DEP_1)
	v_log_f32_e32 v2, v2
	s_waitcnt_depctr 0xfff
	v_sub_f32_e32 v2, v2, v9
	v_mul_f32_e32 v2, 0x3f317218, v2
	s_delay_alu instid0(VALU_DEP_1) | instskip(NEXT) | instid1(VALU_DEP_1)
	v_cndmask_b32_e32 v1, v2, v1, vcc_lo
	v_mul_f32_e32 v2, 0x4f800000, v1
	v_cmp_gt_f32_e32 vcc_lo, 0xf800000, v1
	s_delay_alu instid0(VALU_DEP_2) | instskip(NEXT) | instid1(VALU_DEP_1)
	v_cndmask_b32_e32 v1, v1, v2, vcc_lo
	v_sqrt_f32_e32 v2, v1
	s_waitcnt_depctr 0xfff
	v_add_nc_u32_e32 v9, -1, v2
	v_add_nc_u32_e32 v10, 1, v2
	s_delay_alu instid0(VALU_DEP_2) | instskip(NEXT) | instid1(VALU_DEP_2)
	v_fma_f32 v15, -v9, v2, v1
	v_fma_f32 v16, -v10, v2, v1
	s_delay_alu instid0(VALU_DEP_2) | instskip(NEXT) | instid1(VALU_DEP_1)
	v_cmp_ge_f32_e64 s3, 0, v15
	v_cndmask_b32_e64 v2, v2, v9, s3
	s_delay_alu instid0(VALU_DEP_3) | instskip(NEXT) | instid1(VALU_DEP_1)
	v_cmp_lt_f32_e64 s3, 0, v16
	v_cndmask_b32_e64 v2, v2, v10, s3
	s_delay_alu instid0(VALU_DEP_1) | instskip(NEXT) | instid1(VALU_DEP_1)
	v_mul_f32_e32 v9, 0x37800000, v2
	v_cndmask_b32_e32 v2, v2, v9, vcc_lo
	v_cmp_class_f32_e64 vcc_lo, v1, 0x260
	v_lshlrev_b64 v[9:10], 2, v[5:6]
	s_delay_alu instid0(VALU_DEP_3)
	v_cndmask_b32_e32 v1, v2, v1, vcc_lo
	s_and_not1_b32 vcc_lo, exec_lo, s20
	s_cbranch_vccnz .LBB132_5
; %bb.4:                                ;   in Loop: Header=BB132_3 Depth=1
	s_delay_alu instid0(VALU_DEP_2) | instskip(NEXT) | instid1(VALU_DEP_3)
	v_add_co_u32 v15, vcc_lo, s6, v9
	v_add_co_ci_u32_e32 v16, vcc_lo, s7, v10, vcc_lo
	global_load_b32 v2, v[15:16], off
	s_waitcnt vmcnt(0)
	v_add_f32_e32 v1, v1, v2
.LBB132_5:                              ;   in Loop: Header=BB132_3 Depth=1
	v_lshrrev_b32_e32 v2, 16, v3
	s_delay_alu instid0(VALU_DEP_1) | instskip(NEXT) | instid1(VALU_DEP_1)
	v_cvt_f32_f16_e32 v15, v2
	v_mul_f32_e32 v16, 0x3fb8aa3b, v15
	s_delay_alu instid0(VALU_DEP_1) | instskip(SKIP_2) | instid1(VALU_DEP_2)
	v_cmp_gt_f32_e32 vcc_lo, 0xc2fc0000, v16
	v_cndmask_b32_e64 v17, 0, 0x42800000, vcc_lo
	v_cndmask_b32_e64 v16, 1.0, 0x1f800000, vcc_lo
	v_fma_mix_f32 v3, v3, s31, v17 op_sel:[1,0,0] op_sel_hi:[1,0,0]
	s_delay_alu instid0(VALU_DEP_1) | instskip(SKIP_2) | instid1(VALU_DEP_1)
	v_exp_f32_e32 v3, v3
	s_waitcnt_depctr 0xfff
	v_fma_f32 v3, v3, v16, 1.0
	v_cmp_gt_f32_e32 vcc_lo, 0x800000, v3
	v_cndmask_b32_e64 v16, 1.0, 0x4f800000, vcc_lo
	s_delay_alu instid0(VALU_DEP_1) | instskip(SKIP_2) | instid1(VALU_DEP_3)
	v_mul_f32_e32 v3, v3, v16
	v_cndmask_b32_e64 v16, 0, 0x42000000, vcc_lo
	v_cmp_lt_f16_e32 vcc_lo, 0x4d00, v2
	v_log_f32_e32 v3, v3
	s_waitcnt_depctr 0xfff
	v_sub_f32_e32 v3, v3, v16
	s_delay_alu instid0(VALU_DEP_1) | instskip(NEXT) | instid1(VALU_DEP_1)
	v_mul_f32_e32 v3, 0x3f317218, v3
	v_cndmask_b32_e32 v2, v3, v15, vcc_lo
	s_delay_alu instid0(VALU_DEP_1) | instskip(SKIP_1) | instid1(VALU_DEP_2)
	v_mul_f32_e32 v3, 0x4f800000, v2
	v_cmp_gt_f32_e32 vcc_lo, 0xf800000, v2
	v_cndmask_b32_e32 v2, v2, v3, vcc_lo
	s_delay_alu instid0(VALU_DEP_1) | instskip(SKIP_3) | instid1(VALU_DEP_2)
	v_sqrt_f32_e32 v3, v2
	s_waitcnt_depctr 0xfff
	v_add_nc_u32_e32 v15, -1, v3
	v_add_nc_u32_e32 v16, 1, v3
	v_fma_f32 v17, -v15, v3, v2
	s_delay_alu instid0(VALU_DEP_2) | instskip(NEXT) | instid1(VALU_DEP_2)
	v_fma_f32 v18, -v16, v3, v2
	v_cmp_ge_f32_e64 s3, 0, v17
	s_delay_alu instid0(VALU_DEP_1) | instskip(NEXT) | instid1(VALU_DEP_3)
	v_cndmask_b32_e64 v3, v3, v15, s3
	v_cmp_lt_f32_e64 s3, 0, v18
	s_delay_alu instid0(VALU_DEP_1) | instskip(NEXT) | instid1(VALU_DEP_1)
	v_cndmask_b32_e64 v3, v3, v16, s3
	v_mul_f32_e32 v15, 0x37800000, v3
	s_delay_alu instid0(VALU_DEP_1) | instskip(SKIP_1) | instid1(VALU_DEP_2)
	v_cndmask_b32_e32 v3, v3, v15, vcc_lo
	v_cmp_class_f32_e64 vcc_lo, v2, 0x260
	v_cndmask_b32_e32 v2, v3, v2, vcc_lo
	s_and_not1_b32 vcc_lo, exec_lo, s20
	s_cbranch_vccnz .LBB132_7
; %bb.6:                                ;   in Loop: Header=BB132_3 Depth=1
	v_add_co_u32 v15, vcc_lo, s22, v9
	v_add_co_ci_u32_e32 v16, vcc_lo, s23, v10, vcc_lo
	global_load_b32 v3, v[15:16], off
	s_waitcnt vmcnt(0)
	v_add_f32_e32 v2, v2, v3
.LBB132_7:                              ;   in Loop: Header=BB132_3 Depth=1
	v_cvt_f32_f16_e32 v3, v4
	s_delay_alu instid0(VALU_DEP_1) | instskip(NEXT) | instid1(VALU_DEP_1)
	v_mul_f32_e32 v15, 0x3fb8aa3b, v3
	v_cmp_gt_f32_e32 vcc_lo, 0xc2fc0000, v15
	v_cndmask_b32_e64 v16, 0, 0x42800000, vcc_lo
	v_cndmask_b32_e64 v15, 1.0, 0x1f800000, vcc_lo
	s_delay_alu instid0(VALU_DEP_2) | instskip(NEXT) | instid1(VALU_DEP_1)
	v_fma_mix_f32 v16, v4, s31, v16 op_sel_hi:[1,0,0]
	v_exp_f32_e32 v16, v16
	s_waitcnt_depctr 0xfff
	v_fma_f32 v15, v16, v15, 1.0
	s_delay_alu instid0(VALU_DEP_1) | instskip(SKIP_1) | instid1(VALU_DEP_1)
	v_cmp_gt_f32_e32 vcc_lo, 0x800000, v15
	v_cndmask_b32_e64 v16, 1.0, 0x4f800000, vcc_lo
	v_mul_f32_e32 v15, v15, v16
	v_cndmask_b32_e64 v16, 0, 0x42000000, vcc_lo
	v_cmp_lt_f16_e32 vcc_lo, 0x4d00, v4
	s_delay_alu instid0(VALU_DEP_3) | instskip(SKIP_2) | instid1(VALU_DEP_1)
	v_log_f32_e32 v15, v15
	s_waitcnt_depctr 0xfff
	v_sub_f32_e32 v15, v15, v16
	v_mul_f32_e32 v15, 0x3f317218, v15
	s_delay_alu instid0(VALU_DEP_1) | instskip(NEXT) | instid1(VALU_DEP_1)
	v_cndmask_b32_e32 v3, v15, v3, vcc_lo
	v_mul_f32_e32 v15, 0x4f800000, v3
	v_cmp_gt_f32_e32 vcc_lo, 0xf800000, v3
	s_delay_alu instid0(VALU_DEP_2) | instskip(NEXT) | instid1(VALU_DEP_1)
	v_cndmask_b32_e32 v3, v3, v15, vcc_lo
	v_sqrt_f32_e32 v15, v3
	s_waitcnt_depctr 0xfff
	v_add_nc_u32_e32 v16, -1, v15
	v_add_nc_u32_e32 v17, 1, v15
	s_delay_alu instid0(VALU_DEP_2) | instskip(NEXT) | instid1(VALU_DEP_2)
	v_fma_f32 v18, -v16, v15, v3
	v_fma_f32 v19, -v17, v15, v3
	s_delay_alu instid0(VALU_DEP_2) | instskip(NEXT) | instid1(VALU_DEP_1)
	v_cmp_ge_f32_e64 s3, 0, v18
	v_cndmask_b32_e64 v15, v15, v16, s3
	s_delay_alu instid0(VALU_DEP_3) | instskip(NEXT) | instid1(VALU_DEP_1)
	v_cmp_lt_f32_e64 s3, 0, v19
	v_cndmask_b32_e64 v15, v15, v17, s3
	s_delay_alu instid0(VALU_DEP_1) | instskip(NEXT) | instid1(VALU_DEP_1)
	v_mul_f32_e32 v16, 0x37800000, v15
	v_cndmask_b32_e32 v15, v15, v16, vcc_lo
	v_cmp_class_f32_e64 vcc_lo, v3, 0x260
	s_delay_alu instid0(VALU_DEP_2)
	v_cndmask_b32_e32 v3, v15, v3, vcc_lo
	s_and_not1_b32 vcc_lo, exec_lo, s20
	s_cbranch_vccnz .LBB132_9
; %bb.8:                                ;   in Loop: Header=BB132_3 Depth=1
	v_add_co_u32 v15, vcc_lo, s24, v9
	v_add_co_ci_u32_e32 v16, vcc_lo, s25, v10, vcc_lo
	global_load_b32 v15, v[15:16], off
	s_waitcnt vmcnt(0)
	v_add_f32_e32 v3, v3, v15
.LBB132_9:                              ;   in Loop: Header=BB132_3 Depth=1
	v_lshrrev_b32_e32 v15, 16, v4
	s_delay_alu instid0(VALU_DEP_1) | instskip(NEXT) | instid1(VALU_DEP_1)
	v_cvt_f32_f16_e32 v16, v15
	v_mul_f32_e32 v17, 0x3fb8aa3b, v16
	s_delay_alu instid0(VALU_DEP_1) | instskip(SKIP_2) | instid1(VALU_DEP_2)
	v_cmp_gt_f32_e32 vcc_lo, 0xc2fc0000, v17
	v_cndmask_b32_e64 v18, 0, 0x42800000, vcc_lo
	v_cndmask_b32_e64 v17, 1.0, 0x1f800000, vcc_lo
	v_fma_mix_f32 v4, v4, s31, v18 op_sel:[1,0,0] op_sel_hi:[1,0,0]
	s_delay_alu instid0(VALU_DEP_1) | instskip(SKIP_2) | instid1(VALU_DEP_1)
	v_exp_f32_e32 v4, v4
	s_waitcnt_depctr 0xfff
	v_fma_f32 v4, v4, v17, 1.0
	v_cmp_gt_f32_e32 vcc_lo, 0x800000, v4
	v_cndmask_b32_e64 v17, 1.0, 0x4f800000, vcc_lo
	s_delay_alu instid0(VALU_DEP_1) | instskip(SKIP_2) | instid1(VALU_DEP_3)
	v_mul_f32_e32 v4, v4, v17
	v_cndmask_b32_e64 v17, 0, 0x42000000, vcc_lo
	v_cmp_lt_f16_e32 vcc_lo, 0x4d00, v15
	v_log_f32_e32 v4, v4
	s_waitcnt_depctr 0xfff
	v_sub_f32_e32 v4, v4, v17
	s_delay_alu instid0(VALU_DEP_1) | instskip(NEXT) | instid1(VALU_DEP_1)
	v_mul_f32_e32 v4, 0x3f317218, v4
	v_cndmask_b32_e32 v4, v4, v16, vcc_lo
	s_delay_alu instid0(VALU_DEP_1) | instskip(SKIP_1) | instid1(VALU_DEP_2)
	v_mul_f32_e32 v15, 0x4f800000, v4
	v_cmp_gt_f32_e32 vcc_lo, 0xf800000, v4
	v_cndmask_b32_e32 v4, v4, v15, vcc_lo
	s_delay_alu instid0(VALU_DEP_1) | instskip(SKIP_3) | instid1(VALU_DEP_2)
	v_sqrt_f32_e32 v15, v4
	s_waitcnt_depctr 0xfff
	v_add_nc_u32_e32 v16, -1, v15
	v_add_nc_u32_e32 v17, 1, v15
	v_fma_f32 v18, -v16, v15, v4
	s_delay_alu instid0(VALU_DEP_2) | instskip(NEXT) | instid1(VALU_DEP_2)
	v_fma_f32 v19, -v17, v15, v4
	v_cmp_ge_f32_e64 s3, 0, v18
	s_delay_alu instid0(VALU_DEP_1) | instskip(NEXT) | instid1(VALU_DEP_3)
	v_cndmask_b32_e64 v15, v15, v16, s3
	v_cmp_lt_f32_e64 s3, 0, v19
	s_delay_alu instid0(VALU_DEP_1) | instskip(NEXT) | instid1(VALU_DEP_1)
	v_cndmask_b32_e64 v15, v15, v17, s3
	v_mul_f32_e32 v16, 0x37800000, v15
	s_delay_alu instid0(VALU_DEP_1) | instskip(SKIP_1) | instid1(VALU_DEP_2)
	v_cndmask_b32_e32 v15, v15, v16, vcc_lo
	v_cmp_class_f32_e64 vcc_lo, v4, 0x260
	v_cndmask_b32_e32 v4, v15, v4, vcc_lo
	s_and_not1_b32 vcc_lo, exec_lo, s20
	s_cbranch_vccnz .LBB132_2
; %bb.10:                               ;   in Loop: Header=BB132_3 Depth=1
	v_add_co_u32 v9, vcc_lo, s26, v9
	v_add_co_ci_u32_e32 v10, vcc_lo, s27, v10, vcc_lo
	global_load_b32 v9, v[9:10], off
	s_waitcnt vmcnt(0)
	v_add_f32_e32 v4, v4, v9
	s_branch .LBB132_2
.LBB132_11:
	s_or_b32 exec_lo, exec_lo, s18
	v_lshl_add_u32 v1, s14, 2, v0
	s_mov_b32 s18, exec_lo
	s_delay_alu instid0(VALU_DEP_1)
	v_cmpx_gt_i32_e64 s12, v1
	s_cbranch_execz .LBB132_16
; %bb.12:
	s_load_b32 s3, s[0:1], 0x44
	s_lshl_b64 s[16:17], s[16:17], 1
	v_lshlrev_b32_e32 v2, 2, v0
	s_add_u32 s4, s4, s16
	s_addc_u32 s5, s5, s17
	s_cmp_lg_u64 s[6:7], 0
	s_mov_b32 s19, 0
	s_cselect_b32 s16, -1, 0
	s_lshl_b32 s17, s14, 4
	s_mov_b32 s21, 0x3fb8aa3b
	v_add3_u32 v3, 0, s17, v2
	s_waitcnt lgkmcnt(0)
	s_and_b32 s17, s3, 0xffff
	s_delay_alu instid0(SALU_CYCLE_1)
	s_lshl_b32 s20, s17, 2
	s_branch .LBB132_14
.LBB132_13:                             ;   in Loop: Header=BB132_14 Depth=1
	v_add_nc_u32_e32 v1, s17, v1
	v_add_nc_u32_e32 v3, s20, v3
	s_delay_alu instid0(VALU_DEP_2) | instskip(SKIP_1) | instid1(SALU_CYCLE_1)
	v_cmp_le_i32_e32 vcc_lo, s12, v1
	s_or_b32 s19, vcc_lo, s19
	s_and_not1_b32 exec_lo, exec_lo, s19
	s_cbranch_execz .LBB132_16
.LBB132_14:                             ; =>This Inner Loop Header: Depth=1
	v_ashrrev_i32_e32 v2, 31, v1
	s_delay_alu instid0(VALU_DEP_1) | instskip(NEXT) | instid1(VALU_DEP_1)
	v_lshlrev_b64 v[4:5], 1, v[1:2]
	v_add_co_u32 v4, vcc_lo, s4, v4
	s_delay_alu instid0(VALU_DEP_2) | instskip(SKIP_3) | instid1(VALU_DEP_1)
	v_add_co_ci_u32_e32 v5, vcc_lo, s5, v5, vcc_lo
	global_load_u16 v4, v[4:5], off
	s_waitcnt vmcnt(0)
	v_cvt_f32_f16_e32 v5, v4
	v_mul_f32_e32 v6, 0x3fb8aa3b, v5
	s_delay_alu instid0(VALU_DEP_1) | instskip(SKIP_2) | instid1(VALU_DEP_2)
	v_cmp_gt_f32_e32 vcc_lo, 0xc2fc0000, v6
	v_cndmask_b32_e64 v6, 0, 0x42800000, vcc_lo
	v_cndmask_b32_e64 v7, 1.0, 0x1f800000, vcc_lo
	v_fma_mix_f32 v6, v4, s21, v6 op_sel_hi:[1,0,0]
	s_delay_alu instid0(VALU_DEP_1) | instskip(SKIP_2) | instid1(VALU_DEP_1)
	v_exp_f32_e32 v6, v6
	s_waitcnt_depctr 0xfff
	v_fma_f32 v6, v6, v7, 1.0
	v_cmp_gt_f32_e32 vcc_lo, 0x800000, v6
	v_cndmask_b32_e64 v7, 1.0, 0x4f800000, vcc_lo
	s_delay_alu instid0(VALU_DEP_1) | instskip(SKIP_2) | instid1(VALU_DEP_3)
	v_mul_f32_e32 v6, v6, v7
	v_cndmask_b32_e64 v7, 0, 0x42000000, vcc_lo
	v_cmp_lt_f16_e32 vcc_lo, 0x4d00, v4
	v_log_f32_e32 v6, v6
	s_waitcnt_depctr 0xfff
	v_sub_f32_e32 v6, v6, v7
	s_delay_alu instid0(VALU_DEP_1) | instskip(NEXT) | instid1(VALU_DEP_1)
	v_mul_f32_e32 v6, 0x3f317218, v6
	v_cndmask_b32_e32 v4, v6, v5, vcc_lo
	s_delay_alu instid0(VALU_DEP_1) | instskip(SKIP_1) | instid1(VALU_DEP_2)
	v_mul_f32_e32 v5, 0x4f800000, v4
	v_cmp_gt_f32_e32 vcc_lo, 0xf800000, v4
	v_cndmask_b32_e32 v4, v4, v5, vcc_lo
	s_delay_alu instid0(VALU_DEP_1) | instskip(SKIP_3) | instid1(VALU_DEP_2)
	v_sqrt_f32_e32 v5, v4
	s_waitcnt_depctr 0xfff
	v_add_nc_u32_e32 v6, -1, v5
	v_add_nc_u32_e32 v7, 1, v5
	v_fma_f32 v8, -v6, v5, v4
	s_delay_alu instid0(VALU_DEP_2) | instskip(NEXT) | instid1(VALU_DEP_2)
	v_fma_f32 v9, -v7, v5, v4
	v_cmp_ge_f32_e64 s3, 0, v8
	s_delay_alu instid0(VALU_DEP_1) | instskip(NEXT) | instid1(VALU_DEP_3)
	v_cndmask_b32_e64 v5, v5, v6, s3
	v_cmp_lt_f32_e64 s3, 0, v9
	s_delay_alu instid0(VALU_DEP_1) | instskip(NEXT) | instid1(VALU_DEP_1)
	v_cndmask_b32_e64 v5, v5, v7, s3
	v_mul_f32_e32 v6, 0x37800000, v5
	s_delay_alu instid0(VALU_DEP_1) | instskip(SKIP_1) | instid1(VALU_DEP_2)
	v_cndmask_b32_e32 v5, v5, v6, vcc_lo
	v_cmp_class_f32_e64 vcc_lo, v4, 0x260
	v_cndmask_b32_e32 v4, v5, v4, vcc_lo
	s_and_not1_b32 vcc_lo, exec_lo, s16
	ds_store_b32 v3, v4
	s_cbranch_vccnz .LBB132_13
; %bb.15:                               ;   in Loop: Header=BB132_14 Depth=1
	v_lshlrev_b64 v[5:6], 2, v[1:2]
	s_delay_alu instid0(VALU_DEP_1) | instskip(NEXT) | instid1(VALU_DEP_2)
	v_add_co_u32 v5, vcc_lo, s6, v5
	v_add_co_ci_u32_e32 v6, vcc_lo, s7, v6, vcc_lo
	global_load_b32 v2, v[5:6], off
	s_waitcnt vmcnt(0)
	v_add_f32_e32 v2, v4, v2
	ds_store_b32 v3, v2
	s_branch .LBB132_13
.LBB132_16:
	s_or_b32 exec_lo, exec_lo, s18
	s_cmp_lt_i32 s13, 1
	s_waitcnt lgkmcnt(0)
	s_barrier
	buffer_gl0_inv
	s_cbranch_scc1 .LBB132_25
; %bb.17:
	s_add_u32 s4, s0, 56
	s_addc_u32 s5, s1, 0
	v_dual_mov_b32 v2, 0 :: v_dual_mov_b32 v1, 0
	v_mov_b32_e32 v3, 0xff800000
	s_cmp_lg_u64 s[6:7], 0
	s_mov_b32 s18, 0
	s_cselect_b32 s12, -1, 0
	s_mov_b32 s19, 0x76543210
	s_branch .LBB132_19
.LBB132_18:                             ;   in Loop: Header=BB132_19 Depth=1
	v_cmp_eq_u32_e32 vcc_lo, s18, v0
	s_delay_alu instid0(VALU_DEP_2)
	s_lshl_b32 s3, s16, 2
	s_add_i32 s18, s18, 1
	s_add_i32 s3, s3, 0
	s_cmp_eq_u32 s18, s13
	v_cndmask_b32_e64 v1, v1, s16, vcc_lo
	v_mov_b32_e32 v4, s3
	v_cndmask_b32_e32 v2, v2, v6, vcc_lo
	ds_store_b32 v4, v3
	s_cbranch_scc1 .LBB132_26
.LBB132_19:                             ; =>This Loop Header: Depth=1
                                        ;     Child Loop BB132_21 Depth 2
	v_dual_mov_b32 v4, s18 :: v_dual_mov_b32 v5, 0xff800000
	s_and_saveexec_b32 s16, s2
	s_cbranch_execz .LBB132_23
; %bb.20:                               ;   in Loop: Header=BB132_19 Depth=1
	s_load_b32 s3, s[4:5], 0xc
	v_dual_mov_b32 v4, s18 :: v_dual_mov_b32 v5, 0xff800000
	v_dual_mov_b32 v6, v12 :: v_dual_mov_b32 v7, v11
	v_mov_b32_e32 v8, v0
	s_mov_b32 s21, 0
	s_waitcnt lgkmcnt(0)
	s_and_b32 s17, s3, 0xffff
	s_delay_alu instid0(SALU_CYCLE_1)
	s_lshl_b32 s20, s17, 2
	s_lshl_b32 s22, s17, 4
	.p2align	6
.LBB132_21:                             ;   Parent Loop BB132_19 Depth=1
                                        ; =>  This Inner Loop Header: Depth=2
	ds_load_b128 v[13:16], v6
	v_add_nc_u32_e32 v8, s17, v8
	v_add_nc_u32_e32 v10, 2, v7
	;; [unrolled: 1-line block ×3, first 2 shown]
	s_delay_alu instid0(VALU_DEP_3) | instskip(NEXT) | instid1(VALU_DEP_1)
	v_cmp_le_i32_e64 s3, s14, v8
	s_or_b32 s21, s3, s21
	s_waitcnt lgkmcnt(0)
	v_cmp_gt_f32_e32 vcc_lo, v13, v5
	v_dual_cndmask_b32 v5, v5, v13 :: v_dual_cndmask_b32 v4, v4, v7
	s_delay_alu instid0(VALU_DEP_1) | instskip(NEXT) | instid1(VALU_DEP_2)
	v_cmp_gt_f32_e32 vcc_lo, v14, v5
	v_dual_cndmask_b32 v5, v5, v14 :: v_dual_cndmask_b32 v4, v4, v9
	v_add_nc_u32_e32 v9, 3, v7
	s_delay_alu instid0(VALU_DEP_2) | instskip(NEXT) | instid1(VALU_DEP_3)
	v_cmp_gt_f32_e32 vcc_lo, v15, v5
	v_dual_cndmask_b32 v5, v5, v15 :: v_dual_cndmask_b32 v4, v4, v10
	s_delay_alu instid0(VALU_DEP_1) | instskip(SKIP_1) | instid1(VALU_DEP_3)
	v_cmp_gt_f32_e32 vcc_lo, v16, v5
	v_add_nc_u32_e32 v6, s22, v6
	v_dual_cndmask_b32 v4, v4, v9 :: v_dual_add_nc_u32 v7, s20, v7
	v_cndmask_b32_e32 v5, v5, v16, vcc_lo
	s_and_not1_b32 exec_lo, exec_lo, s21
	s_cbranch_execnz .LBB132_21
; %bb.22:                               ;   in Loop: Header=BB132_19 Depth=1
	s_or_b32 exec_lo, exec_lo, s21
.LBB132_23:                             ;   in Loop: Header=BB132_19 Depth=1
	s_delay_alu instid0(SALU_CYCLE_1)
	s_or_b32 exec_lo, exec_lo, s16
	;;#ASMSTART
	v_max_f32 v6, v5, v5 quad_perm:[1,0,3,2] row_mask:0xf bank_mask:0xf bound_ctrl:1
	;;#ASMEND
	;;#ASMSTART
	v_max_f32 v7, v6, v6 quad_perm:[2,3,0,1] row_mask:0xf bank_mask:0xf bound_ctrl:1
	;;#ASMEND
	;;#ASMSTART
	v_max_f32 v6, v7, v7 row_half_mirror row_mask:0xf bank_mask:0xf bound_ctrl:1
	;;#ASMEND
	;;#ASMSTART
	v_max_f32 v7, v6, v6 row_mirror row_mask:0xf bank_mask:0xf bound_ctrl:1
	;;#ASMEND
	v_permlanex16_b32 v6, v7, s19, 0xfedcba98 op_sel:[1,1]
	s_delay_alu instid0(VALU_DEP_1) | instskip(NEXT) | instid1(VALU_DEP_1)
	v_dual_max_f32 v7, v7, v7 :: v_dual_max_f32 v6, v6, v6
	v_max_f32_e32 v6, v7, v6
	s_delay_alu instid0(VALU_DEP_1)
	v_cmp_eq_f32_e32 vcc_lo, v5, v6
	s_ctz_i32_b32 s3, vcc_lo
	s_cmp_lg_u32 vcc_lo, 0
	s_cselect_b32 s3, s3, 0
	s_and_b32 vcc_lo, exec_lo, s12
	v_readlane_b32 s16, v4, s3
	s_cbranch_vccz .LBB132_18
; %bb.24:                               ;   in Loop: Header=BB132_19 Depth=1
	s_delay_alu instid0(VALU_DEP_1) | instskip(NEXT) | instid1(SALU_CYCLE_1)
	s_ashr_i32 s17, s16, 31
	s_lshl_b64 s[20:21], s[16:17], 2
	s_delay_alu instid0(SALU_CYCLE_1)
	s_add_u32 s20, s6, s20
	s_addc_u32 s21, s7, s21
	s_load_b32 s3, s[20:21], 0x0
	s_waitcnt lgkmcnt(0)
	v_subrev_f32_e32 v6, s3, v6
	s_branch .LBB132_18
.LBB132_25:
	v_dual_mov_b32 v2, 0 :: v_dual_mov_b32 v1, 0
.LBB132_26:
	s_mov_b32 s2, exec_lo
	v_cmpx_gt_i32_e64 s13, v0
	s_cbranch_execz .LBB132_29
; %bb.27:
	s_clause 0x2
	s_load_b32 s4, s[0:1], 0x34
	s_load_b64 s[2:3], s[0:1], 0x20
	s_load_b32 s0, s[0:1], 0x44
	s_ashr_i32 s1, s15, 31
	s_waitcnt lgkmcnt(0)
	v_mul_f32_e32 v2, s4, v2
	s_mul_i32 s3, s15, s3
	s_mul_hi_u32 s4, s15, s2
	s_mul_i32 s5, s1, s2
	s_add_i32 s3, s4, s3
	s_mul_i32 s1, s15, s2
	s_and_b32 s2, s0, 0xffff
	s_add_i32 s3, s3, s5
	s_mov_b32 s4, 0
	.p2align	6
.LBB132_28:                             ; =>This Inner Loop Header: Depth=1
	v_ashrrev_i32_e32 v4, 31, v0
	v_add_co_u32 v3, vcc_lo, s1, v0
	v_add_nc_u32_e32 v0, s2, v0
	s_delay_alu instid0(VALU_DEP_3) | instskip(NEXT) | instid1(VALU_DEP_2)
	v_add_co_ci_u32_e32 v4, vcc_lo, s3, v4, vcc_lo
	v_cmp_le_i32_e32 vcc_lo, s13, v0
	s_delay_alu instid0(VALU_DEP_2) | instskip(SKIP_1) | instid1(VALU_DEP_1)
	v_lshlrev_b64 v[3:4], 2, v[3:4]
	s_or_b32 s4, vcc_lo, s4
	v_add_co_u32 v5, s0, s8, v3
	s_delay_alu instid0(VALU_DEP_1) | instskip(SKIP_1) | instid1(VALU_DEP_1)
	v_add_co_ci_u32_e64 v6, s0, s9, v4, s0
	v_add_co_u32 v3, s0, s10, v3
	v_add_co_ci_u32_e64 v4, s0, s11, v4, s0
	global_store_b32 v[5:6], v2, off
	global_store_b32 v[3:4], v1, off
	s_and_not1_b32 exec_lo, exec_lo, s4
	s_cbranch_execnz .LBB132_28
.LBB132_29:
	s_nop 0
	s_sendmsg sendmsg(MSG_DEALLOC_VGPRS)
	s_endpgm
	.section	.rodata,"a",@progbits
	.p2align	6, 0x0
	.amdhsa_kernel _ZN5aiter20topk_softplus_kernelI6__halffDv4_fLb0ELi0EEEvPKT_PKT0_PfPimiiif
		.amdhsa_group_segment_fixed_size 0
		.amdhsa_private_segment_fixed_size 0
		.amdhsa_kernarg_size 312
		.amdhsa_user_sgpr_count 15
		.amdhsa_user_sgpr_dispatch_ptr 0
		.amdhsa_user_sgpr_queue_ptr 0
		.amdhsa_user_sgpr_kernarg_segment_ptr 1
		.amdhsa_user_sgpr_dispatch_id 0
		.amdhsa_user_sgpr_private_segment_size 0
		.amdhsa_wavefront_size32 1
		.amdhsa_uses_dynamic_stack 0
		.amdhsa_enable_private_segment 0
		.amdhsa_system_sgpr_workgroup_id_x 1
		.amdhsa_system_sgpr_workgroup_id_y 0
		.amdhsa_system_sgpr_workgroup_id_z 0
		.amdhsa_system_sgpr_workgroup_info 0
		.amdhsa_system_vgpr_workitem_id 0
		.amdhsa_next_free_vgpr 20
		.amdhsa_next_free_sgpr 32
		.amdhsa_reserve_vcc 1
		.amdhsa_float_round_mode_32 0
		.amdhsa_float_round_mode_16_64 0
		.amdhsa_float_denorm_mode_32 3
		.amdhsa_float_denorm_mode_16_64 3
		.amdhsa_dx10_clamp 1
		.amdhsa_ieee_mode 1
		.amdhsa_fp16_overflow 0
		.amdhsa_workgroup_processor_mode 1
		.amdhsa_memory_ordered 1
		.amdhsa_forward_progress 0
		.amdhsa_shared_vgpr_count 0
		.amdhsa_exception_fp_ieee_invalid_op 0
		.amdhsa_exception_fp_denorm_src 0
		.amdhsa_exception_fp_ieee_div_zero 0
		.amdhsa_exception_fp_ieee_overflow 0
		.amdhsa_exception_fp_ieee_underflow 0
		.amdhsa_exception_fp_ieee_inexact 0
		.amdhsa_exception_int_div_zero 0
	.end_amdhsa_kernel
	.section	.text._ZN5aiter20topk_softplus_kernelI6__halffDv4_fLb0ELi0EEEvPKT_PKT0_PfPimiiif,"axG",@progbits,_ZN5aiter20topk_softplus_kernelI6__halffDv4_fLb0ELi0EEEvPKT_PKT0_PfPimiiif,comdat
.Lfunc_end132:
	.size	_ZN5aiter20topk_softplus_kernelI6__halffDv4_fLb0ELi0EEEvPKT_PKT0_PfPimiiif, .Lfunc_end132-_ZN5aiter20topk_softplus_kernelI6__halffDv4_fLb0ELi0EEEvPKT_PKT0_PfPimiiif
                                        ; -- End function
	.section	.AMDGPU.csdata,"",@progbits
; Kernel info:
; codeLenInByte = 2908
; NumSgprs: 34
; NumVgprs: 20
; ScratchSize: 0
; MemoryBound: 0
; FloatMode: 240
; IeeeMode: 1
; LDSByteSize: 0 bytes/workgroup (compile time only)
; SGPRBlocks: 4
; VGPRBlocks: 2
; NumSGPRsForWavesPerEU: 34
; NumVGPRsForWavesPerEU: 20
; Occupancy: 16
; WaveLimiterHint : 0
; COMPUTE_PGM_RSRC2:SCRATCH_EN: 0
; COMPUTE_PGM_RSRC2:USER_SGPR: 15
; COMPUTE_PGM_RSRC2:TRAP_HANDLER: 0
; COMPUTE_PGM_RSRC2:TGID_X_EN: 1
; COMPUTE_PGM_RSRC2:TGID_Y_EN: 0
; COMPUTE_PGM_RSRC2:TGID_Z_EN: 0
; COMPUTE_PGM_RSRC2:TIDIG_COMP_CNT: 0
	.section	.text._ZN5aiter20topk_softplus_kernelI6__halffDv2_fLb1ELi0EEEvPKT_PKT0_PfPimiiif,"axG",@progbits,_ZN5aiter20topk_softplus_kernelI6__halffDv2_fLb1ELi0EEEvPKT_PKT0_PfPimiiif,comdat
	.protected	_ZN5aiter20topk_softplus_kernelI6__halffDv2_fLb1ELi0EEEvPKT_PKT0_PfPimiiif ; -- Begin function _ZN5aiter20topk_softplus_kernelI6__halffDv2_fLb1ELi0EEEvPKT_PKT0_PfPimiiif
	.globl	_ZN5aiter20topk_softplus_kernelI6__halffDv2_fLb1ELi0EEEvPKT_PKT0_PfPimiiif
	.p2align	8
	.type	_ZN5aiter20topk_softplus_kernelI6__halffDv2_fLb1ELi0EEEvPKT_PKT0_PfPimiiif,@function
_ZN5aiter20topk_softplus_kernelI6__halffDv2_fLb1ELi0EEEvPKT_PKT0_PfPimiiif: ; @_ZN5aiter20topk_softplus_kernelI6__halffDv2_fLb1ELi0EEEvPKT_PKT0_PfPimiiif
; %bb.0:
	s_clause 0x1
	s_load_b64 s[12:13], s[0:1], 0x28
	s_load_b256 s[4:11], s[0:1], 0x0
	s_waitcnt lgkmcnt(0)
	s_lshr_b32 s2, s12, 31
	s_mul_i32 s16, s15, s12
	s_add_i32 s2, s12, s2
	s_ashr_i32 s17, s16, 31
	s_ashr_i32 s14, s2, 1
	s_delay_alu instid0(SALU_CYCLE_1) | instskip(NEXT) | instid1(VALU_DEP_1)
	v_cmp_gt_i32_e64 s2, s14, v0
	s_and_saveexec_b32 s18, s2
	s_cbranch_execz .LBB133_7
; %bb.1:
	s_load_b32 s3, s[0:1], 0x44
	v_lshlrev_b32_e32 v1, 3, v0
	s_cmp_lg_u64 s[6:7], 0
	v_dual_mov_b32 v8, v0 :: v_dual_lshlrev_b32 v3, 2, v0
	s_cselect_b32 s20, -1, 0
	s_delay_alu instid0(VALU_DEP_2) | instskip(SKIP_3) | instid1(VALU_DEP_3)
	v_add_co_u32 v2, s21, v1, s6
	s_lshl_b64 s[22:23], s[16:17], 1
	v_add_co_ci_u32_e64 v4, null, 0, s7, s21
	v_add_nc_u32_e32 v7, 0, v1
	v_add_co_u32 v1, vcc_lo, v2, 4
	s_delay_alu instid0(VALU_DEP_3)
	v_add_co_ci_u32_e32 v2, vcc_lo, 0, v4, vcc_lo
	s_mov_b32 s19, 0
	s_mov_b32 s24, 0x3fb8aa3b
	s_waitcnt lgkmcnt(0)
	s_and_b32 s21, s3, 0xffff
	s_add_u32 s3, s4, s22
	s_addc_u32 s22, s5, s23
	v_add_co_u32 v3, s3, s3, v3
	s_delay_alu instid0(VALU_DEP_1)
	v_add_co_ci_u32_e64 v4, null, s22, 0, s3
	s_lshl_b32 s22, s21, 2
	s_lshl_b32 s23, s21, 3
	s_branch .LBB133_3
.LBB133_2:                              ;   in Loop: Header=BB133_3 Depth=1
	v_add_nc_u32_e32 v8, s21, v8
	v_add_co_u32 v3, vcc_lo, v3, s22
	v_add_co_ci_u32_e32 v4, vcc_lo, 0, v4, vcc_lo
	s_delay_alu instid0(VALU_DEP_3)
	v_cmp_le_i32_e32 vcc_lo, s14, v8
	v_add_co_u32 v1, s3, v1, s23
	ds_store_b64 v7, v[5:6]
	v_add_co_ci_u32_e64 v2, s3, 0, v2, s3
	v_add_nc_u32_e32 v7, s23, v7
	s_or_b32 s19, vcc_lo, s19
	s_delay_alu instid0(SALU_CYCLE_1)
	s_and_not1_b32 exec_lo, exec_lo, s19
	s_cbranch_execz .LBB133_7
.LBB133_3:                              ; =>This Inner Loop Header: Depth=1
	global_load_b32 v6, v[3:4], off
	s_waitcnt vmcnt(0)
	v_cvt_f32_f16_e32 v5, v6
	s_delay_alu instid0(VALU_DEP_1) | instskip(NEXT) | instid1(VALU_DEP_1)
	v_mul_f32_e32 v9, 0x3fb8aa3b, v5
	v_cmp_gt_f32_e32 vcc_lo, 0xc2fc0000, v9
	v_cndmask_b32_e64 v10, 0, 0x42800000, vcc_lo
	v_cndmask_b32_e64 v9, 1.0, 0x1f800000, vcc_lo
	s_delay_alu instid0(VALU_DEP_2) | instskip(NEXT) | instid1(VALU_DEP_1)
	v_fma_mix_f32 v10, v6, s24, v10 op_sel_hi:[1,0,0]
	v_exp_f32_e32 v10, v10
	s_waitcnt_depctr 0xfff
	v_fma_f32 v9, v10, v9, 1.0
	s_delay_alu instid0(VALU_DEP_1) | instskip(SKIP_1) | instid1(VALU_DEP_1)
	v_cmp_gt_f32_e32 vcc_lo, 0x800000, v9
	v_cndmask_b32_e64 v10, 1.0, 0x4f800000, vcc_lo
	v_mul_f32_e32 v9, v9, v10
	v_cndmask_b32_e64 v10, 0, 0x42000000, vcc_lo
	v_cmp_lt_f16_e32 vcc_lo, 0x4d00, v6
	s_delay_alu instid0(VALU_DEP_3) | instskip(SKIP_2) | instid1(VALU_DEP_1)
	v_log_f32_e32 v9, v9
	s_waitcnt_depctr 0xfff
	v_sub_f32_e32 v9, v9, v10
	v_mul_f32_e32 v9, 0x3f317218, v9
	s_delay_alu instid0(VALU_DEP_1) | instskip(NEXT) | instid1(VALU_DEP_1)
	v_cndmask_b32_e32 v5, v9, v5, vcc_lo
	v_mul_f32_e32 v9, 0x4f800000, v5
	v_cmp_gt_f32_e32 vcc_lo, 0xf800000, v5
	s_delay_alu instid0(VALU_DEP_2) | instskip(NEXT) | instid1(VALU_DEP_1)
	v_cndmask_b32_e32 v5, v5, v9, vcc_lo
	v_sqrt_f32_e32 v9, v5
	s_waitcnt_depctr 0xfff
	v_add_nc_u32_e32 v10, -1, v9
	v_add_nc_u32_e32 v11, 1, v9
	s_delay_alu instid0(VALU_DEP_2) | instskip(NEXT) | instid1(VALU_DEP_2)
	v_fma_f32 v12, -v10, v9, v5
	v_fma_f32 v13, -v11, v9, v5
	s_delay_alu instid0(VALU_DEP_2) | instskip(NEXT) | instid1(VALU_DEP_1)
	v_cmp_ge_f32_e64 s3, 0, v12
	v_cndmask_b32_e64 v9, v9, v10, s3
	s_delay_alu instid0(VALU_DEP_3) | instskip(NEXT) | instid1(VALU_DEP_1)
	v_cmp_lt_f32_e64 s3, 0, v13
	v_cndmask_b32_e64 v9, v9, v11, s3
	s_delay_alu instid0(VALU_DEP_1) | instskip(NEXT) | instid1(VALU_DEP_1)
	v_mul_f32_e32 v10, 0x37800000, v9
	v_cndmask_b32_e32 v9, v9, v10, vcc_lo
	v_cmp_class_f32_e64 vcc_lo, v5, 0x260
	s_delay_alu instid0(VALU_DEP_2)
	v_cndmask_b32_e32 v5, v9, v5, vcc_lo
	s_and_not1_b32 vcc_lo, exec_lo, s20
	s_cbranch_vccnz .LBB133_5
; %bb.4:                                ;   in Loop: Header=BB133_3 Depth=1
	global_load_b32 v9, v[1:2], off offset:-4
	s_waitcnt vmcnt(0)
	v_add_f32_e32 v5, v5, v9
.LBB133_5:                              ;   in Loop: Header=BB133_3 Depth=1
	v_lshrrev_b32_e32 v9, 16, v6
	s_delay_alu instid0(VALU_DEP_1) | instskip(NEXT) | instid1(VALU_DEP_1)
	v_cvt_f32_f16_e32 v10, v9
	v_mul_f32_e32 v11, 0x3fb8aa3b, v10
	s_delay_alu instid0(VALU_DEP_1) | instskip(SKIP_2) | instid1(VALU_DEP_2)
	v_cmp_gt_f32_e32 vcc_lo, 0xc2fc0000, v11
	v_cndmask_b32_e64 v12, 0, 0x42800000, vcc_lo
	v_cndmask_b32_e64 v11, 1.0, 0x1f800000, vcc_lo
	v_fma_mix_f32 v6, v6, s24, v12 op_sel:[1,0,0] op_sel_hi:[1,0,0]
	s_delay_alu instid0(VALU_DEP_1) | instskip(SKIP_2) | instid1(VALU_DEP_1)
	v_exp_f32_e32 v6, v6
	s_waitcnt_depctr 0xfff
	v_fma_f32 v6, v6, v11, 1.0
	v_cmp_gt_f32_e32 vcc_lo, 0x800000, v6
	v_cndmask_b32_e64 v11, 1.0, 0x4f800000, vcc_lo
	s_delay_alu instid0(VALU_DEP_1) | instskip(SKIP_2) | instid1(VALU_DEP_3)
	v_mul_f32_e32 v6, v6, v11
	v_cndmask_b32_e64 v11, 0, 0x42000000, vcc_lo
	v_cmp_lt_f16_e32 vcc_lo, 0x4d00, v9
	v_log_f32_e32 v6, v6
	s_waitcnt_depctr 0xfff
	v_sub_f32_e32 v6, v6, v11
	s_delay_alu instid0(VALU_DEP_1) | instskip(NEXT) | instid1(VALU_DEP_1)
	v_mul_f32_e32 v6, 0x3f317218, v6
	v_cndmask_b32_e32 v6, v6, v10, vcc_lo
	s_delay_alu instid0(VALU_DEP_1) | instskip(SKIP_1) | instid1(VALU_DEP_2)
	v_mul_f32_e32 v9, 0x4f800000, v6
	v_cmp_gt_f32_e32 vcc_lo, 0xf800000, v6
	v_cndmask_b32_e32 v6, v6, v9, vcc_lo
	s_delay_alu instid0(VALU_DEP_1) | instskip(SKIP_3) | instid1(VALU_DEP_2)
	v_sqrt_f32_e32 v9, v6
	s_waitcnt_depctr 0xfff
	v_add_nc_u32_e32 v10, -1, v9
	v_add_nc_u32_e32 v11, 1, v9
	v_fma_f32 v12, -v10, v9, v6
	s_delay_alu instid0(VALU_DEP_2) | instskip(NEXT) | instid1(VALU_DEP_2)
	v_fma_f32 v13, -v11, v9, v6
	v_cmp_ge_f32_e64 s3, 0, v12
	s_delay_alu instid0(VALU_DEP_1) | instskip(NEXT) | instid1(VALU_DEP_3)
	v_cndmask_b32_e64 v9, v9, v10, s3
	v_cmp_lt_f32_e64 s3, 0, v13
	s_delay_alu instid0(VALU_DEP_1) | instskip(NEXT) | instid1(VALU_DEP_1)
	v_cndmask_b32_e64 v9, v9, v11, s3
	v_mul_f32_e32 v10, 0x37800000, v9
	s_delay_alu instid0(VALU_DEP_1) | instskip(SKIP_1) | instid1(VALU_DEP_2)
	v_cndmask_b32_e32 v9, v9, v10, vcc_lo
	v_cmp_class_f32_e64 vcc_lo, v6, 0x260
	v_cndmask_b32_e32 v6, v9, v6, vcc_lo
	s_and_not1_b32 vcc_lo, exec_lo, s20
	s_cbranch_vccnz .LBB133_2
; %bb.6:                                ;   in Loop: Header=BB133_3 Depth=1
	global_load_b32 v9, v[1:2], off
	s_waitcnt vmcnt(0)
	v_add_f32_e32 v6, v6, v9
	s_branch .LBB133_2
.LBB133_7:
	s_or_b32 exec_lo, exec_lo, s18
	v_lshl_add_u32 v1, s14, 1, v0
	s_mov_b32 s18, exec_lo
	s_delay_alu instid0(VALU_DEP_1)
	v_cmpx_gt_i32_e64 s12, v1
	s_cbranch_execz .LBB133_12
; %bb.8:
	s_load_b32 s3, s[0:1], 0x44
	s_lshl_b64 s[16:17], s[16:17], 1
	v_lshlrev_b32_e32 v2, 2, v0
	s_add_u32 s4, s4, s16
	s_addc_u32 s5, s5, s17
	s_cmp_lg_u64 s[6:7], 0
	s_mov_b32 s19, 0
	s_cselect_b32 s16, -1, 0
	s_lshl_b32 s17, s14, 3
	s_mov_b32 s21, 0x3fb8aa3b
	v_add3_u32 v3, 0, s17, v2
	s_waitcnt lgkmcnt(0)
	s_and_b32 s17, s3, 0xffff
	s_delay_alu instid0(SALU_CYCLE_1)
	s_lshl_b32 s20, s17, 2
	s_branch .LBB133_10
.LBB133_9:                              ;   in Loop: Header=BB133_10 Depth=1
	v_add_nc_u32_e32 v1, s17, v1
	v_add_nc_u32_e32 v3, s20, v3
	s_delay_alu instid0(VALU_DEP_2) | instskip(SKIP_1) | instid1(SALU_CYCLE_1)
	v_cmp_le_i32_e32 vcc_lo, s12, v1
	s_or_b32 s19, vcc_lo, s19
	s_and_not1_b32 exec_lo, exec_lo, s19
	s_cbranch_execz .LBB133_12
.LBB133_10:                             ; =>This Inner Loop Header: Depth=1
	v_ashrrev_i32_e32 v2, 31, v1
	s_delay_alu instid0(VALU_DEP_1) | instskip(NEXT) | instid1(VALU_DEP_1)
	v_lshlrev_b64 v[4:5], 1, v[1:2]
	v_add_co_u32 v4, vcc_lo, s4, v4
	s_delay_alu instid0(VALU_DEP_2) | instskip(SKIP_3) | instid1(VALU_DEP_1)
	v_add_co_ci_u32_e32 v5, vcc_lo, s5, v5, vcc_lo
	global_load_u16 v4, v[4:5], off
	s_waitcnt vmcnt(0)
	v_cvt_f32_f16_e32 v5, v4
	v_mul_f32_e32 v6, 0x3fb8aa3b, v5
	s_delay_alu instid0(VALU_DEP_1) | instskip(SKIP_2) | instid1(VALU_DEP_2)
	v_cmp_gt_f32_e32 vcc_lo, 0xc2fc0000, v6
	v_cndmask_b32_e64 v6, 0, 0x42800000, vcc_lo
	v_cndmask_b32_e64 v7, 1.0, 0x1f800000, vcc_lo
	v_fma_mix_f32 v6, v4, s21, v6 op_sel_hi:[1,0,0]
	s_delay_alu instid0(VALU_DEP_1) | instskip(SKIP_2) | instid1(VALU_DEP_1)
	v_exp_f32_e32 v6, v6
	s_waitcnt_depctr 0xfff
	v_fma_f32 v6, v6, v7, 1.0
	v_cmp_gt_f32_e32 vcc_lo, 0x800000, v6
	v_cndmask_b32_e64 v7, 1.0, 0x4f800000, vcc_lo
	s_delay_alu instid0(VALU_DEP_1) | instskip(SKIP_2) | instid1(VALU_DEP_3)
	v_mul_f32_e32 v6, v6, v7
	v_cndmask_b32_e64 v7, 0, 0x42000000, vcc_lo
	v_cmp_lt_f16_e32 vcc_lo, 0x4d00, v4
	v_log_f32_e32 v6, v6
	s_waitcnt_depctr 0xfff
	v_sub_f32_e32 v6, v6, v7
	s_delay_alu instid0(VALU_DEP_1) | instskip(NEXT) | instid1(VALU_DEP_1)
	v_mul_f32_e32 v6, 0x3f317218, v6
	v_cndmask_b32_e32 v4, v6, v5, vcc_lo
	s_delay_alu instid0(VALU_DEP_1) | instskip(SKIP_1) | instid1(VALU_DEP_2)
	v_mul_f32_e32 v5, 0x4f800000, v4
	v_cmp_gt_f32_e32 vcc_lo, 0xf800000, v4
	v_cndmask_b32_e32 v4, v4, v5, vcc_lo
	s_delay_alu instid0(VALU_DEP_1) | instskip(SKIP_3) | instid1(VALU_DEP_2)
	v_sqrt_f32_e32 v5, v4
	s_waitcnt_depctr 0xfff
	v_add_nc_u32_e32 v6, -1, v5
	v_add_nc_u32_e32 v7, 1, v5
	v_fma_f32 v8, -v6, v5, v4
	s_delay_alu instid0(VALU_DEP_2) | instskip(NEXT) | instid1(VALU_DEP_2)
	v_fma_f32 v9, -v7, v5, v4
	v_cmp_ge_f32_e64 s3, 0, v8
	s_delay_alu instid0(VALU_DEP_1) | instskip(NEXT) | instid1(VALU_DEP_3)
	v_cndmask_b32_e64 v5, v5, v6, s3
	v_cmp_lt_f32_e64 s3, 0, v9
	s_delay_alu instid0(VALU_DEP_1) | instskip(NEXT) | instid1(VALU_DEP_1)
	v_cndmask_b32_e64 v5, v5, v7, s3
	v_mul_f32_e32 v6, 0x37800000, v5
	s_delay_alu instid0(VALU_DEP_1) | instskip(SKIP_1) | instid1(VALU_DEP_2)
	v_cndmask_b32_e32 v5, v5, v6, vcc_lo
	v_cmp_class_f32_e64 vcc_lo, v4, 0x260
	v_cndmask_b32_e32 v4, v5, v4, vcc_lo
	s_and_not1_b32 vcc_lo, exec_lo, s16
	ds_store_b32 v3, v4
	s_cbranch_vccnz .LBB133_9
; %bb.11:                               ;   in Loop: Header=BB133_10 Depth=1
	v_lshlrev_b64 v[5:6], 2, v[1:2]
	s_delay_alu instid0(VALU_DEP_1) | instskip(NEXT) | instid1(VALU_DEP_2)
	v_add_co_u32 v5, vcc_lo, s6, v5
	v_add_co_ci_u32_e32 v6, vcc_lo, s7, v6, vcc_lo
	global_load_b32 v2, v[5:6], off
	s_waitcnt vmcnt(0)
	v_add_f32_e32 v2, v4, v2
	ds_store_b32 v3, v2
	s_branch .LBB133_9
.LBB133_12:
	s_or_b32 exec_lo, exec_lo, s18
	v_mov_b32_e32 v2, 0
	s_cmp_lt_i32 s13, 1
	s_waitcnt lgkmcnt(0)
	s_barrier
	buffer_gl0_inv
	s_cbranch_scc1 .LBB133_21
; %bb.13:
	s_add_u32 s4, s0, 56
	s_addc_u32 s5, s1, 0
	v_dual_mov_b32 v1, 0 :: v_dual_lshlrev_b32 v4, 1, v0
	v_lshl_add_u32 v5, v0, 3, 0
	v_dual_mov_b32 v2, 0 :: v_dual_mov_b32 v3, 0
	v_mov_b32_e32 v6, 0xff800000
	s_cmp_lg_u64 s[6:7], 0
	s_mov_b32 s18, 0
	s_cselect_b32 s12, -1, 0
	s_mov_b32 s19, 0x76543210
	s_branch .LBB133_15
.LBB133_14:                             ;   in Loop: Header=BB133_15 Depth=1
	v_cmp_eq_u32_e32 vcc_lo, s18, v0
	s_delay_alu instid0(VALU_DEP_2) | instskip(NEXT) | instid1(VALU_DEP_2)
	s_lshl_b32 s3, s16, 2
	v_add_f32_e32 v3, v3, v9
	s_add_i32 s3, s3, 0
	s_add_i32 s18, s18, 1
	v_cndmask_b32_e64 v1, v1, s16, vcc_lo
	v_dual_mov_b32 v7, s3 :: v_dual_cndmask_b32 v2, v2, v9
	s_cmp_eq_u32 s18, s13
	ds_store_b32 v7, v6
	s_cbranch_scc1 .LBB133_22
.LBB133_15:                             ; =>This Loop Header: Depth=1
                                        ;     Child Loop BB133_17 Depth 2
	v_dual_mov_b32 v7, s18 :: v_dual_mov_b32 v8, 0xff800000
	s_and_saveexec_b32 s16, s2
	s_cbranch_execz .LBB133_19
; %bb.16:                               ;   in Loop: Header=BB133_15 Depth=1
	s_load_b32 s3, s[4:5], 0xc
	v_dual_mov_b32 v7, s18 :: v_dual_mov_b32 v8, 0xff800000
	v_dual_mov_b32 v9, v5 :: v_dual_mov_b32 v10, v4
	v_mov_b32_e32 v11, v0
	s_mov_b32 s21, 0
	s_waitcnt lgkmcnt(0)
	s_and_b32 s17, s3, 0xffff
	s_delay_alu instid0(SALU_CYCLE_1)
	s_lshl_b32 s20, s17, 1
	s_lshl_b32 s22, s17, 3
	.p2align	6
.LBB133_17:                             ;   Parent Loop BB133_15 Depth=1
                                        ; =>  This Inner Loop Header: Depth=2
	ds_load_b64 v[12:13], v9
	v_add_nc_u32_e32 v9, s22, v9
	v_add_nc_u32_e32 v11, s17, v11
	s_delay_alu instid0(VALU_DEP_1) | instskip(NEXT) | instid1(VALU_DEP_1)
	v_cmp_le_i32_e64 s3, s14, v11
	s_or_b32 s21, s3, s21
	s_waitcnt lgkmcnt(0)
	v_cmp_gt_f32_e32 vcc_lo, v12, v8
	v_cndmask_b32_e32 v8, v8, v12, vcc_lo
	v_add_nc_u32_e32 v12, 1, v10
	v_cndmask_b32_e32 v7, v7, v10, vcc_lo
	s_delay_alu instid0(VALU_DEP_3) | instskip(SKIP_1) | instid1(VALU_DEP_3)
	v_cmp_gt_f32_e32 vcc_lo, v13, v8
	v_cndmask_b32_e32 v8, v8, v13, vcc_lo
	v_dual_cndmask_b32 v7, v7, v12 :: v_dual_add_nc_u32 v10, s20, v10
	s_and_not1_b32 exec_lo, exec_lo, s21
	s_cbranch_execnz .LBB133_17
; %bb.18:                               ;   in Loop: Header=BB133_15 Depth=1
	s_or_b32 exec_lo, exec_lo, s21
.LBB133_19:                             ;   in Loop: Header=BB133_15 Depth=1
	s_delay_alu instid0(SALU_CYCLE_1)
	s_or_b32 exec_lo, exec_lo, s16
	;;#ASMSTART
	v_max_f32 v9, v8, v8 quad_perm:[1,0,3,2] row_mask:0xf bank_mask:0xf bound_ctrl:1
	;;#ASMEND
	;;#ASMSTART
	v_max_f32 v10, v9, v9 quad_perm:[2,3,0,1] row_mask:0xf bank_mask:0xf bound_ctrl:1
	;;#ASMEND
	;;#ASMSTART
	v_max_f32 v9, v10, v10 row_half_mirror row_mask:0xf bank_mask:0xf bound_ctrl:1
	;;#ASMEND
	;;#ASMSTART
	v_max_f32 v10, v9, v9 row_mirror row_mask:0xf bank_mask:0xf bound_ctrl:1
	;;#ASMEND
	v_permlanex16_b32 v9, v10, s19, 0xfedcba98 op_sel:[1,1]
	s_delay_alu instid0(VALU_DEP_1) | instskip(NEXT) | instid1(VALU_DEP_1)
	v_dual_max_f32 v10, v10, v10 :: v_dual_max_f32 v9, v9, v9
	v_max_f32_e32 v9, v10, v9
	s_delay_alu instid0(VALU_DEP_1)
	v_cmp_eq_f32_e32 vcc_lo, v8, v9
	s_ctz_i32_b32 s3, vcc_lo
	s_cmp_lg_u32 vcc_lo, 0
	s_cselect_b32 s3, s3, 0
	s_and_b32 vcc_lo, exec_lo, s12
	v_readlane_b32 s16, v7, s3
	s_cbranch_vccz .LBB133_14
; %bb.20:                               ;   in Loop: Header=BB133_15 Depth=1
	s_delay_alu instid0(VALU_DEP_1) | instskip(NEXT) | instid1(SALU_CYCLE_1)
	s_ashr_i32 s17, s16, 31
	s_lshl_b64 s[20:21], s[16:17], 2
	s_delay_alu instid0(SALU_CYCLE_1)
	s_add_u32 s20, s6, s20
	s_addc_u32 s21, s7, s21
	s_load_b32 s3, s[20:21], 0x0
	s_waitcnt lgkmcnt(0)
	v_subrev_f32_e32 v9, s3, v9
	s_branch .LBB133_14
.LBB133_21:
	v_mov_b32_e32 v1, 0
	v_mov_b32_e32 v3, 0
.LBB133_22:
	s_mov_b32 s2, exec_lo
	v_cmpx_gt_i32_e64 s13, v0
	s_cbranch_execz .LBB133_25
; %bb.23:
	s_clause 0x1
	s_load_b32 s2, s[0:1], 0x34
	s_load_b32 s3, s[0:1], 0x44
	v_max_f32_e32 v3, v3, v3
	s_load_b64 s[0:1], s[0:1], 0x20
	s_ashr_i32 s4, s15, 31
	s_delay_alu instid0(VALU_DEP_1) | instskip(SKIP_1) | instid1(VALU_DEP_1)
	v_max_f32_e32 v3, 0x1e3ce508, v3
	s_waitcnt lgkmcnt(0)
	v_div_scale_f32 v4, null, v3, v3, s2
	v_div_scale_f32 v7, vcc_lo, s2, v3, s2
	s_mul_i32 s1, s15, s1
	s_delay_alu instid0(VALU_DEP_2) | instskip(SKIP_4) | instid1(VALU_DEP_1)
	v_rcp_f32_e32 v5, v4
	s_mul_i32 s4, s4, s0
	s_and_b32 s3, s3, 0xffff
	s_waitcnt_depctr 0xfff
	v_fma_f32 v6, -v4, v5, 1.0
	v_fmac_f32_e32 v5, v6, v5
	s_delay_alu instid0(VALU_DEP_1) | instskip(NEXT) | instid1(VALU_DEP_1)
	v_mul_f32_e32 v6, v7, v5
	v_fma_f32 v8, -v4, v6, v7
	s_delay_alu instid0(VALU_DEP_1) | instskip(NEXT) | instid1(VALU_DEP_1)
	v_fmac_f32_e32 v6, v8, v5
	v_fma_f32 v4, -v4, v6, v7
	s_delay_alu instid0(VALU_DEP_1) | instskip(NEXT) | instid1(VALU_DEP_1)
	v_div_fmas_f32 v4, v4, v5, v6
	v_div_fixup_f32 v3, v4, v3, s2
	s_mul_hi_u32 s2, s15, s0
	s_delay_alu instid0(SALU_CYCLE_1) | instskip(SKIP_1) | instid1(VALU_DEP_1)
	s_add_i32 s1, s2, s1
	s_mul_i32 s2, s15, s0
	v_mul_f32_e32 v2, v2, v3
	s_add_i32 s1, s1, s4
	s_mov_b32 s4, 0
	.p2align	6
.LBB133_24:                             ; =>This Inner Loop Header: Depth=1
	v_ashrrev_i32_e32 v4, 31, v0
	v_add_co_u32 v3, vcc_lo, s2, v0
	v_add_nc_u32_e32 v0, s3, v0
	s_delay_alu instid0(VALU_DEP_3) | instskip(NEXT) | instid1(VALU_DEP_2)
	v_add_co_ci_u32_e32 v4, vcc_lo, s1, v4, vcc_lo
	v_cmp_le_i32_e32 vcc_lo, s13, v0
	s_delay_alu instid0(VALU_DEP_2) | instskip(SKIP_1) | instid1(VALU_DEP_1)
	v_lshlrev_b64 v[3:4], 2, v[3:4]
	s_or_b32 s4, vcc_lo, s4
	v_add_co_u32 v5, s0, s8, v3
	s_delay_alu instid0(VALU_DEP_1) | instskip(SKIP_1) | instid1(VALU_DEP_1)
	v_add_co_ci_u32_e64 v6, s0, s9, v4, s0
	v_add_co_u32 v3, s0, s10, v3
	v_add_co_ci_u32_e64 v4, s0, s11, v4, s0
	global_store_b32 v[5:6], v2, off
	global_store_b32 v[3:4], v1, off
	s_and_not1_b32 exec_lo, exec_lo, s4
	s_cbranch_execnz .LBB133_24
.LBB133_25:
	s_nop 0
	s_sendmsg sendmsg(MSG_DEALLOC_VGPRS)
	s_endpgm
	.section	.rodata,"a",@progbits
	.p2align	6, 0x0
	.amdhsa_kernel _ZN5aiter20topk_softplus_kernelI6__halffDv2_fLb1ELi0EEEvPKT_PKT0_PfPimiiif
		.amdhsa_group_segment_fixed_size 0
		.amdhsa_private_segment_fixed_size 0
		.amdhsa_kernarg_size 312
		.amdhsa_user_sgpr_count 15
		.amdhsa_user_sgpr_dispatch_ptr 0
		.amdhsa_user_sgpr_queue_ptr 0
		.amdhsa_user_sgpr_kernarg_segment_ptr 1
		.amdhsa_user_sgpr_dispatch_id 0
		.amdhsa_user_sgpr_private_segment_size 0
		.amdhsa_wavefront_size32 1
		.amdhsa_uses_dynamic_stack 0
		.amdhsa_enable_private_segment 0
		.amdhsa_system_sgpr_workgroup_id_x 1
		.amdhsa_system_sgpr_workgroup_id_y 0
		.amdhsa_system_sgpr_workgroup_id_z 0
		.amdhsa_system_sgpr_workgroup_info 0
		.amdhsa_system_vgpr_workitem_id 0
		.amdhsa_next_free_vgpr 14
		.amdhsa_next_free_sgpr 25
		.amdhsa_reserve_vcc 1
		.amdhsa_float_round_mode_32 0
		.amdhsa_float_round_mode_16_64 0
		.amdhsa_float_denorm_mode_32 3
		.amdhsa_float_denorm_mode_16_64 3
		.amdhsa_dx10_clamp 1
		.amdhsa_ieee_mode 1
		.amdhsa_fp16_overflow 0
		.amdhsa_workgroup_processor_mode 1
		.amdhsa_memory_ordered 1
		.amdhsa_forward_progress 0
		.amdhsa_shared_vgpr_count 0
		.amdhsa_exception_fp_ieee_invalid_op 0
		.amdhsa_exception_fp_denorm_src 0
		.amdhsa_exception_fp_ieee_div_zero 0
		.amdhsa_exception_fp_ieee_overflow 0
		.amdhsa_exception_fp_ieee_underflow 0
		.amdhsa_exception_fp_ieee_inexact 0
		.amdhsa_exception_int_div_zero 0
	.end_amdhsa_kernel
	.section	.text._ZN5aiter20topk_softplus_kernelI6__halffDv2_fLb1ELi0EEEvPKT_PKT0_PfPimiiif,"axG",@progbits,_ZN5aiter20topk_softplus_kernelI6__halffDv2_fLb1ELi0EEEvPKT_PKT0_PfPimiiif,comdat
.Lfunc_end133:
	.size	_ZN5aiter20topk_softplus_kernelI6__halffDv2_fLb1ELi0EEEvPKT_PKT0_PfPimiiif, .Lfunc_end133-_ZN5aiter20topk_softplus_kernelI6__halffDv2_fLb1ELi0EEEvPKT_PKT0_PfPimiiif
                                        ; -- End function
	.section	.AMDGPU.csdata,"",@progbits
; Kernel info:
; codeLenInByte = 2300
; NumSgprs: 27
; NumVgprs: 14
; ScratchSize: 0
; MemoryBound: 0
; FloatMode: 240
; IeeeMode: 1
; LDSByteSize: 0 bytes/workgroup (compile time only)
; SGPRBlocks: 3
; VGPRBlocks: 1
; NumSGPRsForWavesPerEU: 27
; NumVGPRsForWavesPerEU: 14
; Occupancy: 16
; WaveLimiterHint : 0
; COMPUTE_PGM_RSRC2:SCRATCH_EN: 0
; COMPUTE_PGM_RSRC2:USER_SGPR: 15
; COMPUTE_PGM_RSRC2:TRAP_HANDLER: 0
; COMPUTE_PGM_RSRC2:TGID_X_EN: 1
; COMPUTE_PGM_RSRC2:TGID_Y_EN: 0
; COMPUTE_PGM_RSRC2:TGID_Z_EN: 0
; COMPUTE_PGM_RSRC2:TIDIG_COMP_CNT: 0
	.section	.text._ZN5aiter20topk_softplus_kernelI6__halffDv2_fLb0ELi0EEEvPKT_PKT0_PfPimiiif,"axG",@progbits,_ZN5aiter20topk_softplus_kernelI6__halffDv2_fLb0ELi0EEEvPKT_PKT0_PfPimiiif,comdat
	.protected	_ZN5aiter20topk_softplus_kernelI6__halffDv2_fLb0ELi0EEEvPKT_PKT0_PfPimiiif ; -- Begin function _ZN5aiter20topk_softplus_kernelI6__halffDv2_fLb0ELi0EEEvPKT_PKT0_PfPimiiif
	.globl	_ZN5aiter20topk_softplus_kernelI6__halffDv2_fLb0ELi0EEEvPKT_PKT0_PfPimiiif
	.p2align	8
	.type	_ZN5aiter20topk_softplus_kernelI6__halffDv2_fLb0ELi0EEEvPKT_PKT0_PfPimiiif,@function
_ZN5aiter20topk_softplus_kernelI6__halffDv2_fLb0ELi0EEEvPKT_PKT0_PfPimiiif: ; @_ZN5aiter20topk_softplus_kernelI6__halffDv2_fLb0ELi0EEEvPKT_PKT0_PfPimiiif
; %bb.0:
	s_clause 0x1
	s_load_b64 s[12:13], s[0:1], 0x28
	s_load_b256 s[4:11], s[0:1], 0x0
	s_waitcnt lgkmcnt(0)
	s_lshr_b32 s2, s12, 31
	s_mul_i32 s16, s15, s12
	s_add_i32 s2, s12, s2
	s_ashr_i32 s17, s16, 31
	s_ashr_i32 s14, s2, 1
	s_delay_alu instid0(SALU_CYCLE_1) | instskip(NEXT) | instid1(VALU_DEP_1)
	v_cmp_gt_i32_e64 s2, s14, v0
	s_and_saveexec_b32 s18, s2
	s_cbranch_execz .LBB134_7
; %bb.1:
	s_load_b32 s3, s[0:1], 0x44
	v_lshlrev_b32_e32 v1, 3, v0
	s_cmp_lg_u64 s[6:7], 0
	v_dual_mov_b32 v8, v0 :: v_dual_lshlrev_b32 v3, 2, v0
	s_cselect_b32 s20, -1, 0
	s_delay_alu instid0(VALU_DEP_2) | instskip(SKIP_3) | instid1(VALU_DEP_3)
	v_add_co_u32 v2, s21, v1, s6
	s_lshl_b64 s[22:23], s[16:17], 1
	v_add_co_ci_u32_e64 v4, null, 0, s7, s21
	v_add_nc_u32_e32 v7, 0, v1
	v_add_co_u32 v1, vcc_lo, v2, 4
	s_delay_alu instid0(VALU_DEP_3)
	v_add_co_ci_u32_e32 v2, vcc_lo, 0, v4, vcc_lo
	s_mov_b32 s19, 0
	s_mov_b32 s24, 0x3fb8aa3b
	s_waitcnt lgkmcnt(0)
	s_and_b32 s21, s3, 0xffff
	s_add_u32 s3, s4, s22
	s_addc_u32 s22, s5, s23
	v_add_co_u32 v3, s3, s3, v3
	s_delay_alu instid0(VALU_DEP_1)
	v_add_co_ci_u32_e64 v4, null, s22, 0, s3
	s_lshl_b32 s22, s21, 2
	s_lshl_b32 s23, s21, 3
	s_branch .LBB134_3
.LBB134_2:                              ;   in Loop: Header=BB134_3 Depth=1
	v_add_nc_u32_e32 v8, s21, v8
	v_add_co_u32 v3, vcc_lo, v3, s22
	v_add_co_ci_u32_e32 v4, vcc_lo, 0, v4, vcc_lo
	s_delay_alu instid0(VALU_DEP_3)
	v_cmp_le_i32_e32 vcc_lo, s14, v8
	v_add_co_u32 v1, s3, v1, s23
	ds_store_b64 v7, v[5:6]
	v_add_co_ci_u32_e64 v2, s3, 0, v2, s3
	v_add_nc_u32_e32 v7, s23, v7
	s_or_b32 s19, vcc_lo, s19
	s_delay_alu instid0(SALU_CYCLE_1)
	s_and_not1_b32 exec_lo, exec_lo, s19
	s_cbranch_execz .LBB134_7
.LBB134_3:                              ; =>This Inner Loop Header: Depth=1
	global_load_b32 v6, v[3:4], off
	s_waitcnt vmcnt(0)
	v_cvt_f32_f16_e32 v5, v6
	s_delay_alu instid0(VALU_DEP_1) | instskip(NEXT) | instid1(VALU_DEP_1)
	v_mul_f32_e32 v9, 0x3fb8aa3b, v5
	v_cmp_gt_f32_e32 vcc_lo, 0xc2fc0000, v9
	v_cndmask_b32_e64 v10, 0, 0x42800000, vcc_lo
	v_cndmask_b32_e64 v9, 1.0, 0x1f800000, vcc_lo
	s_delay_alu instid0(VALU_DEP_2) | instskip(NEXT) | instid1(VALU_DEP_1)
	v_fma_mix_f32 v10, v6, s24, v10 op_sel_hi:[1,0,0]
	v_exp_f32_e32 v10, v10
	s_waitcnt_depctr 0xfff
	v_fma_f32 v9, v10, v9, 1.0
	s_delay_alu instid0(VALU_DEP_1) | instskip(SKIP_1) | instid1(VALU_DEP_1)
	v_cmp_gt_f32_e32 vcc_lo, 0x800000, v9
	v_cndmask_b32_e64 v10, 1.0, 0x4f800000, vcc_lo
	v_mul_f32_e32 v9, v9, v10
	v_cndmask_b32_e64 v10, 0, 0x42000000, vcc_lo
	v_cmp_lt_f16_e32 vcc_lo, 0x4d00, v6
	s_delay_alu instid0(VALU_DEP_3) | instskip(SKIP_2) | instid1(VALU_DEP_1)
	v_log_f32_e32 v9, v9
	s_waitcnt_depctr 0xfff
	v_sub_f32_e32 v9, v9, v10
	v_mul_f32_e32 v9, 0x3f317218, v9
	s_delay_alu instid0(VALU_DEP_1) | instskip(NEXT) | instid1(VALU_DEP_1)
	v_cndmask_b32_e32 v5, v9, v5, vcc_lo
	v_mul_f32_e32 v9, 0x4f800000, v5
	v_cmp_gt_f32_e32 vcc_lo, 0xf800000, v5
	s_delay_alu instid0(VALU_DEP_2) | instskip(NEXT) | instid1(VALU_DEP_1)
	v_cndmask_b32_e32 v5, v5, v9, vcc_lo
	v_sqrt_f32_e32 v9, v5
	s_waitcnt_depctr 0xfff
	v_add_nc_u32_e32 v10, -1, v9
	v_add_nc_u32_e32 v11, 1, v9
	s_delay_alu instid0(VALU_DEP_2) | instskip(NEXT) | instid1(VALU_DEP_2)
	v_fma_f32 v12, -v10, v9, v5
	v_fma_f32 v13, -v11, v9, v5
	s_delay_alu instid0(VALU_DEP_2) | instskip(NEXT) | instid1(VALU_DEP_1)
	v_cmp_ge_f32_e64 s3, 0, v12
	v_cndmask_b32_e64 v9, v9, v10, s3
	s_delay_alu instid0(VALU_DEP_3) | instskip(NEXT) | instid1(VALU_DEP_1)
	v_cmp_lt_f32_e64 s3, 0, v13
	v_cndmask_b32_e64 v9, v9, v11, s3
	s_delay_alu instid0(VALU_DEP_1) | instskip(NEXT) | instid1(VALU_DEP_1)
	v_mul_f32_e32 v10, 0x37800000, v9
	v_cndmask_b32_e32 v9, v9, v10, vcc_lo
	v_cmp_class_f32_e64 vcc_lo, v5, 0x260
	s_delay_alu instid0(VALU_DEP_2)
	v_cndmask_b32_e32 v5, v9, v5, vcc_lo
	s_and_not1_b32 vcc_lo, exec_lo, s20
	s_cbranch_vccnz .LBB134_5
; %bb.4:                                ;   in Loop: Header=BB134_3 Depth=1
	global_load_b32 v9, v[1:2], off offset:-4
	s_waitcnt vmcnt(0)
	v_add_f32_e32 v5, v5, v9
.LBB134_5:                              ;   in Loop: Header=BB134_3 Depth=1
	v_lshrrev_b32_e32 v9, 16, v6
	s_delay_alu instid0(VALU_DEP_1) | instskip(NEXT) | instid1(VALU_DEP_1)
	v_cvt_f32_f16_e32 v10, v9
	v_mul_f32_e32 v11, 0x3fb8aa3b, v10
	s_delay_alu instid0(VALU_DEP_1) | instskip(SKIP_2) | instid1(VALU_DEP_2)
	v_cmp_gt_f32_e32 vcc_lo, 0xc2fc0000, v11
	v_cndmask_b32_e64 v12, 0, 0x42800000, vcc_lo
	v_cndmask_b32_e64 v11, 1.0, 0x1f800000, vcc_lo
	v_fma_mix_f32 v6, v6, s24, v12 op_sel:[1,0,0] op_sel_hi:[1,0,0]
	s_delay_alu instid0(VALU_DEP_1) | instskip(SKIP_2) | instid1(VALU_DEP_1)
	v_exp_f32_e32 v6, v6
	s_waitcnt_depctr 0xfff
	v_fma_f32 v6, v6, v11, 1.0
	v_cmp_gt_f32_e32 vcc_lo, 0x800000, v6
	v_cndmask_b32_e64 v11, 1.0, 0x4f800000, vcc_lo
	s_delay_alu instid0(VALU_DEP_1) | instskip(SKIP_2) | instid1(VALU_DEP_3)
	v_mul_f32_e32 v6, v6, v11
	v_cndmask_b32_e64 v11, 0, 0x42000000, vcc_lo
	v_cmp_lt_f16_e32 vcc_lo, 0x4d00, v9
	v_log_f32_e32 v6, v6
	s_waitcnt_depctr 0xfff
	v_sub_f32_e32 v6, v6, v11
	s_delay_alu instid0(VALU_DEP_1) | instskip(NEXT) | instid1(VALU_DEP_1)
	v_mul_f32_e32 v6, 0x3f317218, v6
	v_cndmask_b32_e32 v6, v6, v10, vcc_lo
	s_delay_alu instid0(VALU_DEP_1) | instskip(SKIP_1) | instid1(VALU_DEP_2)
	v_mul_f32_e32 v9, 0x4f800000, v6
	v_cmp_gt_f32_e32 vcc_lo, 0xf800000, v6
	v_cndmask_b32_e32 v6, v6, v9, vcc_lo
	s_delay_alu instid0(VALU_DEP_1) | instskip(SKIP_3) | instid1(VALU_DEP_2)
	v_sqrt_f32_e32 v9, v6
	s_waitcnt_depctr 0xfff
	v_add_nc_u32_e32 v10, -1, v9
	v_add_nc_u32_e32 v11, 1, v9
	v_fma_f32 v12, -v10, v9, v6
	s_delay_alu instid0(VALU_DEP_2) | instskip(NEXT) | instid1(VALU_DEP_2)
	v_fma_f32 v13, -v11, v9, v6
	v_cmp_ge_f32_e64 s3, 0, v12
	s_delay_alu instid0(VALU_DEP_1) | instskip(NEXT) | instid1(VALU_DEP_3)
	v_cndmask_b32_e64 v9, v9, v10, s3
	v_cmp_lt_f32_e64 s3, 0, v13
	s_delay_alu instid0(VALU_DEP_1) | instskip(NEXT) | instid1(VALU_DEP_1)
	v_cndmask_b32_e64 v9, v9, v11, s3
	v_mul_f32_e32 v10, 0x37800000, v9
	s_delay_alu instid0(VALU_DEP_1) | instskip(SKIP_1) | instid1(VALU_DEP_2)
	v_cndmask_b32_e32 v9, v9, v10, vcc_lo
	v_cmp_class_f32_e64 vcc_lo, v6, 0x260
	v_cndmask_b32_e32 v6, v9, v6, vcc_lo
	s_and_not1_b32 vcc_lo, exec_lo, s20
	s_cbranch_vccnz .LBB134_2
; %bb.6:                                ;   in Loop: Header=BB134_3 Depth=1
	global_load_b32 v9, v[1:2], off
	s_waitcnt vmcnt(0)
	v_add_f32_e32 v6, v6, v9
	s_branch .LBB134_2
.LBB134_7:
	s_or_b32 exec_lo, exec_lo, s18
	v_lshl_add_u32 v1, s14, 1, v0
	s_mov_b32 s18, exec_lo
	s_delay_alu instid0(VALU_DEP_1)
	v_cmpx_gt_i32_e64 s12, v1
	s_cbranch_execz .LBB134_12
; %bb.8:
	s_load_b32 s3, s[0:1], 0x44
	s_lshl_b64 s[16:17], s[16:17], 1
	v_lshlrev_b32_e32 v2, 2, v0
	s_add_u32 s4, s4, s16
	s_addc_u32 s5, s5, s17
	s_cmp_lg_u64 s[6:7], 0
	s_mov_b32 s19, 0
	s_cselect_b32 s16, -1, 0
	s_lshl_b32 s17, s14, 3
	s_mov_b32 s21, 0x3fb8aa3b
	v_add3_u32 v3, 0, s17, v2
	s_waitcnt lgkmcnt(0)
	s_and_b32 s17, s3, 0xffff
	s_delay_alu instid0(SALU_CYCLE_1)
	s_lshl_b32 s20, s17, 2
	s_branch .LBB134_10
.LBB134_9:                              ;   in Loop: Header=BB134_10 Depth=1
	v_add_nc_u32_e32 v1, s17, v1
	v_add_nc_u32_e32 v3, s20, v3
	s_delay_alu instid0(VALU_DEP_2) | instskip(SKIP_1) | instid1(SALU_CYCLE_1)
	v_cmp_le_i32_e32 vcc_lo, s12, v1
	s_or_b32 s19, vcc_lo, s19
	s_and_not1_b32 exec_lo, exec_lo, s19
	s_cbranch_execz .LBB134_12
.LBB134_10:                             ; =>This Inner Loop Header: Depth=1
	v_ashrrev_i32_e32 v2, 31, v1
	s_delay_alu instid0(VALU_DEP_1) | instskip(NEXT) | instid1(VALU_DEP_1)
	v_lshlrev_b64 v[4:5], 1, v[1:2]
	v_add_co_u32 v4, vcc_lo, s4, v4
	s_delay_alu instid0(VALU_DEP_2) | instskip(SKIP_3) | instid1(VALU_DEP_1)
	v_add_co_ci_u32_e32 v5, vcc_lo, s5, v5, vcc_lo
	global_load_u16 v4, v[4:5], off
	s_waitcnt vmcnt(0)
	v_cvt_f32_f16_e32 v5, v4
	v_mul_f32_e32 v6, 0x3fb8aa3b, v5
	s_delay_alu instid0(VALU_DEP_1) | instskip(SKIP_2) | instid1(VALU_DEP_2)
	v_cmp_gt_f32_e32 vcc_lo, 0xc2fc0000, v6
	v_cndmask_b32_e64 v6, 0, 0x42800000, vcc_lo
	v_cndmask_b32_e64 v7, 1.0, 0x1f800000, vcc_lo
	v_fma_mix_f32 v6, v4, s21, v6 op_sel_hi:[1,0,0]
	s_delay_alu instid0(VALU_DEP_1) | instskip(SKIP_2) | instid1(VALU_DEP_1)
	v_exp_f32_e32 v6, v6
	s_waitcnt_depctr 0xfff
	v_fma_f32 v6, v6, v7, 1.0
	v_cmp_gt_f32_e32 vcc_lo, 0x800000, v6
	v_cndmask_b32_e64 v7, 1.0, 0x4f800000, vcc_lo
	s_delay_alu instid0(VALU_DEP_1) | instskip(SKIP_2) | instid1(VALU_DEP_3)
	v_mul_f32_e32 v6, v6, v7
	v_cndmask_b32_e64 v7, 0, 0x42000000, vcc_lo
	v_cmp_lt_f16_e32 vcc_lo, 0x4d00, v4
	v_log_f32_e32 v6, v6
	s_waitcnt_depctr 0xfff
	v_sub_f32_e32 v6, v6, v7
	s_delay_alu instid0(VALU_DEP_1) | instskip(NEXT) | instid1(VALU_DEP_1)
	v_mul_f32_e32 v6, 0x3f317218, v6
	v_cndmask_b32_e32 v4, v6, v5, vcc_lo
	s_delay_alu instid0(VALU_DEP_1) | instskip(SKIP_1) | instid1(VALU_DEP_2)
	v_mul_f32_e32 v5, 0x4f800000, v4
	v_cmp_gt_f32_e32 vcc_lo, 0xf800000, v4
	v_cndmask_b32_e32 v4, v4, v5, vcc_lo
	s_delay_alu instid0(VALU_DEP_1) | instskip(SKIP_3) | instid1(VALU_DEP_2)
	v_sqrt_f32_e32 v5, v4
	s_waitcnt_depctr 0xfff
	v_add_nc_u32_e32 v6, -1, v5
	v_add_nc_u32_e32 v7, 1, v5
	v_fma_f32 v8, -v6, v5, v4
	s_delay_alu instid0(VALU_DEP_2) | instskip(NEXT) | instid1(VALU_DEP_2)
	v_fma_f32 v9, -v7, v5, v4
	v_cmp_ge_f32_e64 s3, 0, v8
	s_delay_alu instid0(VALU_DEP_1) | instskip(NEXT) | instid1(VALU_DEP_3)
	v_cndmask_b32_e64 v5, v5, v6, s3
	v_cmp_lt_f32_e64 s3, 0, v9
	s_delay_alu instid0(VALU_DEP_1) | instskip(NEXT) | instid1(VALU_DEP_1)
	v_cndmask_b32_e64 v5, v5, v7, s3
	v_mul_f32_e32 v6, 0x37800000, v5
	s_delay_alu instid0(VALU_DEP_1) | instskip(SKIP_1) | instid1(VALU_DEP_2)
	v_cndmask_b32_e32 v5, v5, v6, vcc_lo
	v_cmp_class_f32_e64 vcc_lo, v4, 0x260
	v_cndmask_b32_e32 v4, v5, v4, vcc_lo
	s_and_not1_b32 vcc_lo, exec_lo, s16
	ds_store_b32 v3, v4
	s_cbranch_vccnz .LBB134_9
; %bb.11:                               ;   in Loop: Header=BB134_10 Depth=1
	v_lshlrev_b64 v[5:6], 2, v[1:2]
	s_delay_alu instid0(VALU_DEP_1) | instskip(NEXT) | instid1(VALU_DEP_2)
	v_add_co_u32 v5, vcc_lo, s6, v5
	v_add_co_ci_u32_e32 v6, vcc_lo, s7, v6, vcc_lo
	global_load_b32 v2, v[5:6], off
	s_waitcnt vmcnt(0)
	v_add_f32_e32 v2, v4, v2
	ds_store_b32 v3, v2
	s_branch .LBB134_9
.LBB134_12:
	s_or_b32 exec_lo, exec_lo, s18
	s_cmp_lt_i32 s13, 1
	s_waitcnt lgkmcnt(0)
	s_barrier
	buffer_gl0_inv
	s_cbranch_scc1 .LBB134_21
; %bb.13:
	s_add_u32 s4, s0, 56
	s_addc_u32 s5, s1, 0
	v_dual_mov_b32 v2, 0 :: v_dual_lshlrev_b32 v3, 1, v0
	v_lshl_add_u32 v4, v0, 3, 0
	v_mov_b32_e32 v1, 0
	v_mov_b32_e32 v5, 0xff800000
	s_cmp_lg_u64 s[6:7], 0
	s_mov_b32 s18, 0
	s_cselect_b32 s12, -1, 0
	s_mov_b32 s19, 0x76543210
	s_branch .LBB134_15
.LBB134_14:                             ;   in Loop: Header=BB134_15 Depth=1
	v_cmp_eq_u32_e32 vcc_lo, s18, v0
	s_delay_alu instid0(VALU_DEP_2)
	s_lshl_b32 s3, s16, 2
	s_add_i32 s18, s18, 1
	s_add_i32 s3, s3, 0
	s_cmp_eq_u32 s18, s13
	v_cndmask_b32_e64 v1, v1, s16, vcc_lo
	v_mov_b32_e32 v6, s3
	v_cndmask_b32_e32 v2, v2, v8, vcc_lo
	ds_store_b32 v6, v5
	s_cbranch_scc1 .LBB134_22
.LBB134_15:                             ; =>This Loop Header: Depth=1
                                        ;     Child Loop BB134_17 Depth 2
	v_dual_mov_b32 v6, s18 :: v_dual_mov_b32 v7, 0xff800000
	s_and_saveexec_b32 s16, s2
	s_cbranch_execz .LBB134_19
; %bb.16:                               ;   in Loop: Header=BB134_15 Depth=1
	s_load_b32 s3, s[4:5], 0xc
	v_dual_mov_b32 v6, s18 :: v_dual_mov_b32 v7, 0xff800000
	v_dual_mov_b32 v8, v4 :: v_dual_mov_b32 v9, v3
	v_mov_b32_e32 v10, v0
	s_mov_b32 s21, 0
	s_waitcnt lgkmcnt(0)
	s_and_b32 s17, s3, 0xffff
	s_delay_alu instid0(SALU_CYCLE_1)
	s_lshl_b32 s20, s17, 1
	s_lshl_b32 s22, s17, 3
	.p2align	6
.LBB134_17:                             ;   Parent Loop BB134_15 Depth=1
                                        ; =>  This Inner Loop Header: Depth=2
	ds_load_b64 v[11:12], v8
	v_add_nc_u32_e32 v8, s22, v8
	v_add_nc_u32_e32 v10, s17, v10
	s_delay_alu instid0(VALU_DEP_1) | instskip(NEXT) | instid1(VALU_DEP_1)
	v_cmp_le_i32_e64 s3, s14, v10
	s_or_b32 s21, s3, s21
	s_waitcnt lgkmcnt(0)
	v_cmp_gt_f32_e32 vcc_lo, v11, v7
	v_cndmask_b32_e32 v7, v7, v11, vcc_lo
	v_add_nc_u32_e32 v11, 1, v9
	v_cndmask_b32_e32 v6, v6, v9, vcc_lo
	s_delay_alu instid0(VALU_DEP_3) | instskip(SKIP_1) | instid1(VALU_DEP_3)
	v_cmp_gt_f32_e32 vcc_lo, v12, v7
	v_cndmask_b32_e32 v7, v7, v12, vcc_lo
	v_dual_cndmask_b32 v6, v6, v11 :: v_dual_add_nc_u32 v9, s20, v9
	s_and_not1_b32 exec_lo, exec_lo, s21
	s_cbranch_execnz .LBB134_17
; %bb.18:                               ;   in Loop: Header=BB134_15 Depth=1
	s_or_b32 exec_lo, exec_lo, s21
.LBB134_19:                             ;   in Loop: Header=BB134_15 Depth=1
	s_delay_alu instid0(SALU_CYCLE_1)
	s_or_b32 exec_lo, exec_lo, s16
	;;#ASMSTART
	v_max_f32 v8, v7, v7 quad_perm:[1,0,3,2] row_mask:0xf bank_mask:0xf bound_ctrl:1
	;;#ASMEND
	;;#ASMSTART
	v_max_f32 v9, v8, v8 quad_perm:[2,3,0,1] row_mask:0xf bank_mask:0xf bound_ctrl:1
	;;#ASMEND
	;;#ASMSTART
	v_max_f32 v8, v9, v9 row_half_mirror row_mask:0xf bank_mask:0xf bound_ctrl:1
	;;#ASMEND
	;;#ASMSTART
	v_max_f32 v9, v8, v8 row_mirror row_mask:0xf bank_mask:0xf bound_ctrl:1
	;;#ASMEND
	v_permlanex16_b32 v8, v9, s19, 0xfedcba98 op_sel:[1,1]
	s_delay_alu instid0(VALU_DEP_1) | instskip(NEXT) | instid1(VALU_DEP_1)
	v_dual_max_f32 v9, v9, v9 :: v_dual_max_f32 v8, v8, v8
	v_max_f32_e32 v8, v9, v8
	s_delay_alu instid0(VALU_DEP_1)
	v_cmp_eq_f32_e32 vcc_lo, v7, v8
	s_ctz_i32_b32 s3, vcc_lo
	s_cmp_lg_u32 vcc_lo, 0
	s_cselect_b32 s3, s3, 0
	s_and_b32 vcc_lo, exec_lo, s12
	v_readlane_b32 s16, v6, s3
	s_cbranch_vccz .LBB134_14
; %bb.20:                               ;   in Loop: Header=BB134_15 Depth=1
	s_delay_alu instid0(VALU_DEP_1) | instskip(NEXT) | instid1(SALU_CYCLE_1)
	s_ashr_i32 s17, s16, 31
	s_lshl_b64 s[20:21], s[16:17], 2
	s_delay_alu instid0(SALU_CYCLE_1)
	s_add_u32 s20, s6, s20
	s_addc_u32 s21, s7, s21
	s_load_b32 s3, s[20:21], 0x0
	s_waitcnt lgkmcnt(0)
	v_subrev_f32_e32 v8, s3, v8
	s_branch .LBB134_14
.LBB134_21:
	v_dual_mov_b32 v2, 0 :: v_dual_mov_b32 v1, 0
.LBB134_22:
	s_mov_b32 s2, exec_lo
	v_cmpx_gt_i32_e64 s13, v0
	s_cbranch_execz .LBB134_25
; %bb.23:
	s_clause 0x2
	s_load_b32 s4, s[0:1], 0x34
	s_load_b64 s[2:3], s[0:1], 0x20
	s_load_b32 s0, s[0:1], 0x44
	s_ashr_i32 s1, s15, 31
	s_waitcnt lgkmcnt(0)
	v_mul_f32_e32 v2, s4, v2
	s_mul_i32 s3, s15, s3
	s_mul_hi_u32 s4, s15, s2
	s_mul_i32 s5, s1, s2
	s_add_i32 s3, s4, s3
	s_mul_i32 s1, s15, s2
	s_and_b32 s2, s0, 0xffff
	s_add_i32 s3, s3, s5
	s_mov_b32 s4, 0
	.p2align	6
.LBB134_24:                             ; =>This Inner Loop Header: Depth=1
	v_ashrrev_i32_e32 v4, 31, v0
	v_add_co_u32 v3, vcc_lo, s1, v0
	v_add_nc_u32_e32 v0, s2, v0
	s_delay_alu instid0(VALU_DEP_3) | instskip(NEXT) | instid1(VALU_DEP_2)
	v_add_co_ci_u32_e32 v4, vcc_lo, s3, v4, vcc_lo
	v_cmp_le_i32_e32 vcc_lo, s13, v0
	s_delay_alu instid0(VALU_DEP_2) | instskip(SKIP_1) | instid1(VALU_DEP_1)
	v_lshlrev_b64 v[3:4], 2, v[3:4]
	s_or_b32 s4, vcc_lo, s4
	v_add_co_u32 v5, s0, s8, v3
	s_delay_alu instid0(VALU_DEP_1) | instskip(SKIP_1) | instid1(VALU_DEP_1)
	v_add_co_ci_u32_e64 v6, s0, s9, v4, s0
	v_add_co_u32 v3, s0, s10, v3
	v_add_co_ci_u32_e64 v4, s0, s11, v4, s0
	global_store_b32 v[5:6], v2, off
	global_store_b32 v[3:4], v1, off
	s_and_not1_b32 exec_lo, exec_lo, s4
	s_cbranch_execnz .LBB134_24
.LBB134_25:
	s_nop 0
	s_sendmsg sendmsg(MSG_DEALLOC_VGPRS)
	s_endpgm
	.section	.rodata,"a",@progbits
	.p2align	6, 0x0
	.amdhsa_kernel _ZN5aiter20topk_softplus_kernelI6__halffDv2_fLb0ELi0EEEvPKT_PKT0_PfPimiiif
		.amdhsa_group_segment_fixed_size 0
		.amdhsa_private_segment_fixed_size 0
		.amdhsa_kernarg_size 312
		.amdhsa_user_sgpr_count 15
		.amdhsa_user_sgpr_dispatch_ptr 0
		.amdhsa_user_sgpr_queue_ptr 0
		.amdhsa_user_sgpr_kernarg_segment_ptr 1
		.amdhsa_user_sgpr_dispatch_id 0
		.amdhsa_user_sgpr_private_segment_size 0
		.amdhsa_wavefront_size32 1
		.amdhsa_uses_dynamic_stack 0
		.amdhsa_enable_private_segment 0
		.amdhsa_system_sgpr_workgroup_id_x 1
		.amdhsa_system_sgpr_workgroup_id_y 0
		.amdhsa_system_sgpr_workgroup_id_z 0
		.amdhsa_system_sgpr_workgroup_info 0
		.amdhsa_system_vgpr_workitem_id 0
		.amdhsa_next_free_vgpr 14
		.amdhsa_next_free_sgpr 25
		.amdhsa_reserve_vcc 1
		.amdhsa_float_round_mode_32 0
		.amdhsa_float_round_mode_16_64 0
		.amdhsa_float_denorm_mode_32 3
		.amdhsa_float_denorm_mode_16_64 3
		.amdhsa_dx10_clamp 1
		.amdhsa_ieee_mode 1
		.amdhsa_fp16_overflow 0
		.amdhsa_workgroup_processor_mode 1
		.amdhsa_memory_ordered 1
		.amdhsa_forward_progress 0
		.amdhsa_shared_vgpr_count 0
		.amdhsa_exception_fp_ieee_invalid_op 0
		.amdhsa_exception_fp_denorm_src 0
		.amdhsa_exception_fp_ieee_div_zero 0
		.amdhsa_exception_fp_ieee_overflow 0
		.amdhsa_exception_fp_ieee_underflow 0
		.amdhsa_exception_fp_ieee_inexact 0
		.amdhsa_exception_int_div_zero 0
	.end_amdhsa_kernel
	.section	.text._ZN5aiter20topk_softplus_kernelI6__halffDv2_fLb0ELi0EEEvPKT_PKT0_PfPimiiif,"axG",@progbits,_ZN5aiter20topk_softplus_kernelI6__halffDv2_fLb0ELi0EEEvPKT_PKT0_PfPimiiif,comdat
.Lfunc_end134:
	.size	_ZN5aiter20topk_softplus_kernelI6__halffDv2_fLb0ELi0EEEvPKT_PKT0_PfPimiiif, .Lfunc_end134-_ZN5aiter20topk_softplus_kernelI6__halffDv2_fLb0ELi0EEEvPKT_PKT0_PfPimiiif
                                        ; -- End function
	.section	.AMDGPU.csdata,"",@progbits
; Kernel info:
; codeLenInByte = 2176
; NumSgprs: 27
; NumVgprs: 14
; ScratchSize: 0
; MemoryBound: 0
; FloatMode: 240
; IeeeMode: 1
; LDSByteSize: 0 bytes/workgroup (compile time only)
; SGPRBlocks: 3
; VGPRBlocks: 1
; NumSGPRsForWavesPerEU: 27
; NumVGPRsForWavesPerEU: 14
; Occupancy: 16
; WaveLimiterHint : 0
; COMPUTE_PGM_RSRC2:SCRATCH_EN: 0
; COMPUTE_PGM_RSRC2:USER_SGPR: 15
; COMPUTE_PGM_RSRC2:TRAP_HANDLER: 0
; COMPUTE_PGM_RSRC2:TGID_X_EN: 1
; COMPUTE_PGM_RSRC2:TGID_Y_EN: 0
; COMPUTE_PGM_RSRC2:TGID_Z_EN: 0
; COMPUTE_PGM_RSRC2:TIDIG_COMP_CNT: 0
	.section	.text._ZN5aiter20topk_softplus_kernelI6__halffDv1_fLb1ELi0EEEvPKT_PKT0_PfPimiiif,"axG",@progbits,_ZN5aiter20topk_softplus_kernelI6__halffDv1_fLb1ELi0EEEvPKT_PKT0_PfPimiiif,comdat
	.protected	_ZN5aiter20topk_softplus_kernelI6__halffDv1_fLb1ELi0EEEvPKT_PKT0_PfPimiiif ; -- Begin function _ZN5aiter20topk_softplus_kernelI6__halffDv1_fLb1ELi0EEEvPKT_PKT0_PfPimiiif
	.globl	_ZN5aiter20topk_softplus_kernelI6__halffDv1_fLb1ELi0EEEvPKT_PKT0_PfPimiiif
	.p2align	8
	.type	_ZN5aiter20topk_softplus_kernelI6__halffDv1_fLb1ELi0EEEvPKT_PKT0_PfPimiiif,@function
_ZN5aiter20topk_softplus_kernelI6__halffDv1_fLb1ELi0EEEvPKT_PKT0_PfPimiiif: ; @_ZN5aiter20topk_softplus_kernelI6__halffDv1_fLb1ELi0EEEvPKT_PKT0_PfPimiiif
; %bb.0:
	s_clause 0x1
	s_load_b64 s[12:13], s[0:1], 0x28
	s_load_b256 s[4:11], s[0:1], 0x0
	v_lshl_add_u32 v3, v0, 2, 0
	s_waitcnt lgkmcnt(0)
	s_mul_i32 s16, s15, s12
	v_cmp_gt_i32_e64 s2, s12, v0
	s_ashr_i32 s17, s16, 31
	s_delay_alu instid0(SALU_CYCLE_1) | instskip(NEXT) | instid1(SALU_CYCLE_1)
	s_lshl_b64 s[16:17], s[16:17], 1
	s_add_u32 s4, s4, s16
	s_addc_u32 s5, s5, s17
	s_and_saveexec_b32 s14, s2
	s_cbranch_execz .LBB135_5
; %bb.1:
	s_load_b32 s3, s[0:1], 0x44
	s_cmp_lg_u64 s[6:7], 0
	v_lshl_add_u32 v4, v0, 2, 0
	v_mov_b32_e32 v1, v0
	s_cselect_b32 s16, -1, 0
	s_mov_b32 s18, 0
	s_mov_b32 s20, 0x3fb8aa3b
	s_waitcnt lgkmcnt(0)
	s_and_b32 s17, s3, 0xffff
	s_delay_alu instid0(SALU_CYCLE_1)
	s_lshl_b32 s19, s17, 2
	s_branch .LBB135_3
.LBB135_2:                              ;   in Loop: Header=BB135_3 Depth=1
	v_add_nc_u32_e32 v1, s17, v1
	ds_store_b32 v4, v5
	v_add_nc_u32_e32 v4, s19, v4
	v_cmp_le_i32_e32 vcc_lo, s12, v1
	s_or_b32 s18, vcc_lo, s18
	s_delay_alu instid0(SALU_CYCLE_1)
	s_and_not1_b32 exec_lo, exec_lo, s18
	s_cbranch_execz .LBB135_5
.LBB135_3:                              ; =>This Inner Loop Header: Depth=1
	v_ashrrev_i32_e32 v2, 31, v1
	s_delay_alu instid0(VALU_DEP_1) | instskip(NEXT) | instid1(VALU_DEP_1)
	v_lshlrev_b64 v[5:6], 1, v[1:2]
	v_add_co_u32 v5, vcc_lo, s4, v5
	s_delay_alu instid0(VALU_DEP_2) | instskip(SKIP_3) | instid1(VALU_DEP_1)
	v_add_co_ci_u32_e32 v6, vcc_lo, s5, v6, vcc_lo
	global_load_u16 v5, v[5:6], off
	s_waitcnt vmcnt(0)
	v_cvt_f32_f16_e32 v6, v5
	v_mul_f32_e32 v7, 0x3fb8aa3b, v6
	s_delay_alu instid0(VALU_DEP_1) | instskip(SKIP_2) | instid1(VALU_DEP_2)
	v_cmp_gt_f32_e32 vcc_lo, 0xc2fc0000, v7
	v_cndmask_b32_e64 v7, 0, 0x42800000, vcc_lo
	v_cndmask_b32_e64 v8, 1.0, 0x1f800000, vcc_lo
	v_fma_mix_f32 v7, v5, s20, v7 op_sel_hi:[1,0,0]
	s_delay_alu instid0(VALU_DEP_1) | instskip(SKIP_2) | instid1(VALU_DEP_1)
	v_exp_f32_e32 v7, v7
	s_waitcnt_depctr 0xfff
	v_fma_f32 v7, v7, v8, 1.0
	v_cmp_gt_f32_e32 vcc_lo, 0x800000, v7
	v_cndmask_b32_e64 v8, 1.0, 0x4f800000, vcc_lo
	s_delay_alu instid0(VALU_DEP_1) | instskip(SKIP_2) | instid1(VALU_DEP_3)
	v_mul_f32_e32 v7, v7, v8
	v_cndmask_b32_e64 v8, 0, 0x42000000, vcc_lo
	v_cmp_lt_f16_e32 vcc_lo, 0x4d00, v5
	v_log_f32_e32 v7, v7
	s_waitcnt_depctr 0xfff
	v_sub_f32_e32 v7, v7, v8
	s_delay_alu instid0(VALU_DEP_1) | instskip(NEXT) | instid1(VALU_DEP_1)
	v_mul_f32_e32 v7, 0x3f317218, v7
	v_cndmask_b32_e32 v5, v7, v6, vcc_lo
	s_delay_alu instid0(VALU_DEP_1) | instskip(SKIP_1) | instid1(VALU_DEP_2)
	v_mul_f32_e32 v6, 0x4f800000, v5
	v_cmp_gt_f32_e32 vcc_lo, 0xf800000, v5
	v_cndmask_b32_e32 v5, v5, v6, vcc_lo
	s_delay_alu instid0(VALU_DEP_1) | instskip(SKIP_3) | instid1(VALU_DEP_2)
	v_sqrt_f32_e32 v6, v5
	s_waitcnt_depctr 0xfff
	v_add_nc_u32_e32 v7, -1, v6
	v_add_nc_u32_e32 v8, 1, v6
	v_fma_f32 v9, -v7, v6, v5
	s_delay_alu instid0(VALU_DEP_2) | instskip(NEXT) | instid1(VALU_DEP_2)
	v_fma_f32 v10, -v8, v6, v5
	v_cmp_ge_f32_e64 s3, 0, v9
	s_delay_alu instid0(VALU_DEP_1) | instskip(NEXT) | instid1(VALU_DEP_3)
	v_cndmask_b32_e64 v6, v6, v7, s3
	v_cmp_lt_f32_e64 s3, 0, v10
	s_delay_alu instid0(VALU_DEP_1) | instskip(NEXT) | instid1(VALU_DEP_1)
	v_cndmask_b32_e64 v6, v6, v8, s3
	v_mul_f32_e32 v7, 0x37800000, v6
	s_delay_alu instid0(VALU_DEP_1) | instskip(SKIP_1) | instid1(VALU_DEP_2)
	v_cndmask_b32_e32 v6, v6, v7, vcc_lo
	v_cmp_class_f32_e64 vcc_lo, v5, 0x260
	v_cndmask_b32_e32 v5, v6, v5, vcc_lo
	s_and_not1_b32 vcc_lo, exec_lo, s16
	s_cbranch_vccnz .LBB135_2
; %bb.4:                                ;   in Loop: Header=BB135_3 Depth=1
	v_lshlrev_b64 v[6:7], 2, v[1:2]
	s_delay_alu instid0(VALU_DEP_1) | instskip(NEXT) | instid1(VALU_DEP_2)
	v_add_co_u32 v6, vcc_lo, s6, v6
	v_add_co_ci_u32_e32 v7, vcc_lo, s7, v7, vcc_lo
	global_load_b32 v2, v[6:7], off
	s_waitcnt vmcnt(0)
	v_add_f32_e32 v5, v5, v2
	s_branch .LBB135_2
.LBB135_5:
	s_or_b32 exec_lo, exec_lo, s14
	v_add_nc_u32_e32 v1, s12, v0
	s_mov_b32 s14, exec_lo
	s_delay_alu instid0(VALU_DEP_1)
	v_cmpx_gt_i32_e64 s12, v1
	s_cbranch_execz .LBB135_10
; %bb.6:
	s_load_b32 s3, s[0:1], 0x44
	s_cmp_lg_u64 s[6:7], 0
	v_lshl_add_u32 v4, v1, 2, 0
	s_cselect_b32 s16, -1, 0
	s_mov_b32 s18, 0
	s_mov_b32 s20, 0x3fb8aa3b
	s_waitcnt lgkmcnt(0)
	s_and_b32 s17, s3, 0xffff
	s_delay_alu instid0(SALU_CYCLE_1)
	s_lshl_b32 s19, s17, 2
	s_branch .LBB135_8
.LBB135_7:                              ;   in Loop: Header=BB135_8 Depth=1
	v_add_nc_u32_e32 v1, s17, v1
	v_add_nc_u32_e32 v4, s19, v4
	s_delay_alu instid0(VALU_DEP_2) | instskip(SKIP_1) | instid1(SALU_CYCLE_1)
	v_cmp_le_i32_e32 vcc_lo, s12, v1
	s_or_b32 s18, vcc_lo, s18
	s_and_not1_b32 exec_lo, exec_lo, s18
	s_cbranch_execz .LBB135_10
.LBB135_8:                              ; =>This Inner Loop Header: Depth=1
	v_ashrrev_i32_e32 v2, 31, v1
	s_delay_alu instid0(VALU_DEP_1) | instskip(NEXT) | instid1(VALU_DEP_1)
	v_lshlrev_b64 v[5:6], 1, v[1:2]
	v_add_co_u32 v5, vcc_lo, s4, v5
	s_delay_alu instid0(VALU_DEP_2) | instskip(SKIP_3) | instid1(VALU_DEP_1)
	v_add_co_ci_u32_e32 v6, vcc_lo, s5, v6, vcc_lo
	global_load_u16 v5, v[5:6], off
	s_waitcnt vmcnt(0)
	v_cvt_f32_f16_e32 v6, v5
	v_mul_f32_e32 v7, 0x3fb8aa3b, v6
	s_delay_alu instid0(VALU_DEP_1) | instskip(SKIP_2) | instid1(VALU_DEP_2)
	v_cmp_gt_f32_e32 vcc_lo, 0xc2fc0000, v7
	v_cndmask_b32_e64 v7, 0, 0x42800000, vcc_lo
	v_cndmask_b32_e64 v8, 1.0, 0x1f800000, vcc_lo
	v_fma_mix_f32 v7, v5, s20, v7 op_sel_hi:[1,0,0]
	s_delay_alu instid0(VALU_DEP_1) | instskip(SKIP_2) | instid1(VALU_DEP_1)
	v_exp_f32_e32 v7, v7
	s_waitcnt_depctr 0xfff
	v_fma_f32 v7, v7, v8, 1.0
	v_cmp_gt_f32_e32 vcc_lo, 0x800000, v7
	v_cndmask_b32_e64 v8, 1.0, 0x4f800000, vcc_lo
	s_delay_alu instid0(VALU_DEP_1) | instskip(SKIP_2) | instid1(VALU_DEP_3)
	v_mul_f32_e32 v7, v7, v8
	v_cndmask_b32_e64 v8, 0, 0x42000000, vcc_lo
	v_cmp_lt_f16_e32 vcc_lo, 0x4d00, v5
	v_log_f32_e32 v7, v7
	s_waitcnt_depctr 0xfff
	v_sub_f32_e32 v7, v7, v8
	s_delay_alu instid0(VALU_DEP_1) | instskip(NEXT) | instid1(VALU_DEP_1)
	v_mul_f32_e32 v7, 0x3f317218, v7
	v_cndmask_b32_e32 v5, v7, v6, vcc_lo
	s_delay_alu instid0(VALU_DEP_1) | instskip(SKIP_1) | instid1(VALU_DEP_2)
	v_mul_f32_e32 v6, 0x4f800000, v5
	v_cmp_gt_f32_e32 vcc_lo, 0xf800000, v5
	v_cndmask_b32_e32 v5, v5, v6, vcc_lo
	s_delay_alu instid0(VALU_DEP_1) | instskip(SKIP_3) | instid1(VALU_DEP_2)
	v_sqrt_f32_e32 v6, v5
	s_waitcnt_depctr 0xfff
	v_add_nc_u32_e32 v7, -1, v6
	v_add_nc_u32_e32 v8, 1, v6
	v_fma_f32 v9, -v7, v6, v5
	s_delay_alu instid0(VALU_DEP_2) | instskip(NEXT) | instid1(VALU_DEP_2)
	v_fma_f32 v10, -v8, v6, v5
	v_cmp_ge_f32_e64 s3, 0, v9
	s_delay_alu instid0(VALU_DEP_1) | instskip(NEXT) | instid1(VALU_DEP_3)
	v_cndmask_b32_e64 v6, v6, v7, s3
	v_cmp_lt_f32_e64 s3, 0, v10
	s_delay_alu instid0(VALU_DEP_1) | instskip(NEXT) | instid1(VALU_DEP_1)
	v_cndmask_b32_e64 v6, v6, v8, s3
	v_mul_f32_e32 v7, 0x37800000, v6
	s_delay_alu instid0(VALU_DEP_1) | instskip(SKIP_1) | instid1(VALU_DEP_2)
	v_cndmask_b32_e32 v6, v6, v7, vcc_lo
	v_cmp_class_f32_e64 vcc_lo, v5, 0x260
	v_cndmask_b32_e32 v5, v6, v5, vcc_lo
	s_and_not1_b32 vcc_lo, exec_lo, s16
	ds_store_b32 v4, v5
	s_cbranch_vccnz .LBB135_7
; %bb.9:                                ;   in Loop: Header=BB135_8 Depth=1
	v_lshlrev_b64 v[6:7], 2, v[1:2]
	s_delay_alu instid0(VALU_DEP_1) | instskip(NEXT) | instid1(VALU_DEP_2)
	v_add_co_u32 v6, vcc_lo, s6, v6
	v_add_co_ci_u32_e32 v7, vcc_lo, s7, v7, vcc_lo
	global_load_b32 v2, v[6:7], off
	s_waitcnt vmcnt(0)
	v_add_f32_e32 v2, v5, v2
	ds_store_b32 v4, v2
	s_branch .LBB135_7
.LBB135_10:
	s_or_b32 exec_lo, exec_lo, s14
	v_mov_b32_e32 v2, 0
	s_cmp_lt_i32 s13, 1
	s_waitcnt lgkmcnt(0)
	s_barrier
	buffer_gl0_inv
	s_cbranch_scc1 .LBB135_19
; %bb.11:
	s_add_u32 s4, s0, 56
	s_addc_u32 s5, s1, 0
	v_dual_mov_b32 v2, 0 :: v_dual_mov_b32 v5, 0xff800000
	v_dual_mov_b32 v1, 0 :: v_dual_mov_b32 v4, 0
	s_cmp_lg_u64 s[6:7], 0
	s_mov_b32 s14, 0
	s_cselect_b32 s3, -1, 0
	s_mov_b32 s18, 0x76543210
	s_branch .LBB135_13
.LBB135_12:                             ;   in Loop: Header=BB135_13 Depth=1
	v_cmp_eq_u32_e32 vcc_lo, s14, v0
	s_delay_alu instid0(VALU_DEP_2) | instskip(NEXT) | instid1(VALU_DEP_2)
	s_lshl_b32 s17, s16, 2
	v_add_f32_e32 v4, v4, v8
	s_add_i32 s17, s17, 0
	s_add_i32 s14, s14, 1
	v_cndmask_b32_e64 v1, v1, s16, vcc_lo
	v_mov_b32_e32 v6, s17
	v_cndmask_b32_e32 v2, v2, v8, vcc_lo
	s_cmp_eq_u32 s14, s13
	ds_store_b32 v6, v5
	s_cbranch_scc1 .LBB135_20
.LBB135_13:                             ; =>This Loop Header: Depth=1
                                        ;     Child Loop BB135_15 Depth 2
	v_dual_mov_b32 v6, s14 :: v_dual_mov_b32 v7, 0xff800000
	s_and_saveexec_b32 s16, s2
	s_cbranch_execz .LBB135_17
; %bb.14:                               ;   in Loop: Header=BB135_13 Depth=1
	s_load_b32 s17, s[4:5], 0xc
	v_dual_mov_b32 v6, s14 :: v_dual_mov_b32 v7, 0xff800000
	v_dual_mov_b32 v8, v3 :: v_dual_mov_b32 v9, v0
	s_mov_b32 s19, 0
	s_waitcnt lgkmcnt(0)
	s_and_b32 s17, s17, 0xffff
	s_delay_alu instid0(SALU_CYCLE_1)
	s_lshl_b32 s20, s17, 2
.LBB135_15:                             ;   Parent Loop BB135_13 Depth=1
                                        ; =>  This Inner Loop Header: Depth=2
	ds_load_b32 v10, v8
	v_add_nc_u32_e32 v8, s20, v8
	s_waitcnt lgkmcnt(0)
	v_cmp_gt_f32_e32 vcc_lo, v10, v7
	v_dual_cndmask_b32 v7, v7, v10 :: v_dual_cndmask_b32 v6, v6, v9
	v_add_nc_u32_e32 v9, s17, v9
	s_delay_alu instid0(VALU_DEP_1) | instskip(SKIP_1) | instid1(SALU_CYCLE_1)
	v_cmp_le_i32_e32 vcc_lo, s12, v9
	s_or_b32 s19, vcc_lo, s19
	s_and_not1_b32 exec_lo, exec_lo, s19
	s_cbranch_execnz .LBB135_15
; %bb.16:                               ;   in Loop: Header=BB135_13 Depth=1
	s_or_b32 exec_lo, exec_lo, s19
.LBB135_17:                             ;   in Loop: Header=BB135_13 Depth=1
	s_delay_alu instid0(SALU_CYCLE_1)
	s_or_b32 exec_lo, exec_lo, s16
	;;#ASMSTART
	v_max_f32 v8, v7, v7 quad_perm:[1,0,3,2] row_mask:0xf bank_mask:0xf bound_ctrl:1
	;;#ASMEND
	;;#ASMSTART
	v_max_f32 v9, v8, v8 quad_perm:[2,3,0,1] row_mask:0xf bank_mask:0xf bound_ctrl:1
	;;#ASMEND
	;;#ASMSTART
	v_max_f32 v8, v9, v9 row_half_mirror row_mask:0xf bank_mask:0xf bound_ctrl:1
	;;#ASMEND
	;;#ASMSTART
	v_max_f32 v9, v8, v8 row_mirror row_mask:0xf bank_mask:0xf bound_ctrl:1
	;;#ASMEND
	v_permlanex16_b32 v8, v9, s18, 0xfedcba98 op_sel:[1,1]
	s_delay_alu instid0(VALU_DEP_1) | instskip(NEXT) | instid1(VALU_DEP_1)
	v_dual_max_f32 v9, v9, v9 :: v_dual_max_f32 v8, v8, v8
	v_max_f32_e32 v8, v9, v8
	s_delay_alu instid0(VALU_DEP_1)
	v_cmp_eq_f32_e32 vcc_lo, v7, v8
	s_ctz_i32_b32 s16, vcc_lo
	s_cmp_lg_u32 vcc_lo, 0
	s_cselect_b32 s16, s16, 0
	s_and_b32 vcc_lo, exec_lo, s3
	v_readlane_b32 s16, v6, s16
	s_cbranch_vccz .LBB135_12
; %bb.18:                               ;   in Loop: Header=BB135_13 Depth=1
	s_delay_alu instid0(VALU_DEP_1) | instskip(NEXT) | instid1(SALU_CYCLE_1)
	s_ashr_i32 s17, s16, 31
	s_lshl_b64 s[20:21], s[16:17], 2
	s_delay_alu instid0(SALU_CYCLE_1)
	s_add_u32 s20, s6, s20
	s_addc_u32 s21, s7, s21
	s_load_b32 s17, s[20:21], 0x0
	s_waitcnt lgkmcnt(0)
	v_subrev_f32_e32 v8, s17, v8
	s_branch .LBB135_12
.LBB135_19:
	v_dual_mov_b32 v1, 0 :: v_dual_mov_b32 v4, 0
.LBB135_20:
	s_mov_b32 s2, exec_lo
	v_cmpx_gt_i32_e64 s13, v0
	s_cbranch_execz .LBB135_23
; %bb.21:
	s_clause 0x1
	s_load_b32 s2, s[0:1], 0x34
	s_load_b32 s3, s[0:1], 0x44
	v_max_f32_e32 v3, v4, v4
	s_load_b64 s[0:1], s[0:1], 0x20
	s_ashr_i32 s4, s15, 31
	s_delay_alu instid0(VALU_DEP_1) | instskip(SKIP_1) | instid1(VALU_DEP_1)
	v_max_f32_e32 v3, 0x1e3ce508, v3
	s_waitcnt lgkmcnt(0)
	v_div_scale_f32 v4, null, v3, v3, s2
	v_div_scale_f32 v7, vcc_lo, s2, v3, s2
	s_mul_i32 s1, s15, s1
	s_delay_alu instid0(VALU_DEP_2) | instskip(SKIP_4) | instid1(VALU_DEP_1)
	v_rcp_f32_e32 v5, v4
	s_mul_i32 s4, s4, s0
	s_and_b32 s3, s3, 0xffff
	s_waitcnt_depctr 0xfff
	v_fma_f32 v6, -v4, v5, 1.0
	v_fmac_f32_e32 v5, v6, v5
	s_delay_alu instid0(VALU_DEP_1) | instskip(NEXT) | instid1(VALU_DEP_1)
	v_mul_f32_e32 v6, v7, v5
	v_fma_f32 v8, -v4, v6, v7
	s_delay_alu instid0(VALU_DEP_1) | instskip(NEXT) | instid1(VALU_DEP_1)
	v_fmac_f32_e32 v6, v8, v5
	v_fma_f32 v4, -v4, v6, v7
	s_delay_alu instid0(VALU_DEP_1) | instskip(NEXT) | instid1(VALU_DEP_1)
	v_div_fmas_f32 v4, v4, v5, v6
	v_div_fixup_f32 v3, v4, v3, s2
	s_mul_hi_u32 s2, s15, s0
	s_delay_alu instid0(SALU_CYCLE_1) | instskip(SKIP_1) | instid1(VALU_DEP_1)
	s_add_i32 s1, s2, s1
	s_mul_i32 s2, s15, s0
	v_mul_f32_e32 v2, v2, v3
	s_add_i32 s1, s1, s4
	s_mov_b32 s4, 0
	.p2align	6
.LBB135_22:                             ; =>This Inner Loop Header: Depth=1
	v_ashrrev_i32_e32 v4, 31, v0
	v_add_co_u32 v3, vcc_lo, s2, v0
	v_add_nc_u32_e32 v0, s3, v0
	s_delay_alu instid0(VALU_DEP_3) | instskip(NEXT) | instid1(VALU_DEP_2)
	v_add_co_ci_u32_e32 v4, vcc_lo, s1, v4, vcc_lo
	v_cmp_le_i32_e32 vcc_lo, s13, v0
	s_delay_alu instid0(VALU_DEP_2) | instskip(SKIP_1) | instid1(VALU_DEP_1)
	v_lshlrev_b64 v[3:4], 2, v[3:4]
	s_or_b32 s4, vcc_lo, s4
	v_add_co_u32 v5, s0, s8, v3
	s_delay_alu instid0(VALU_DEP_1) | instskip(SKIP_1) | instid1(VALU_DEP_1)
	v_add_co_ci_u32_e64 v6, s0, s9, v4, s0
	v_add_co_u32 v3, s0, s10, v3
	v_add_co_ci_u32_e64 v4, s0, s11, v4, s0
	global_store_b32 v[5:6], v2, off
	global_store_b32 v[3:4], v1, off
	s_and_not1_b32 exec_lo, exec_lo, s4
	s_cbranch_execnz .LBB135_22
.LBB135_23:
	s_nop 0
	s_sendmsg sendmsg(MSG_DEALLOC_VGPRS)
	s_endpgm
	.section	.rodata,"a",@progbits
	.p2align	6, 0x0
	.amdhsa_kernel _ZN5aiter20topk_softplus_kernelI6__halffDv1_fLb1ELi0EEEvPKT_PKT0_PfPimiiif
		.amdhsa_group_segment_fixed_size 0
		.amdhsa_private_segment_fixed_size 0
		.amdhsa_kernarg_size 312
		.amdhsa_user_sgpr_count 15
		.amdhsa_user_sgpr_dispatch_ptr 0
		.amdhsa_user_sgpr_queue_ptr 0
		.amdhsa_user_sgpr_kernarg_segment_ptr 1
		.amdhsa_user_sgpr_dispatch_id 0
		.amdhsa_user_sgpr_private_segment_size 0
		.amdhsa_wavefront_size32 1
		.amdhsa_uses_dynamic_stack 0
		.amdhsa_enable_private_segment 0
		.amdhsa_system_sgpr_workgroup_id_x 1
		.amdhsa_system_sgpr_workgroup_id_y 0
		.amdhsa_system_sgpr_workgroup_id_z 0
		.amdhsa_system_sgpr_workgroup_info 0
		.amdhsa_system_vgpr_workitem_id 0
		.amdhsa_next_free_vgpr 11
		.amdhsa_next_free_sgpr 22
		.amdhsa_reserve_vcc 1
		.amdhsa_float_round_mode_32 0
		.amdhsa_float_round_mode_16_64 0
		.amdhsa_float_denorm_mode_32 3
		.amdhsa_float_denorm_mode_16_64 3
		.amdhsa_dx10_clamp 1
		.amdhsa_ieee_mode 1
		.amdhsa_fp16_overflow 0
		.amdhsa_workgroup_processor_mode 1
		.amdhsa_memory_ordered 1
		.amdhsa_forward_progress 0
		.amdhsa_shared_vgpr_count 0
		.amdhsa_exception_fp_ieee_invalid_op 0
		.amdhsa_exception_fp_denorm_src 0
		.amdhsa_exception_fp_ieee_div_zero 0
		.amdhsa_exception_fp_ieee_overflow 0
		.amdhsa_exception_fp_ieee_underflow 0
		.amdhsa_exception_fp_ieee_inexact 0
		.amdhsa_exception_int_div_zero 0
	.end_amdhsa_kernel
	.section	.text._ZN5aiter20topk_softplus_kernelI6__halffDv1_fLb1ELi0EEEvPKT_PKT0_PfPimiiif,"axG",@progbits,_ZN5aiter20topk_softplus_kernelI6__halffDv1_fLb1ELi0EEEvPKT_PKT0_PfPimiiif,comdat
.Lfunc_end135:
	.size	_ZN5aiter20topk_softplus_kernelI6__halffDv1_fLb1ELi0EEEvPKT_PKT0_PfPimiiif, .Lfunc_end135-_ZN5aiter20topk_softplus_kernelI6__halffDv1_fLb1ELi0EEEvPKT_PKT0_PfPimiiif
                                        ; -- End function
	.section	.AMDGPU.csdata,"",@progbits
; Kernel info:
; codeLenInByte = 1864
; NumSgprs: 24
; NumVgprs: 11
; ScratchSize: 0
; MemoryBound: 0
; FloatMode: 240
; IeeeMode: 1
; LDSByteSize: 0 bytes/workgroup (compile time only)
; SGPRBlocks: 2
; VGPRBlocks: 1
; NumSGPRsForWavesPerEU: 24
; NumVGPRsForWavesPerEU: 11
; Occupancy: 16
; WaveLimiterHint : 0
; COMPUTE_PGM_RSRC2:SCRATCH_EN: 0
; COMPUTE_PGM_RSRC2:USER_SGPR: 15
; COMPUTE_PGM_RSRC2:TRAP_HANDLER: 0
; COMPUTE_PGM_RSRC2:TGID_X_EN: 1
; COMPUTE_PGM_RSRC2:TGID_Y_EN: 0
; COMPUTE_PGM_RSRC2:TGID_Z_EN: 0
; COMPUTE_PGM_RSRC2:TIDIG_COMP_CNT: 0
	.section	.text._ZN5aiter20topk_softplus_kernelI6__halffDv1_fLb0ELi0EEEvPKT_PKT0_PfPimiiif,"axG",@progbits,_ZN5aiter20topk_softplus_kernelI6__halffDv1_fLb0ELi0EEEvPKT_PKT0_PfPimiiif,comdat
	.protected	_ZN5aiter20topk_softplus_kernelI6__halffDv1_fLb0ELi0EEEvPKT_PKT0_PfPimiiif ; -- Begin function _ZN5aiter20topk_softplus_kernelI6__halffDv1_fLb0ELi0EEEvPKT_PKT0_PfPimiiif
	.globl	_ZN5aiter20topk_softplus_kernelI6__halffDv1_fLb0ELi0EEEvPKT_PKT0_PfPimiiif
	.p2align	8
	.type	_ZN5aiter20topk_softplus_kernelI6__halffDv1_fLb0ELi0EEEvPKT_PKT0_PfPimiiif,@function
_ZN5aiter20topk_softplus_kernelI6__halffDv1_fLb0ELi0EEEvPKT_PKT0_PfPimiiif: ; @_ZN5aiter20topk_softplus_kernelI6__halffDv1_fLb0ELi0EEEvPKT_PKT0_PfPimiiif
; %bb.0:
	s_clause 0x1
	s_load_b64 s[12:13], s[0:1], 0x28
	s_load_b256 s[4:11], s[0:1], 0x0
	v_lshl_add_u32 v3, v0, 2, 0
	s_waitcnt lgkmcnt(0)
	s_mul_i32 s16, s15, s12
	v_cmp_gt_i32_e64 s2, s12, v0
	s_ashr_i32 s17, s16, 31
	s_delay_alu instid0(SALU_CYCLE_1) | instskip(NEXT) | instid1(SALU_CYCLE_1)
	s_lshl_b64 s[16:17], s[16:17], 1
	s_add_u32 s4, s4, s16
	s_addc_u32 s5, s5, s17
	s_and_saveexec_b32 s14, s2
	s_cbranch_execz .LBB136_5
; %bb.1:
	s_load_b32 s3, s[0:1], 0x44
	s_cmp_lg_u64 s[6:7], 0
	v_lshl_add_u32 v4, v0, 2, 0
	v_mov_b32_e32 v1, v0
	s_cselect_b32 s16, -1, 0
	s_mov_b32 s18, 0
	s_mov_b32 s20, 0x3fb8aa3b
	s_waitcnt lgkmcnt(0)
	s_and_b32 s17, s3, 0xffff
	s_delay_alu instid0(SALU_CYCLE_1)
	s_lshl_b32 s19, s17, 2
	s_branch .LBB136_3
.LBB136_2:                              ;   in Loop: Header=BB136_3 Depth=1
	v_add_nc_u32_e32 v1, s17, v1
	ds_store_b32 v4, v5
	v_add_nc_u32_e32 v4, s19, v4
	v_cmp_le_i32_e32 vcc_lo, s12, v1
	s_or_b32 s18, vcc_lo, s18
	s_delay_alu instid0(SALU_CYCLE_1)
	s_and_not1_b32 exec_lo, exec_lo, s18
	s_cbranch_execz .LBB136_5
.LBB136_3:                              ; =>This Inner Loop Header: Depth=1
	v_ashrrev_i32_e32 v2, 31, v1
	s_delay_alu instid0(VALU_DEP_1) | instskip(NEXT) | instid1(VALU_DEP_1)
	v_lshlrev_b64 v[5:6], 1, v[1:2]
	v_add_co_u32 v5, vcc_lo, s4, v5
	s_delay_alu instid0(VALU_DEP_2) | instskip(SKIP_3) | instid1(VALU_DEP_1)
	v_add_co_ci_u32_e32 v6, vcc_lo, s5, v6, vcc_lo
	global_load_u16 v5, v[5:6], off
	s_waitcnt vmcnt(0)
	v_cvt_f32_f16_e32 v6, v5
	v_mul_f32_e32 v7, 0x3fb8aa3b, v6
	s_delay_alu instid0(VALU_DEP_1) | instskip(SKIP_2) | instid1(VALU_DEP_2)
	v_cmp_gt_f32_e32 vcc_lo, 0xc2fc0000, v7
	v_cndmask_b32_e64 v7, 0, 0x42800000, vcc_lo
	v_cndmask_b32_e64 v8, 1.0, 0x1f800000, vcc_lo
	v_fma_mix_f32 v7, v5, s20, v7 op_sel_hi:[1,0,0]
	s_delay_alu instid0(VALU_DEP_1) | instskip(SKIP_2) | instid1(VALU_DEP_1)
	v_exp_f32_e32 v7, v7
	s_waitcnt_depctr 0xfff
	v_fma_f32 v7, v7, v8, 1.0
	v_cmp_gt_f32_e32 vcc_lo, 0x800000, v7
	v_cndmask_b32_e64 v8, 1.0, 0x4f800000, vcc_lo
	s_delay_alu instid0(VALU_DEP_1) | instskip(SKIP_2) | instid1(VALU_DEP_3)
	v_mul_f32_e32 v7, v7, v8
	v_cndmask_b32_e64 v8, 0, 0x42000000, vcc_lo
	v_cmp_lt_f16_e32 vcc_lo, 0x4d00, v5
	v_log_f32_e32 v7, v7
	s_waitcnt_depctr 0xfff
	v_sub_f32_e32 v7, v7, v8
	s_delay_alu instid0(VALU_DEP_1) | instskip(NEXT) | instid1(VALU_DEP_1)
	v_mul_f32_e32 v7, 0x3f317218, v7
	v_cndmask_b32_e32 v5, v7, v6, vcc_lo
	s_delay_alu instid0(VALU_DEP_1) | instskip(SKIP_1) | instid1(VALU_DEP_2)
	v_mul_f32_e32 v6, 0x4f800000, v5
	v_cmp_gt_f32_e32 vcc_lo, 0xf800000, v5
	v_cndmask_b32_e32 v5, v5, v6, vcc_lo
	s_delay_alu instid0(VALU_DEP_1) | instskip(SKIP_3) | instid1(VALU_DEP_2)
	v_sqrt_f32_e32 v6, v5
	s_waitcnt_depctr 0xfff
	v_add_nc_u32_e32 v7, -1, v6
	v_add_nc_u32_e32 v8, 1, v6
	v_fma_f32 v9, -v7, v6, v5
	s_delay_alu instid0(VALU_DEP_2) | instskip(NEXT) | instid1(VALU_DEP_2)
	v_fma_f32 v10, -v8, v6, v5
	v_cmp_ge_f32_e64 s3, 0, v9
	s_delay_alu instid0(VALU_DEP_1) | instskip(NEXT) | instid1(VALU_DEP_3)
	v_cndmask_b32_e64 v6, v6, v7, s3
	v_cmp_lt_f32_e64 s3, 0, v10
	s_delay_alu instid0(VALU_DEP_1) | instskip(NEXT) | instid1(VALU_DEP_1)
	v_cndmask_b32_e64 v6, v6, v8, s3
	v_mul_f32_e32 v7, 0x37800000, v6
	s_delay_alu instid0(VALU_DEP_1) | instskip(SKIP_1) | instid1(VALU_DEP_2)
	v_cndmask_b32_e32 v6, v6, v7, vcc_lo
	v_cmp_class_f32_e64 vcc_lo, v5, 0x260
	v_cndmask_b32_e32 v5, v6, v5, vcc_lo
	s_and_not1_b32 vcc_lo, exec_lo, s16
	s_cbranch_vccnz .LBB136_2
; %bb.4:                                ;   in Loop: Header=BB136_3 Depth=1
	v_lshlrev_b64 v[6:7], 2, v[1:2]
	s_delay_alu instid0(VALU_DEP_1) | instskip(NEXT) | instid1(VALU_DEP_2)
	v_add_co_u32 v6, vcc_lo, s6, v6
	v_add_co_ci_u32_e32 v7, vcc_lo, s7, v7, vcc_lo
	global_load_b32 v2, v[6:7], off
	s_waitcnt vmcnt(0)
	v_add_f32_e32 v5, v5, v2
	s_branch .LBB136_2
.LBB136_5:
	s_or_b32 exec_lo, exec_lo, s14
	v_add_nc_u32_e32 v1, s12, v0
	s_mov_b32 s14, exec_lo
	s_delay_alu instid0(VALU_DEP_1)
	v_cmpx_gt_i32_e64 s12, v1
	s_cbranch_execz .LBB136_10
; %bb.6:
	s_load_b32 s3, s[0:1], 0x44
	s_cmp_lg_u64 s[6:7], 0
	v_lshl_add_u32 v4, v1, 2, 0
	s_cselect_b32 s16, -1, 0
	s_mov_b32 s18, 0
	s_mov_b32 s20, 0x3fb8aa3b
	s_waitcnt lgkmcnt(0)
	s_and_b32 s17, s3, 0xffff
	s_delay_alu instid0(SALU_CYCLE_1)
	s_lshl_b32 s19, s17, 2
	s_branch .LBB136_8
.LBB136_7:                              ;   in Loop: Header=BB136_8 Depth=1
	v_add_nc_u32_e32 v1, s17, v1
	v_add_nc_u32_e32 v4, s19, v4
	s_delay_alu instid0(VALU_DEP_2) | instskip(SKIP_1) | instid1(SALU_CYCLE_1)
	v_cmp_le_i32_e32 vcc_lo, s12, v1
	s_or_b32 s18, vcc_lo, s18
	s_and_not1_b32 exec_lo, exec_lo, s18
	s_cbranch_execz .LBB136_10
.LBB136_8:                              ; =>This Inner Loop Header: Depth=1
	v_ashrrev_i32_e32 v2, 31, v1
	s_delay_alu instid0(VALU_DEP_1) | instskip(NEXT) | instid1(VALU_DEP_1)
	v_lshlrev_b64 v[5:6], 1, v[1:2]
	v_add_co_u32 v5, vcc_lo, s4, v5
	s_delay_alu instid0(VALU_DEP_2) | instskip(SKIP_3) | instid1(VALU_DEP_1)
	v_add_co_ci_u32_e32 v6, vcc_lo, s5, v6, vcc_lo
	global_load_u16 v5, v[5:6], off
	s_waitcnt vmcnt(0)
	v_cvt_f32_f16_e32 v6, v5
	v_mul_f32_e32 v7, 0x3fb8aa3b, v6
	s_delay_alu instid0(VALU_DEP_1) | instskip(SKIP_2) | instid1(VALU_DEP_2)
	v_cmp_gt_f32_e32 vcc_lo, 0xc2fc0000, v7
	v_cndmask_b32_e64 v7, 0, 0x42800000, vcc_lo
	v_cndmask_b32_e64 v8, 1.0, 0x1f800000, vcc_lo
	v_fma_mix_f32 v7, v5, s20, v7 op_sel_hi:[1,0,0]
	s_delay_alu instid0(VALU_DEP_1) | instskip(SKIP_2) | instid1(VALU_DEP_1)
	v_exp_f32_e32 v7, v7
	s_waitcnt_depctr 0xfff
	v_fma_f32 v7, v7, v8, 1.0
	v_cmp_gt_f32_e32 vcc_lo, 0x800000, v7
	v_cndmask_b32_e64 v8, 1.0, 0x4f800000, vcc_lo
	s_delay_alu instid0(VALU_DEP_1) | instskip(SKIP_2) | instid1(VALU_DEP_3)
	v_mul_f32_e32 v7, v7, v8
	v_cndmask_b32_e64 v8, 0, 0x42000000, vcc_lo
	v_cmp_lt_f16_e32 vcc_lo, 0x4d00, v5
	v_log_f32_e32 v7, v7
	s_waitcnt_depctr 0xfff
	v_sub_f32_e32 v7, v7, v8
	s_delay_alu instid0(VALU_DEP_1) | instskip(NEXT) | instid1(VALU_DEP_1)
	v_mul_f32_e32 v7, 0x3f317218, v7
	v_cndmask_b32_e32 v5, v7, v6, vcc_lo
	s_delay_alu instid0(VALU_DEP_1) | instskip(SKIP_1) | instid1(VALU_DEP_2)
	v_mul_f32_e32 v6, 0x4f800000, v5
	v_cmp_gt_f32_e32 vcc_lo, 0xf800000, v5
	v_cndmask_b32_e32 v5, v5, v6, vcc_lo
	s_delay_alu instid0(VALU_DEP_1) | instskip(SKIP_3) | instid1(VALU_DEP_2)
	v_sqrt_f32_e32 v6, v5
	s_waitcnt_depctr 0xfff
	v_add_nc_u32_e32 v7, -1, v6
	v_add_nc_u32_e32 v8, 1, v6
	v_fma_f32 v9, -v7, v6, v5
	s_delay_alu instid0(VALU_DEP_2) | instskip(NEXT) | instid1(VALU_DEP_2)
	v_fma_f32 v10, -v8, v6, v5
	v_cmp_ge_f32_e64 s3, 0, v9
	s_delay_alu instid0(VALU_DEP_1) | instskip(NEXT) | instid1(VALU_DEP_3)
	v_cndmask_b32_e64 v6, v6, v7, s3
	v_cmp_lt_f32_e64 s3, 0, v10
	s_delay_alu instid0(VALU_DEP_1) | instskip(NEXT) | instid1(VALU_DEP_1)
	v_cndmask_b32_e64 v6, v6, v8, s3
	v_mul_f32_e32 v7, 0x37800000, v6
	s_delay_alu instid0(VALU_DEP_1) | instskip(SKIP_1) | instid1(VALU_DEP_2)
	v_cndmask_b32_e32 v6, v6, v7, vcc_lo
	v_cmp_class_f32_e64 vcc_lo, v5, 0x260
	v_cndmask_b32_e32 v5, v6, v5, vcc_lo
	s_and_not1_b32 vcc_lo, exec_lo, s16
	ds_store_b32 v4, v5
	s_cbranch_vccnz .LBB136_7
; %bb.9:                                ;   in Loop: Header=BB136_8 Depth=1
	v_lshlrev_b64 v[6:7], 2, v[1:2]
	s_delay_alu instid0(VALU_DEP_1) | instskip(NEXT) | instid1(VALU_DEP_2)
	v_add_co_u32 v6, vcc_lo, s6, v6
	v_add_co_ci_u32_e32 v7, vcc_lo, s7, v7, vcc_lo
	global_load_b32 v2, v[6:7], off
	s_waitcnt vmcnt(0)
	v_add_f32_e32 v2, v5, v2
	ds_store_b32 v4, v2
	s_branch .LBB136_7
.LBB136_10:
	s_or_b32 exec_lo, exec_lo, s14
	s_cmp_lt_i32 s13, 1
	s_waitcnt lgkmcnt(0)
	s_barrier
	buffer_gl0_inv
	s_cbranch_scc1 .LBB136_19
; %bb.11:
	s_add_u32 s4, s0, 56
	s_addc_u32 s5, s1, 0
	v_dual_mov_b32 v2, 0 :: v_dual_mov_b32 v1, 0
	v_mov_b32_e32 v4, 0xff800000
	s_cmp_lg_u64 s[6:7], 0
	s_mov_b32 s14, 0
	s_cselect_b32 s3, -1, 0
	s_mov_b32 s18, 0x76543210
	s_branch .LBB136_13
.LBB136_12:                             ;   in Loop: Header=BB136_13 Depth=1
	v_cmp_eq_u32_e32 vcc_lo, s14, v0
	s_delay_alu instid0(VALU_DEP_2)
	s_lshl_b32 s17, s16, 2
	s_add_i32 s14, s14, 1
	s_add_i32 s17, s17, 0
	s_cmp_eq_u32 s14, s13
	v_cndmask_b32_e64 v1, v1, s16, vcc_lo
	v_dual_mov_b32 v5, s17 :: v_dual_cndmask_b32 v2, v2, v7
	ds_store_b32 v5, v4
	s_cbranch_scc1 .LBB136_20
.LBB136_13:                             ; =>This Loop Header: Depth=1
                                        ;     Child Loop BB136_15 Depth 2
	v_dual_mov_b32 v5, s14 :: v_dual_mov_b32 v6, 0xff800000
	s_and_saveexec_b32 s16, s2
	s_cbranch_execz .LBB136_17
; %bb.14:                               ;   in Loop: Header=BB136_13 Depth=1
	s_load_b32 s17, s[4:5], 0xc
	v_dual_mov_b32 v5, s14 :: v_dual_mov_b32 v6, 0xff800000
	v_dual_mov_b32 v7, v3 :: v_dual_mov_b32 v8, v0
	s_mov_b32 s19, 0
	s_waitcnt lgkmcnt(0)
	s_and_b32 s17, s17, 0xffff
	s_delay_alu instid0(SALU_CYCLE_1)
	s_lshl_b32 s20, s17, 2
.LBB136_15:                             ;   Parent Loop BB136_13 Depth=1
                                        ; =>  This Inner Loop Header: Depth=2
	ds_load_b32 v9, v7
	v_add_nc_u32_e32 v7, s20, v7
	s_waitcnt lgkmcnt(0)
	v_cmp_gt_f32_e32 vcc_lo, v9, v6
	v_dual_cndmask_b32 v6, v6, v9 :: v_dual_cndmask_b32 v5, v5, v8
	v_add_nc_u32_e32 v8, s17, v8
	s_delay_alu instid0(VALU_DEP_1) | instskip(SKIP_1) | instid1(SALU_CYCLE_1)
	v_cmp_le_i32_e32 vcc_lo, s12, v8
	s_or_b32 s19, vcc_lo, s19
	s_and_not1_b32 exec_lo, exec_lo, s19
	s_cbranch_execnz .LBB136_15
; %bb.16:                               ;   in Loop: Header=BB136_13 Depth=1
	s_or_b32 exec_lo, exec_lo, s19
.LBB136_17:                             ;   in Loop: Header=BB136_13 Depth=1
	s_delay_alu instid0(SALU_CYCLE_1)
	s_or_b32 exec_lo, exec_lo, s16
	;;#ASMSTART
	v_max_f32 v7, v6, v6 quad_perm:[1,0,3,2] row_mask:0xf bank_mask:0xf bound_ctrl:1
	;;#ASMEND
	;;#ASMSTART
	v_max_f32 v8, v7, v7 quad_perm:[2,3,0,1] row_mask:0xf bank_mask:0xf bound_ctrl:1
	;;#ASMEND
	;;#ASMSTART
	v_max_f32 v7, v8, v8 row_half_mirror row_mask:0xf bank_mask:0xf bound_ctrl:1
	;;#ASMEND
	;;#ASMSTART
	v_max_f32 v8, v7, v7 row_mirror row_mask:0xf bank_mask:0xf bound_ctrl:1
	;;#ASMEND
	v_permlanex16_b32 v7, v8, s18, 0xfedcba98 op_sel:[1,1]
	s_delay_alu instid0(VALU_DEP_1) | instskip(NEXT) | instid1(VALU_DEP_1)
	v_dual_max_f32 v8, v8, v8 :: v_dual_max_f32 v7, v7, v7
	v_max_f32_e32 v7, v8, v7
	s_delay_alu instid0(VALU_DEP_1)
	v_cmp_eq_f32_e32 vcc_lo, v6, v7
	s_ctz_i32_b32 s16, vcc_lo
	s_cmp_lg_u32 vcc_lo, 0
	s_cselect_b32 s16, s16, 0
	s_and_b32 vcc_lo, exec_lo, s3
	v_readlane_b32 s16, v5, s16
	s_cbranch_vccz .LBB136_12
; %bb.18:                               ;   in Loop: Header=BB136_13 Depth=1
	s_delay_alu instid0(VALU_DEP_1) | instskip(NEXT) | instid1(SALU_CYCLE_1)
	s_ashr_i32 s17, s16, 31
	s_lshl_b64 s[20:21], s[16:17], 2
	s_delay_alu instid0(SALU_CYCLE_1)
	s_add_u32 s20, s6, s20
	s_addc_u32 s21, s7, s21
	s_load_b32 s17, s[20:21], 0x0
	s_waitcnt lgkmcnt(0)
	v_subrev_f32_e32 v7, s17, v7
	s_branch .LBB136_12
.LBB136_19:
	v_dual_mov_b32 v2, 0 :: v_dual_mov_b32 v1, 0
.LBB136_20:
	s_mov_b32 s2, exec_lo
	v_cmpx_gt_i32_e64 s13, v0
	s_cbranch_execz .LBB136_23
; %bb.21:
	s_clause 0x2
	s_load_b32 s4, s[0:1], 0x34
	s_load_b64 s[2:3], s[0:1], 0x20
	s_load_b32 s0, s[0:1], 0x44
	s_ashr_i32 s1, s15, 31
	s_waitcnt lgkmcnt(0)
	v_mul_f32_e32 v2, s4, v2
	s_mul_i32 s3, s15, s3
	s_mul_hi_u32 s4, s15, s2
	s_mul_i32 s5, s1, s2
	s_add_i32 s3, s4, s3
	s_mul_i32 s1, s15, s2
	s_and_b32 s2, s0, 0xffff
	s_add_i32 s3, s3, s5
	s_mov_b32 s4, 0
	.p2align	6
.LBB136_22:                             ; =>This Inner Loop Header: Depth=1
	v_ashrrev_i32_e32 v4, 31, v0
	v_add_co_u32 v3, vcc_lo, s1, v0
	v_add_nc_u32_e32 v0, s2, v0
	s_delay_alu instid0(VALU_DEP_3) | instskip(NEXT) | instid1(VALU_DEP_2)
	v_add_co_ci_u32_e32 v4, vcc_lo, s3, v4, vcc_lo
	v_cmp_le_i32_e32 vcc_lo, s13, v0
	s_delay_alu instid0(VALU_DEP_2) | instskip(SKIP_1) | instid1(VALU_DEP_1)
	v_lshlrev_b64 v[3:4], 2, v[3:4]
	s_or_b32 s4, vcc_lo, s4
	v_add_co_u32 v5, s0, s8, v3
	s_delay_alu instid0(VALU_DEP_1) | instskip(SKIP_1) | instid1(VALU_DEP_1)
	v_add_co_ci_u32_e64 v6, s0, s9, v4, s0
	v_add_co_u32 v3, s0, s10, v3
	v_add_co_ci_u32_e64 v4, s0, s11, v4, s0
	global_store_b32 v[5:6], v2, off
	global_store_b32 v[3:4], v1, off
	s_and_not1_b32 exec_lo, exec_lo, s4
	s_cbranch_execnz .LBB136_22
.LBB136_23:
	s_nop 0
	s_sendmsg sendmsg(MSG_DEALLOC_VGPRS)
	s_endpgm
	.section	.rodata,"a",@progbits
	.p2align	6, 0x0
	.amdhsa_kernel _ZN5aiter20topk_softplus_kernelI6__halffDv1_fLb0ELi0EEEvPKT_PKT0_PfPimiiif
		.amdhsa_group_segment_fixed_size 0
		.amdhsa_private_segment_fixed_size 0
		.amdhsa_kernarg_size 312
		.amdhsa_user_sgpr_count 15
		.amdhsa_user_sgpr_dispatch_ptr 0
		.amdhsa_user_sgpr_queue_ptr 0
		.amdhsa_user_sgpr_kernarg_segment_ptr 1
		.amdhsa_user_sgpr_dispatch_id 0
		.amdhsa_user_sgpr_private_segment_size 0
		.amdhsa_wavefront_size32 1
		.amdhsa_uses_dynamic_stack 0
		.amdhsa_enable_private_segment 0
		.amdhsa_system_sgpr_workgroup_id_x 1
		.amdhsa_system_sgpr_workgroup_id_y 0
		.amdhsa_system_sgpr_workgroup_id_z 0
		.amdhsa_system_sgpr_workgroup_info 0
		.amdhsa_system_vgpr_workitem_id 0
		.amdhsa_next_free_vgpr 11
		.amdhsa_next_free_sgpr 22
		.amdhsa_reserve_vcc 1
		.amdhsa_float_round_mode_32 0
		.amdhsa_float_round_mode_16_64 0
		.amdhsa_float_denorm_mode_32 3
		.amdhsa_float_denorm_mode_16_64 3
		.amdhsa_dx10_clamp 1
		.amdhsa_ieee_mode 1
		.amdhsa_fp16_overflow 0
		.amdhsa_workgroup_processor_mode 1
		.amdhsa_memory_ordered 1
		.amdhsa_forward_progress 0
		.amdhsa_shared_vgpr_count 0
		.amdhsa_exception_fp_ieee_invalid_op 0
		.amdhsa_exception_fp_denorm_src 0
		.amdhsa_exception_fp_ieee_div_zero 0
		.amdhsa_exception_fp_ieee_overflow 0
		.amdhsa_exception_fp_ieee_underflow 0
		.amdhsa_exception_fp_ieee_inexact 0
		.amdhsa_exception_int_div_zero 0
	.end_amdhsa_kernel
	.section	.text._ZN5aiter20topk_softplus_kernelI6__halffDv1_fLb0ELi0EEEvPKT_PKT0_PfPimiiif,"axG",@progbits,_ZN5aiter20topk_softplus_kernelI6__halffDv1_fLb0ELi0EEEvPKT_PKT0_PfPimiiif,comdat
.Lfunc_end136:
	.size	_ZN5aiter20topk_softplus_kernelI6__halffDv1_fLb0ELi0EEEvPKT_PKT0_PfPimiiif, .Lfunc_end136-_ZN5aiter20topk_softplus_kernelI6__halffDv1_fLb0ELi0EEEvPKT_PKT0_PfPimiiif
                                        ; -- End function
	.section	.AMDGPU.csdata,"",@progbits
; Kernel info:
; codeLenInByte = 1740
; NumSgprs: 24
; NumVgprs: 11
; ScratchSize: 0
; MemoryBound: 0
; FloatMode: 240
; IeeeMode: 1
; LDSByteSize: 0 bytes/workgroup (compile time only)
; SGPRBlocks: 2
; VGPRBlocks: 1
; NumSGPRsForWavesPerEU: 24
; NumVGPRsForWavesPerEU: 11
; Occupancy: 16
; WaveLimiterHint : 0
; COMPUTE_PGM_RSRC2:SCRATCH_EN: 0
; COMPUTE_PGM_RSRC2:USER_SGPR: 15
; COMPUTE_PGM_RSRC2:TRAP_HANDLER: 0
; COMPUTE_PGM_RSRC2:TGID_X_EN: 1
; COMPUTE_PGM_RSRC2:TGID_Y_EN: 0
; COMPUTE_PGM_RSRC2:TGID_Z_EN: 0
; COMPUTE_PGM_RSRC2:TIDIG_COMP_CNT: 0
	.section	.text._ZN5aiter24topk_softplus_kernel_optI6__halfS1_Li64ELb1ELi1EEEvPKT_PKT0_PfPimiif,"axG",@progbits,_ZN5aiter24topk_softplus_kernel_optI6__halfS1_Li64ELb1ELi1EEEvPKT_PKT0_PfPimiif,comdat
	.protected	_ZN5aiter24topk_softplus_kernel_optI6__halfS1_Li64ELb1ELi1EEEvPKT_PKT0_PfPimiif ; -- Begin function _ZN5aiter24topk_softplus_kernel_optI6__halfS1_Li64ELb1ELi1EEEvPKT_PKT0_PfPimiif
	.globl	_ZN5aiter24topk_softplus_kernel_optI6__halfS1_Li64ELb1ELi1EEEvPKT_PKT0_PfPimiif
	.p2align	8
	.type	_ZN5aiter24topk_softplus_kernel_optI6__halfS1_Li64ELb1ELi1EEEvPKT_PKT0_PfPimiif,@function
_ZN5aiter24topk_softplus_kernel_optI6__halfS1_Li64ELb1ELi1EEEvPKT_PKT0_PfPimiif: ; @_ZN5aiter24topk_softplus_kernel_optI6__halfS1_Li64ELb1ELi1EEEvPKT_PKT0_PfPimiif
; %bb.0:
	s_load_b128 s[4:7], s[0:1], 0x0
	s_lshl_b32 s2, s15, 6
	v_lshlrev_b32_e32 v3, 1, v0
	s_ashr_i32 s3, s2, 31
	s_delay_alu instid0(SALU_CYCLE_1)
	s_lshl_b64 s[2:3], s[2:3], 1
	s_waitcnt lgkmcnt(0)
	s_add_u32 s4, s4, s2
	s_addc_u32 s5, s5, s3
	s_mov_b32 s3, 0xbfb8aa3b
	global_load_u16 v1, v3, s[4:5]
	s_cmp_lg_u64 s[6:7], 0
	s_cselect_b32 s2, -1, 0
	s_waitcnt vmcnt(0)
	v_cvt_f32_f16_e32 v2, v1
	s_delay_alu instid0(VALU_DEP_1) | instskip(NEXT) | instid1(VALU_DEP_1)
	v_mul_f32_e32 v2, 0xbfb8aa3b, v2
	v_cmp_gt_f32_e32 vcc_lo, 0xc2fc0000, v2
	v_cndmask_b32_e64 v2, 0, 0x42800000, vcc_lo
	s_delay_alu instid0(VALU_DEP_1) | instskip(SKIP_2) | instid1(VALU_DEP_2)
	v_fma_mix_f32 v1, v1, s3, v2 op_sel_hi:[1,0,0]
	v_cndmask_b32_e64 v2, 1.0, 0x1f800000, vcc_lo
	s_and_b32 vcc_lo, exec_lo, s2
	v_exp_f32_e32 v1, v1
	s_waitcnt_depctr 0xfff
	v_fma_f32 v1, v1, v2, 1.0
	s_delay_alu instid0(VALU_DEP_1) | instskip(SKIP_1) | instid1(VALU_DEP_1)
	v_rcp_f32_e32 v9, v1
	v_add_co_u32 v1, s4, s4, v3
	v_add_co_ci_u32_e64 v2, null, s5, 0, s4
	s_waitcnt_depctr 0xfff
	v_mov_b32_e32 v7, v9
	s_cbranch_vccz .LBB137_2
; %bb.1:
	global_load_u16 v4, v3, s[6:7]
	s_waitcnt vmcnt(0)
	v_cvt_f32_f16_e32 v4, v4
	s_delay_alu instid0(VALU_DEP_1)
	v_add_f32_e32 v7, v9, v4
.LBB137_2:
	global_load_u16 v1, v[1:2], off offset:64
	s_waitcnt vmcnt(0)
	v_cvt_f32_f16_e32 v2, v1
	s_delay_alu instid0(VALU_DEP_1) | instskip(NEXT) | instid1(VALU_DEP_1)
	v_mul_f32_e32 v2, 0xbfb8aa3b, v2
	v_cmp_gt_f32_e32 vcc_lo, 0xc2fc0000, v2
	v_cndmask_b32_e64 v4, 0, 0x42800000, vcc_lo
	v_cndmask_b32_e64 v2, 1.0, 0x1f800000, vcc_lo
	s_and_not1_b32 vcc_lo, exec_lo, s2
	s_delay_alu instid0(VALU_DEP_2) | instskip(NEXT) | instid1(VALU_DEP_1)
	v_fma_mix_f32 v1, v1, s3, v4 op_sel_hi:[1,0,0]
	v_exp_f32_e32 v1, v1
	s_waitcnt_depctr 0xfff
	v_fma_f32 v1, v1, v2, 1.0
	s_delay_alu instid0(VALU_DEP_1)
	v_rcp_f32_e32 v10, v1
	s_waitcnt_depctr 0xfff
	v_mov_b32_e32 v8, v10
	s_cbranch_vccnz .LBB137_4
; %bb.3:
	global_load_u16 v1, v3, s[6:7] offset:64
	s_waitcnt vmcnt(0)
	v_cvt_f32_f16_e32 v1, v1
	s_delay_alu instid0(VALU_DEP_1)
	v_add_f32_e32 v8, v10, v1
.LBB137_4:
	s_clause 0x1
	s_load_b32 s8, s[0:1], 0x28
	s_load_b128 s[4:7], s[0:1], 0x10
	v_dual_mov_b32 v3, 0 :: v_dual_mov_b32 v2, 0
	v_mov_b32_e32 v1, 0
	s_waitcnt lgkmcnt(0)
	s_cmp_gt_i32 s8, 0
	s_cbranch_scc0 .LBB137_7
; %bb.5:
	v_cmp_lt_f32_e32 vcc_lo, v7, v8
	v_add_nc_u32_e32 v1, 32, v0
	v_dual_mov_b32 v3, 0 :: v_dual_mov_b32 v2, 0
	v_mov_b32_e32 v11, v0
	v_cndmask_b32_e32 v6, v8, v7, vcc_lo
	s_delay_alu instid0(VALU_DEP_4)
	v_dual_cndmask_b32 v4, v1, v0 :: v_dual_cndmask_b32 v5, v0, v1
	v_dual_cndmask_b32 v7, v7, v8 :: v_dual_cndmask_b32 v8, v10, v9
	v_dual_cndmask_b32 v9, v9, v10 :: v_dual_mov_b32 v10, 0
	v_mov_b32_e32 v1, 0
	s_mov_b32 s9, 0x76543210
	s_mov_b32 s10, s8
.LBB137_6:                              ; =>This Inner Loop Header: Depth=1
	s_delay_alu instid0(VALU_DEP_2) | instskip(SKIP_2) | instid1(VALU_DEP_1)
	v_cmp_eq_u32_e32 vcc_lo, 1, v10
	v_cmp_gt_u32_e64 s2, 2, v10
	v_dual_cndmask_b32 v12, v7, v6 :: v_dual_cndmask_b32 v13, v5, v4
	v_cndmask_b32_e64 v12, 0xff800000, v12, s2
	;;#ASMSTART
	v_max_f32 v15, v12, v12 quad_perm:[1,0,3,2] row_mask:0xf bank_mask:0xf bound_ctrl:1
	;;#ASMEND
	;;#ASMSTART
	v_max_f32 v16, v15, v15 quad_perm:[2,3,0,1] row_mask:0xf bank_mask:0xf bound_ctrl:1
	;;#ASMEND
	;;#ASMSTART
	v_max_f32 v15, v16, v16 row_half_mirror row_mask:0xf bank_mask:0xf bound_ctrl:1
	;;#ASMEND
	;;#ASMSTART
	v_max_f32 v16, v15, v15 row_mirror row_mask:0xf bank_mask:0xf bound_ctrl:1
	;;#ASMEND
	v_permlanex16_b32 v15, v16, s9, 0xfedcba98 op_sel:[1,1]
	v_max_f32_e32 v16, v16, v16
	v_cndmask_b32_e64 v14, 0, v13, s2
	s_delay_alu instid0(VALU_DEP_3) | instskip(NEXT) | instid1(VALU_DEP_1)
	v_max_f32_e32 v15, v15, v15
	v_max_f32_e32 v15, v16, v15
	s_delay_alu instid0(VALU_DEP_1) | instskip(SKIP_1) | instid1(VALU_DEP_2)
	v_cmp_eq_f32_e64 s3, v12, v15
	v_cndmask_b32_e32 v12, v9, v8, vcc_lo
	s_ctz_i32_b32 s11, s3
	s_cmp_lg_u32 s3, 0
	s_cselect_b32 s3, s11, 0
	s_add_i32 s10, s10, -1
	v_readlane_b32 s3, v14, s3
	s_delay_alu instid0(VALU_DEP_1)
	v_cmp_eq_u32_e32 vcc_lo, s3, v13
	s_and_b32 vcc_lo, s2, vcc_lo
	s_and_b32 s2, s3, 31
	v_cndmask_b32_e32 v12, 0, v12, vcc_lo
	v_add_co_ci_u32_e32 v10, vcc_lo, 0, v10, vcc_lo
	s_cmp_eq_u32 s10, 0
	s_delay_alu instid0(VALU_DEP_2) | instskip(SKIP_2) | instid1(VALU_DEP_3)
	v_readlane_b32 s11, v12, s2
	v_cmp_eq_u32_e64 s2, 0, v11
	v_add_nc_u32_e32 v11, -1, v11
	v_add_f32_e32 v3, s11, v3
	s_delay_alu instid0(VALU_DEP_3)
	v_cndmask_b32_e64 v2, v2, s11, s2
	v_cndmask_b32_e64 v1, v1, s3, s2
	s_cbranch_scc0 .LBB137_6
.LBB137_7:
	s_mov_b32 s2, exec_lo
	v_cmpx_gt_i32_e64 s8, v0
	s_cbranch_execz .LBB137_9
; %bb.8:
	s_load_b32 s2, s[0:1], 0x30
	v_max_f32_e32 v3, v3, v3
	s_load_b64 s[0:1], s[0:1], 0x20
	s_ashr_i32 s3, s15, 31
	s_delay_alu instid0(VALU_DEP_1) | instskip(SKIP_1) | instid1(VALU_DEP_1)
	v_dual_max_f32 v3, 0x1e3ce508, v3 :: v_dual_lshlrev_b32 v0, 2, v0
	s_waitcnt lgkmcnt(0)
	v_div_scale_f32 v4, null, v3, v3, s2
	v_div_scale_f32 v7, vcc_lo, s2, v3, s2
	s_mul_i32 s1, s15, s1
	s_delay_alu instid0(VALU_DEP_2)
	v_rcp_f32_e32 v5, v4
	s_mul_hi_u32 s8, s15, s0
	s_mul_i32 s3, s3, s0
	s_add_i32 s1, s8, s1
	s_mul_i32 s0, s15, s0
	s_add_i32 s1, s1, s3
	s_delay_alu instid0(SALU_CYCLE_1) | instskip(SKIP_2) | instid1(VALU_DEP_1)
	s_lshl_b64 s[0:1], s[0:1], 2
	s_waitcnt_depctr 0xfff
	v_fma_f32 v6, -v4, v5, 1.0
	v_fmac_f32_e32 v5, v6, v5
	s_delay_alu instid0(VALU_DEP_1) | instskip(NEXT) | instid1(VALU_DEP_1)
	v_mul_f32_e32 v6, v7, v5
	v_fma_f32 v8, -v4, v6, v7
	s_delay_alu instid0(VALU_DEP_1) | instskip(NEXT) | instid1(VALU_DEP_1)
	v_fmac_f32_e32 v6, v8, v5
	v_fma_f32 v4, -v4, v6, v7
	s_delay_alu instid0(VALU_DEP_1) | instskip(NEXT) | instid1(VALU_DEP_1)
	v_div_fmas_f32 v4, v4, v5, v6
	v_div_fixup_f32 v3, v4, v3, s2
	s_add_u32 s2, s4, s0
	s_addc_u32 s3, s5, s1
	s_add_u32 s0, s6, s0
	s_addc_u32 s1, s7, s1
	v_mul_f32_e32 v2, v2, v3
	s_clause 0x1
	global_store_b32 v0, v2, s[2:3]
	global_store_b32 v0, v1, s[0:1]
.LBB137_9:
	s_nop 0
	s_sendmsg sendmsg(MSG_DEALLOC_VGPRS)
	s_endpgm
	.section	.rodata,"a",@progbits
	.p2align	6, 0x0
	.amdhsa_kernel _ZN5aiter24topk_softplus_kernel_optI6__halfS1_Li64ELb1ELi1EEEvPKT_PKT0_PfPimiif
		.amdhsa_group_segment_fixed_size 0
		.amdhsa_private_segment_fixed_size 0
		.amdhsa_kernarg_size 52
		.amdhsa_user_sgpr_count 15
		.amdhsa_user_sgpr_dispatch_ptr 0
		.amdhsa_user_sgpr_queue_ptr 0
		.amdhsa_user_sgpr_kernarg_segment_ptr 1
		.amdhsa_user_sgpr_dispatch_id 0
		.amdhsa_user_sgpr_private_segment_size 0
		.amdhsa_wavefront_size32 1
		.amdhsa_uses_dynamic_stack 0
		.amdhsa_enable_private_segment 0
		.amdhsa_system_sgpr_workgroup_id_x 1
		.amdhsa_system_sgpr_workgroup_id_y 0
		.amdhsa_system_sgpr_workgroup_id_z 0
		.amdhsa_system_sgpr_workgroup_info 0
		.amdhsa_system_vgpr_workitem_id 0
		.amdhsa_next_free_vgpr 17
		.amdhsa_next_free_sgpr 16
		.amdhsa_reserve_vcc 1
		.amdhsa_float_round_mode_32 0
		.amdhsa_float_round_mode_16_64 0
		.amdhsa_float_denorm_mode_32 3
		.amdhsa_float_denorm_mode_16_64 3
		.amdhsa_dx10_clamp 1
		.amdhsa_ieee_mode 1
		.amdhsa_fp16_overflow 0
		.amdhsa_workgroup_processor_mode 1
		.amdhsa_memory_ordered 1
		.amdhsa_forward_progress 0
		.amdhsa_shared_vgpr_count 0
		.amdhsa_exception_fp_ieee_invalid_op 0
		.amdhsa_exception_fp_denorm_src 0
		.amdhsa_exception_fp_ieee_div_zero 0
		.amdhsa_exception_fp_ieee_overflow 0
		.amdhsa_exception_fp_ieee_underflow 0
		.amdhsa_exception_fp_ieee_inexact 0
		.amdhsa_exception_int_div_zero 0
	.end_amdhsa_kernel
	.section	.text._ZN5aiter24topk_softplus_kernel_optI6__halfS1_Li64ELb1ELi1EEEvPKT_PKT0_PfPimiif,"axG",@progbits,_ZN5aiter24topk_softplus_kernel_optI6__halfS1_Li64ELb1ELi1EEEvPKT_PKT0_PfPimiif,comdat
.Lfunc_end137:
	.size	_ZN5aiter24topk_softplus_kernel_optI6__halfS1_Li64ELb1ELi1EEEvPKT_PKT0_PfPimiif, .Lfunc_end137-_ZN5aiter24topk_softplus_kernel_optI6__halfS1_Li64ELb1ELi1EEEvPKT_PKT0_PfPimiif
                                        ; -- End function
	.section	.AMDGPU.csdata,"",@progbits
; Kernel info:
; codeLenInByte = 964
; NumSgprs: 18
; NumVgprs: 17
; ScratchSize: 0
; MemoryBound: 0
; FloatMode: 240
; IeeeMode: 1
; LDSByteSize: 0 bytes/workgroup (compile time only)
; SGPRBlocks: 2
; VGPRBlocks: 2
; NumSGPRsForWavesPerEU: 18
; NumVGPRsForWavesPerEU: 17
; Occupancy: 16
; WaveLimiterHint : 0
; COMPUTE_PGM_RSRC2:SCRATCH_EN: 0
; COMPUTE_PGM_RSRC2:USER_SGPR: 15
; COMPUTE_PGM_RSRC2:TRAP_HANDLER: 0
; COMPUTE_PGM_RSRC2:TGID_X_EN: 1
; COMPUTE_PGM_RSRC2:TGID_Y_EN: 0
; COMPUTE_PGM_RSRC2:TGID_Z_EN: 0
; COMPUTE_PGM_RSRC2:TIDIG_COMP_CNT: 0
	.section	.text._ZN5aiter24topk_softplus_kernel_optI6__halfS1_Li64ELb0ELi1EEEvPKT_PKT0_PfPimiif,"axG",@progbits,_ZN5aiter24topk_softplus_kernel_optI6__halfS1_Li64ELb0ELi1EEEvPKT_PKT0_PfPimiif,comdat
	.protected	_ZN5aiter24topk_softplus_kernel_optI6__halfS1_Li64ELb0ELi1EEEvPKT_PKT0_PfPimiif ; -- Begin function _ZN5aiter24topk_softplus_kernel_optI6__halfS1_Li64ELb0ELi1EEEvPKT_PKT0_PfPimiif
	.globl	_ZN5aiter24topk_softplus_kernel_optI6__halfS1_Li64ELb0ELi1EEEvPKT_PKT0_PfPimiif
	.p2align	8
	.type	_ZN5aiter24topk_softplus_kernel_optI6__halfS1_Li64ELb0ELi1EEEvPKT_PKT0_PfPimiif,@function
_ZN5aiter24topk_softplus_kernel_optI6__halfS1_Li64ELb0ELi1EEEvPKT_PKT0_PfPimiif: ; @_ZN5aiter24topk_softplus_kernel_optI6__halfS1_Li64ELb0ELi1EEEvPKT_PKT0_PfPimiif
; %bb.0:
	s_load_b128 s[4:7], s[0:1], 0x0
	s_lshl_b32 s2, s15, 6
	v_lshlrev_b32_e32 v3, 1, v0
	s_ashr_i32 s3, s2, 31
	s_delay_alu instid0(SALU_CYCLE_1)
	s_lshl_b64 s[2:3], s[2:3], 1
	s_waitcnt lgkmcnt(0)
	s_add_u32 s4, s4, s2
	s_addc_u32 s5, s5, s3
	s_mov_b32 s3, 0xbfb8aa3b
	global_load_u16 v1, v3, s[4:5]
	s_cmp_lg_u64 s[6:7], 0
	s_cselect_b32 s2, -1, 0
	s_waitcnt vmcnt(0)
	v_cvt_f32_f16_e32 v2, v1
	s_delay_alu instid0(VALU_DEP_1) | instskip(NEXT) | instid1(VALU_DEP_1)
	v_mul_f32_e32 v2, 0xbfb8aa3b, v2
	v_cmp_gt_f32_e32 vcc_lo, 0xc2fc0000, v2
	v_cndmask_b32_e64 v2, 0, 0x42800000, vcc_lo
	s_delay_alu instid0(VALU_DEP_1) | instskip(SKIP_2) | instid1(VALU_DEP_2)
	v_fma_mix_f32 v1, v1, s3, v2 op_sel_hi:[1,0,0]
	v_cndmask_b32_e64 v2, 1.0, 0x1f800000, vcc_lo
	s_and_b32 vcc_lo, exec_lo, s2
	v_exp_f32_e32 v1, v1
	s_waitcnt_depctr 0xfff
	v_fma_f32 v1, v1, v2, 1.0
	s_delay_alu instid0(VALU_DEP_1) | instskip(SKIP_1) | instid1(VALU_DEP_1)
	v_rcp_f32_e32 v8, v1
	v_add_co_u32 v1, s4, s4, v3
	v_add_co_ci_u32_e64 v2, null, s5, 0, s4
	s_waitcnt_depctr 0xfff
	v_mov_b32_e32 v6, v8
	s_cbranch_vccz .LBB138_2
; %bb.1:
	global_load_u16 v4, v3, s[6:7]
	s_waitcnt vmcnt(0)
	v_cvt_f32_f16_e32 v4, v4
	s_delay_alu instid0(VALU_DEP_1)
	v_add_f32_e32 v6, v8, v4
.LBB138_2:
	global_load_u16 v1, v[1:2], off offset:64
	s_waitcnt vmcnt(0)
	v_cvt_f32_f16_e32 v2, v1
	s_delay_alu instid0(VALU_DEP_1) | instskip(NEXT) | instid1(VALU_DEP_1)
	v_mul_f32_e32 v2, 0xbfb8aa3b, v2
	v_cmp_gt_f32_e32 vcc_lo, 0xc2fc0000, v2
	v_cndmask_b32_e64 v4, 0, 0x42800000, vcc_lo
	v_cndmask_b32_e64 v2, 1.0, 0x1f800000, vcc_lo
	s_and_not1_b32 vcc_lo, exec_lo, s2
	s_delay_alu instid0(VALU_DEP_2) | instskip(NEXT) | instid1(VALU_DEP_1)
	v_fma_mix_f32 v1, v1, s3, v4 op_sel_hi:[1,0,0]
	v_exp_f32_e32 v1, v1
	s_waitcnt_depctr 0xfff
	v_fma_f32 v1, v1, v2, 1.0
	s_delay_alu instid0(VALU_DEP_1)
	v_rcp_f32_e32 v2, v1
	s_waitcnt_depctr 0xfff
	v_mov_b32_e32 v7, v2
	s_cbranch_vccnz .LBB138_4
; %bb.3:
	global_load_u16 v1, v3, s[6:7] offset:64
	s_waitcnt vmcnt(0)
	v_cvt_f32_f16_e32 v1, v1
	s_delay_alu instid0(VALU_DEP_1)
	v_add_f32_e32 v7, v2, v1
.LBB138_4:
	s_clause 0x1
	s_load_b32 s8, s[0:1], 0x28
	s_load_b128 s[4:7], s[0:1], 0x10
	v_mov_b32_e32 v1, 0
	s_waitcnt lgkmcnt(0)
	s_cmp_gt_i32 s8, 0
	s_cbranch_scc0 .LBB138_10
; %bb.5:
	v_cmp_lt_f32_e32 vcc_lo, v6, v7
	v_add_nc_u32_e32 v1, 32, v0
	v_dual_mov_b32 v9, 0 :: v_dual_mov_b32 v10, v0
	s_mov_b32 s9, 0x76543210
	v_dual_cndmask_b32 v5, v7, v6 :: v_dual_cndmask_b32 v6, v6, v7
	s_delay_alu instid0(VALU_DEP_3)
	v_dual_cndmask_b32 v3, v1, v0 :: v_dual_cndmask_b32 v4, v0, v1
	v_dual_cndmask_b32 v7, v2, v8 :: v_dual_cndmask_b32 v8, v8, v2
	v_dual_mov_b32 v2, 0 :: v_dual_mov_b32 v1, 0
	s_mov_b32 s10, s8
.LBB138_6:                              ; =>This Inner Loop Header: Depth=1
	v_cmp_eq_u32_e32 vcc_lo, 1, v9
	v_cmp_gt_u32_e64 s2, 2, v9
	v_cndmask_b32_e32 v11, v6, v5, vcc_lo
	s_delay_alu instid0(VALU_DEP_1)
	v_cndmask_b32_e64 v11, 0xff800000, v11, s2
	;;#ASMSTART
	v_max_f32 v12, v11, v11 quad_perm:[1,0,3,2] row_mask:0xf bank_mask:0xf bound_ctrl:1
	;;#ASMEND
	;;#ASMSTART
	v_max_f32 v13, v12, v12 quad_perm:[2,3,0,1] row_mask:0xf bank_mask:0xf bound_ctrl:1
	;;#ASMEND
	;;#ASMSTART
	v_max_f32 v12, v13, v13 row_half_mirror row_mask:0xf bank_mask:0xf bound_ctrl:1
	;;#ASMEND
	;;#ASMSTART
	v_max_f32 v13, v12, v12 row_mirror row_mask:0xf bank_mask:0xf bound_ctrl:1
	;;#ASMEND
	v_permlanex16_b32 v12, v13, s9, 0xfedcba98 op_sel:[1,1]
	s_delay_alu instid0(VALU_DEP_1) | instskip(NEXT) | instid1(VALU_DEP_1)
	v_dual_max_f32 v13, v13, v13 :: v_dual_max_f32 v12, v12, v12
	v_dual_max_f32 v12, v13, v12 :: v_dual_cndmask_b32 v13, v4, v3
	s_delay_alu instid0(VALU_DEP_1) | instskip(NEXT) | instid1(VALU_DEP_2)
	v_cmp_eq_f32_e64 s3, v11, v12
	v_cndmask_b32_e64 v11, 0, v13, s2
	s_delay_alu instid0(VALU_DEP_2)
	s_ctz_i32_b32 s11, s3
	s_cmp_lg_u32 s3, 0
	s_cselect_b32 s3, s11, 0
	s_add_i32 s10, s10, -1
	v_readlane_b32 s3, v11, s3
	v_cndmask_b32_e32 v11, v8, v7, vcc_lo
	s_delay_alu instid0(VALU_DEP_2) | instskip(SKIP_2) | instid1(VALU_DEP_2)
	v_cmp_eq_u32_e32 vcc_lo, s3, v13
	s_and_b32 vcc_lo, s2, vcc_lo
	s_and_b32 s2, s3, 31
	v_cndmask_b32_e32 v11, 0, v11, vcc_lo
	v_add_co_ci_u32_e32 v9, vcc_lo, 0, v9, vcc_lo
	s_cmp_eq_u32 s10, 0
	s_delay_alu instid0(VALU_DEP_2) | instskip(SKIP_2) | instid1(VALU_DEP_2)
	v_readlane_b32 s11, v11, s2
	v_cmp_eq_u32_e64 s2, 0, v10
	v_add_nc_u32_e32 v10, -1, v10
	v_cndmask_b32_e64 v2, v2, s11, s2
	v_cndmask_b32_e64 v1, v1, s3, s2
	s_cbranch_scc0 .LBB138_6
; %bb.7:
	s_mov_b32 s2, exec_lo
	v_cmpx_gt_i32_e64 s8, v0
	s_cbranch_execz .LBB138_9
.LBB138_8:
	s_clause 0x1
	s_load_b64 s[2:3], s[0:1], 0x20
	s_load_b32 s8, s[0:1], 0x30
	s_ashr_i32 s0, s15, 31
	v_lshlrev_b32_e32 v0, 2, v0
	s_waitcnt lgkmcnt(0)
	s_mul_i32 s1, s15, s3
	s_mul_hi_u32 s3, s15, s2
	s_mul_i32 s0, s0, s2
	s_add_i32 s1, s3, s1
	v_mul_f32_e32 v2, s8, v2
	s_add_i32 s1, s1, s0
	s_mul_i32 s0, s15, s2
	s_delay_alu instid0(SALU_CYCLE_1) | instskip(NEXT) | instid1(SALU_CYCLE_1)
	s_lshl_b64 s[0:1], s[0:1], 2
	s_add_u32 s2, s4, s0
	s_addc_u32 s3, s5, s1
	s_add_u32 s0, s6, s0
	s_addc_u32 s1, s7, s1
	s_clause 0x1
	global_store_b32 v0, v2, s[2:3]
	global_store_b32 v0, v1, s[0:1]
.LBB138_9:
	s_nop 0
	s_sendmsg sendmsg(MSG_DEALLOC_VGPRS)
	s_endpgm
.LBB138_10:
	v_mov_b32_e32 v2, 0
	s_mov_b32 s2, exec_lo
	v_cmpx_gt_i32_e64 s8, v0
	s_cbranch_execnz .LBB138_8
	s_branch .LBB138_9
	.section	.rodata,"a",@progbits
	.p2align	6, 0x0
	.amdhsa_kernel _ZN5aiter24topk_softplus_kernel_optI6__halfS1_Li64ELb0ELi1EEEvPKT_PKT0_PfPimiif
		.amdhsa_group_segment_fixed_size 0
		.amdhsa_private_segment_fixed_size 0
		.amdhsa_kernarg_size 52
		.amdhsa_user_sgpr_count 15
		.amdhsa_user_sgpr_dispatch_ptr 0
		.amdhsa_user_sgpr_queue_ptr 0
		.amdhsa_user_sgpr_kernarg_segment_ptr 1
		.amdhsa_user_sgpr_dispatch_id 0
		.amdhsa_user_sgpr_private_segment_size 0
		.amdhsa_wavefront_size32 1
		.amdhsa_uses_dynamic_stack 0
		.amdhsa_enable_private_segment 0
		.amdhsa_system_sgpr_workgroup_id_x 1
		.amdhsa_system_sgpr_workgroup_id_y 0
		.amdhsa_system_sgpr_workgroup_id_z 0
		.amdhsa_system_sgpr_workgroup_info 0
		.amdhsa_system_vgpr_workitem_id 0
		.amdhsa_next_free_vgpr 14
		.amdhsa_next_free_sgpr 16
		.amdhsa_reserve_vcc 1
		.amdhsa_float_round_mode_32 0
		.amdhsa_float_round_mode_16_64 0
		.amdhsa_float_denorm_mode_32 3
		.amdhsa_float_denorm_mode_16_64 3
		.amdhsa_dx10_clamp 1
		.amdhsa_ieee_mode 1
		.amdhsa_fp16_overflow 0
		.amdhsa_workgroup_processor_mode 1
		.amdhsa_memory_ordered 1
		.amdhsa_forward_progress 0
		.amdhsa_shared_vgpr_count 0
		.amdhsa_exception_fp_ieee_invalid_op 0
		.amdhsa_exception_fp_denorm_src 0
		.amdhsa_exception_fp_ieee_div_zero 0
		.amdhsa_exception_fp_ieee_overflow 0
		.amdhsa_exception_fp_ieee_underflow 0
		.amdhsa_exception_fp_ieee_inexact 0
		.amdhsa_exception_int_div_zero 0
	.end_amdhsa_kernel
	.section	.text._ZN5aiter24topk_softplus_kernel_optI6__halfS1_Li64ELb0ELi1EEEvPKT_PKT0_PfPimiif,"axG",@progbits,_ZN5aiter24topk_softplus_kernel_optI6__halfS1_Li64ELb0ELi1EEEvPKT_PKT0_PfPimiif,comdat
.Lfunc_end138:
	.size	_ZN5aiter24topk_softplus_kernel_optI6__halfS1_Li64ELb0ELi1EEEvPKT_PKT0_PfPimiif, .Lfunc_end138-_ZN5aiter24topk_softplus_kernel_optI6__halfS1_Li64ELb0ELi1EEEvPKT_PKT0_PfPimiif
                                        ; -- End function
	.section	.AMDGPU.csdata,"",@progbits
; Kernel info:
; codeLenInByte = 868
; NumSgprs: 18
; NumVgprs: 14
; ScratchSize: 0
; MemoryBound: 0
; FloatMode: 240
; IeeeMode: 1
; LDSByteSize: 0 bytes/workgroup (compile time only)
; SGPRBlocks: 2
; VGPRBlocks: 1
; NumSGPRsForWavesPerEU: 18
; NumVGPRsForWavesPerEU: 14
; Occupancy: 16
; WaveLimiterHint : 0
; COMPUTE_PGM_RSRC2:SCRATCH_EN: 0
; COMPUTE_PGM_RSRC2:USER_SGPR: 15
; COMPUTE_PGM_RSRC2:TRAP_HANDLER: 0
; COMPUTE_PGM_RSRC2:TGID_X_EN: 1
; COMPUTE_PGM_RSRC2:TGID_Y_EN: 0
; COMPUTE_PGM_RSRC2:TGID_Z_EN: 0
; COMPUTE_PGM_RSRC2:TIDIG_COMP_CNT: 0
	.section	.text._ZN5aiter24topk_softplus_kernel_optI6__halfS1_Li128ELb1ELi1EEEvPKT_PKT0_PfPimiif,"axG",@progbits,_ZN5aiter24topk_softplus_kernel_optI6__halfS1_Li128ELb1ELi1EEEvPKT_PKT0_PfPimiif,comdat
	.protected	_ZN5aiter24topk_softplus_kernel_optI6__halfS1_Li128ELb1ELi1EEEvPKT_PKT0_PfPimiif ; -- Begin function _ZN5aiter24topk_softplus_kernel_optI6__halfS1_Li128ELb1ELi1EEEvPKT_PKT0_PfPimiif
	.globl	_ZN5aiter24topk_softplus_kernel_optI6__halfS1_Li128ELb1ELi1EEEvPKT_PKT0_PfPimiif
	.p2align	8
	.type	_ZN5aiter24topk_softplus_kernel_optI6__halfS1_Li128ELb1ELi1EEEvPKT_PKT0_PfPimiif,@function
_ZN5aiter24topk_softplus_kernel_optI6__halfS1_Li128ELb1ELi1EEEvPKT_PKT0_PfPimiif: ; @_ZN5aiter24topk_softplus_kernel_optI6__halfS1_Li128ELb1ELi1EEEvPKT_PKT0_PfPimiif
; %bb.0:
	s_load_b128 s[4:7], s[0:1], 0x0
	s_lshl_b32 s2, s15, 7
	v_lshlrev_b32_e32 v3, 1, v0
	s_ashr_i32 s3, s2, 31
	s_delay_alu instid0(SALU_CYCLE_1)
	s_lshl_b64 s[2:3], s[2:3], 1
	s_waitcnt lgkmcnt(0)
	s_add_u32 s4, s4, s2
	s_addc_u32 s5, s5, s3
	s_mov_b32 s3, 0xbfb8aa3b
	global_load_u16 v1, v3, s[4:5]
	s_cmp_lg_u64 s[6:7], 0
	s_cselect_b32 s2, -1, 0
	s_waitcnt vmcnt(0)
	v_cvt_f32_f16_e32 v2, v1
	s_delay_alu instid0(VALU_DEP_1) | instskip(NEXT) | instid1(VALU_DEP_1)
	v_mul_f32_e32 v2, 0xbfb8aa3b, v2
	v_cmp_gt_f32_e32 vcc_lo, 0xc2fc0000, v2
	v_cndmask_b32_e64 v2, 0, 0x42800000, vcc_lo
	s_delay_alu instid0(VALU_DEP_1) | instskip(SKIP_2) | instid1(VALU_DEP_2)
	v_fma_mix_f32 v1, v1, s3, v2 op_sel_hi:[1,0,0]
	v_cndmask_b32_e64 v2, 1.0, 0x1f800000, vcc_lo
	s_and_b32 vcc_lo, exec_lo, s2
	v_exp_f32_e32 v1, v1
	s_waitcnt_depctr 0xfff
	v_fma_f32 v1, v1, v2, 1.0
	s_delay_alu instid0(VALU_DEP_1) | instskip(SKIP_1) | instid1(VALU_DEP_1)
	v_rcp_f32_e32 v5, v1
	v_add_co_u32 v1, s4, s4, v3
	v_add_co_ci_u32_e64 v2, null, s5, 0, s4
	s_waitcnt_depctr 0xfff
	v_mov_b32_e32 v10, v5
	s_cbranch_vccz .LBB139_2
; %bb.1:
	global_load_u16 v4, v3, s[6:7]
	s_waitcnt vmcnt(0)
	v_cvt_f32_f16_e32 v4, v4
	s_delay_alu instid0(VALU_DEP_1)
	v_add_f32_e32 v10, v5, v4
.LBB139_2:
	global_load_u16 v4, v[1:2], off offset:64
	s_waitcnt vmcnt(0)
	v_cvt_f32_f16_e32 v6, v4
	s_delay_alu instid0(VALU_DEP_1) | instskip(NEXT) | instid1(VALU_DEP_1)
	v_mul_f32_e32 v6, 0xbfb8aa3b, v6
	v_cmp_gt_f32_e32 vcc_lo, 0xc2fc0000, v6
	v_cndmask_b32_e64 v7, 0, 0x42800000, vcc_lo
	v_cndmask_b32_e64 v6, 1.0, 0x1f800000, vcc_lo
	s_and_not1_b32 vcc_lo, exec_lo, s2
	s_delay_alu instid0(VALU_DEP_2) | instskip(SKIP_1) | instid1(VALU_DEP_2)
	v_fma_mix_f32 v4, v4, s3, v7 op_sel_hi:[1,0,0]
	v_cndmask_b32_e64 v7, 0, 1, s2
	v_exp_f32_e32 v4, v4
	s_waitcnt_depctr 0xfff
	v_fma_f32 v4, v4, v6, 1.0
	s_delay_alu instid0(VALU_DEP_1)
	v_rcp_f32_e32 v8, v4
	s_waitcnt_depctr 0xfff
	v_mov_b32_e32 v11, v8
	s_cbranch_vccnz .LBB139_4
; %bb.3:
	global_load_u16 v4, v3, s[6:7] offset:64
	s_waitcnt vmcnt(0)
	v_cvt_f32_f16_e32 v4, v4
	s_delay_alu instid0(VALU_DEP_1)
	v_add_f32_e32 v11, v8, v4
.LBB139_4:
	global_load_u16 v4, v[1:2], off offset:128
	s_mov_b32 s2, 0xbfb8aa3b
	s_waitcnt vmcnt(0)
	v_cvt_f32_f16_e32 v6, v4
	s_delay_alu instid0(VALU_DEP_1) | instskip(NEXT) | instid1(VALU_DEP_1)
	v_mul_f32_e32 v6, 0xbfb8aa3b, v6
	v_cmp_gt_f32_e32 vcc_lo, 0xc2fc0000, v6
	v_cndmask_b32_e64 v9, 0, 0x42800000, vcc_lo
	v_cndmask_b32_e64 v6, 1.0, 0x1f800000, vcc_lo
	v_cmp_ne_u32_e32 vcc_lo, 1, v7
	s_delay_alu instid0(VALU_DEP_3) | instskip(SKIP_1) | instid1(VALU_DEP_1)
	v_fma_mix_f32 v4, v4, s2, v9 op_sel_hi:[1,0,0]
	s_and_b32 vcc_lo, exec_lo, vcc_lo
	v_exp_f32_e32 v4, v4
	s_waitcnt_depctr 0xfff
	v_fma_f32 v4, v4, v6, 1.0
	s_delay_alu instid0(VALU_DEP_1)
	v_rcp_f32_e32 v4, v4
	s_waitcnt_depctr 0xfff
	v_mov_b32_e32 v6, v4
	s_cbranch_vccnz .LBB139_6
; %bb.5:
	global_load_u16 v6, v3, s[6:7] offset:128
	s_waitcnt vmcnt(0)
	v_cvt_f32_f16_e32 v6, v6
	s_delay_alu instid0(VALU_DEP_1)
	v_add_f32_e32 v6, v4, v6
.LBB139_6:
	global_load_u16 v1, v[1:2], off offset:192
	s_waitcnt vmcnt(0)
	v_cvt_f32_f16_e32 v2, v1
	s_delay_alu instid0(VALU_DEP_1) | instskip(NEXT) | instid1(VALU_DEP_1)
	v_mul_f32_e32 v2, 0xbfb8aa3b, v2
	v_cmp_gt_f32_e32 vcc_lo, 0xc2fc0000, v2
	v_cndmask_b32_e64 v9, 0, 0x42800000, vcc_lo
	v_cndmask_b32_e64 v2, 1.0, 0x1f800000, vcc_lo
	v_cmp_ne_u32_e32 vcc_lo, 1, v7
	s_delay_alu instid0(VALU_DEP_3) | instskip(SKIP_1) | instid1(VALU_DEP_1)
	v_fma_mix_f32 v1, v1, s2, v9 op_sel_hi:[1,0,0]
	s_and_b32 vcc_lo, exec_lo, vcc_lo
	v_exp_f32_e32 v1, v1
	s_waitcnt_depctr 0xfff
	v_fma_f32 v1, v1, v2, 1.0
	s_delay_alu instid0(VALU_DEP_1)
	v_rcp_f32_e32 v1, v1
	s_waitcnt_depctr 0xfff
	v_mov_b32_e32 v2, v1
	s_cbranch_vccnz .LBB139_8
; %bb.7:
	global_load_u16 v2, v3, s[6:7] offset:192
	s_waitcnt vmcnt(0)
	v_cvt_f32_f16_e32 v2, v2
	s_delay_alu instid0(VALU_DEP_1)
	v_add_f32_e32 v2, v1, v2
.LBB139_8:
	v_cmp_lt_f32_e32 vcc_lo, v10, v11
	v_add_nc_u32_e32 v12, 32, v0
	v_add_nc_u32_e32 v14, 64, v0
	;; [unrolled: 1-line block ×3, first 2 shown]
	s_mov_b32 s2, exec_lo
	v_cndmask_b32_e32 v7, v8, v5, vcc_lo
	v_cndmask_b32_e32 v5, v5, v8, vcc_lo
	v_cndmask_b32_e32 v9, v12, v0, vcc_lo
	v_dual_cndmask_b32 v13, v0, v12 :: v_dual_cndmask_b32 v8, v11, v10
	v_cndmask_b32_e32 v10, v10, v11, vcc_lo
	v_mov_b32_e32 v11, v6
	v_cmpx_lt_f32_e32 v6, v2
	s_xor_b32 s2, exec_lo, s2
; %bb.9:
	v_mov_b32_e32 v15, v6
	v_dual_mov_b32 v11, v4 :: v_dual_mov_b32 v12, v14
	v_swap_b32 v4, v1
	v_swap_b32 v14, v3
	v_mov_b32_e32 v6, v2
	v_dual_mov_b32 v11, v2 :: v_dual_mov_b32 v2, v15
; %bb.10:
	s_or_b32 exec_lo, exec_lo, s2
	s_delay_alu instid0(VALU_DEP_2)
	v_cmp_lt_f32_e32 vcc_lo, v10, v6
	s_mov_b32 s2, exec_lo
	v_dual_cndmask_b32 v15, v4, v5 :: v_dual_cndmask_b32 v4, v5, v4
	v_dual_cndmask_b32 v12, v14, v13 :: v_dual_cndmask_b32 v5, v13, v14
	v_dual_cndmask_b32 v13, v11, v10 :: v_dual_mov_b32 v14, v8
	v_cndmask_b32_e32 v6, v10, v6, vcc_lo
	v_cmpx_lt_f32_e32 v8, v2
; %bb.11:
	v_mov_b32_e32 v16, v8
	v_dual_mov_b32 v10, v7 :: v_dual_mov_b32 v11, v9
	v_swap_b32 v7, v1
	v_swap_b32 v9, v3
	v_mov_b32_e32 v8, v2
	v_mov_b32_e32 v14, v2
	v_mov_b32_e32 v2, v16
; %bb.12:
	s_or_b32 exec_lo, exec_lo, s2
	s_clause 0x1
	s_load_b32 s8, s[0:1], 0x28
	s_load_b128 s[4:7], s[0:1], 0x10
	v_mov_b32_e32 v10, 0
	s_waitcnt lgkmcnt(0)
	s_cmp_lt_i32 s8, 1
	s_cbranch_scc1 .LBB139_18
; %bb.13:
	v_cmp_lt_f32_e32 vcc_lo, v8, v13
	v_mov_b32_e32 v17, v0
	s_mov_b32 s9, 0x76543210
	s_mov_b32 s10, s8
	v_dual_mov_b32 v10, 0 :: v_dual_cndmask_b32 v11, v12, v9
	v_cndmask_b32_e32 v9, v9, v12, vcc_lo
	v_dual_cndmask_b32 v12, v13, v8 :: v_dual_cndmask_b32 v13, v14, v13
	v_cndmask_b32_e32 v14, v15, v7, vcc_lo
	v_dual_cndmask_b32 v15, v7, v15 :: v_dual_mov_b32 v16, 0
	v_dual_mov_b32 v7, 0 :: v_dual_mov_b32 v8, 0
.LBB139_14:                             ; =>This Inner Loop Header: Depth=1
	s_delay_alu instid0(VALU_DEP_2) | instskip(SKIP_1) | instid1(VALU_DEP_4)
	v_cmp_eq_u32_e32 vcc_lo, 1, v16
	v_cmp_eq_u32_e64 s2, 2, v16
	v_dual_cndmask_b32 v19, v5, v9 :: v_dual_cndmask_b32 v20, v4, v15
	s_delay_alu instid0(VALU_DEP_1) | instskip(SKIP_2) | instid1(VALU_DEP_4)
	v_cndmask_b32_e64 v19, v19, v11, s2
	v_cndmask_b32_e32 v18, v6, v13, vcc_lo
	v_cmp_eq_u32_e32 vcc_lo, 3, v16
	v_cndmask_b32_e64 v20, v20, v14, s2
	s_delay_alu instid0(VALU_DEP_4) | instskip(NEXT) | instid1(VALU_DEP_4)
	v_cndmask_b32_e32 v19, v19, v3, vcc_lo
	v_cndmask_b32_e64 v18, v18, v12, s2
	v_cmp_gt_u32_e64 s2, 4, v16
	s_delay_alu instid0(VALU_DEP_2) | instskip(NEXT) | instid1(VALU_DEP_2)
	v_cndmask_b32_e32 v18, v18, v2, vcc_lo
	v_cndmask_b32_e64 v21, 0, v19, s2
	s_delay_alu instid0(VALU_DEP_2)
	v_cndmask_b32_e64 v18, 0xff800000, v18, s2
	;;#ASMSTART
	v_max_f32 v22, v18, v18 quad_perm:[1,0,3,2] row_mask:0xf bank_mask:0xf bound_ctrl:1
	;;#ASMEND
	;;#ASMSTART
	v_max_f32 v23, v22, v22 quad_perm:[2,3,0,1] row_mask:0xf bank_mask:0xf bound_ctrl:1
	;;#ASMEND
	;;#ASMSTART
	v_max_f32 v22, v23, v23 row_half_mirror row_mask:0xf bank_mask:0xf bound_ctrl:1
	;;#ASMEND
	;;#ASMSTART
	v_max_f32 v23, v22, v22 row_mirror row_mask:0xf bank_mask:0xf bound_ctrl:1
	;;#ASMEND
	v_permlanex16_b32 v22, v23, s9, 0xfedcba98 op_sel:[1,1]
	s_delay_alu instid0(VALU_DEP_1) | instskip(NEXT) | instid1(VALU_DEP_1)
	v_dual_max_f32 v23, v23, v23 :: v_dual_max_f32 v22, v22, v22
	v_max_f32_e32 v22, v23, v22
	s_delay_alu instid0(VALU_DEP_1) | instskip(SKIP_1) | instid1(VALU_DEP_2)
	v_cmp_eq_f32_e64 s3, v18, v22
	v_cndmask_b32_e32 v18, v20, v1, vcc_lo
	s_ctz_i32_b32 s11, s3
	s_cmp_lg_u32 s3, 0
	s_cselect_b32 s3, s11, 0
	s_add_i32 s10, s10, -1
	v_readlane_b32 s3, v21, s3
	s_delay_alu instid0(VALU_DEP_1)
	v_cmp_eq_u32_e32 vcc_lo, s3, v19
	s_and_b32 vcc_lo, s2, vcc_lo
	s_and_b32 s2, s3, 31
	v_cndmask_b32_e32 v18, 0, v18, vcc_lo
	v_add_co_ci_u32_e32 v16, vcc_lo, 0, v16, vcc_lo
	s_cmp_eq_u32 s10, 0
	s_delay_alu instid0(VALU_DEP_2) | instskip(SKIP_1) | instid1(VALU_DEP_2)
	v_readlane_b32 s11, v18, s2
	v_cmp_eq_u32_e64 s2, 0, v17
	v_dual_add_f32 v10, s11, v10 :: v_dual_add_nc_u32 v17, -1, v17
	s_delay_alu instid0(VALU_DEP_2)
	v_cndmask_b32_e64 v8, v8, s11, s2
	v_cndmask_b32_e64 v7, v7, s3, s2
	s_cbranch_scc0 .LBB139_14
; %bb.15:
	s_mov_b32 s2, exec_lo
	v_cmpx_gt_i32_e64 s8, v0
	s_cbranch_execz .LBB139_17
.LBB139_16:
	s_load_b32 s2, s[0:1], 0x30
	v_max_f32_e32 v1, v10, v10
	s_load_b64 s[0:1], s[0:1], 0x20
	s_ashr_i32 s3, s15, 31
	s_delay_alu instid0(VALU_DEP_1) | instskip(SKIP_1) | instid1(VALU_DEP_1)
	v_dual_max_f32 v1, 0x1e3ce508, v1 :: v_dual_lshlrev_b32 v0, 2, v0
	s_waitcnt lgkmcnt(0)
	v_div_scale_f32 v2, null, v1, v1, s2
	v_div_scale_f32 v5, vcc_lo, s2, v1, s2
	s_mul_i32 s1, s15, s1
	s_delay_alu instid0(VALU_DEP_2)
	v_rcp_f32_e32 v3, v2
	s_mul_hi_u32 s8, s15, s0
	s_mul_i32 s3, s3, s0
	s_add_i32 s1, s8, s1
	s_mul_i32 s0, s15, s0
	s_add_i32 s1, s1, s3
	s_delay_alu instid0(SALU_CYCLE_1) | instskip(SKIP_2) | instid1(VALU_DEP_1)
	s_lshl_b64 s[0:1], s[0:1], 2
	s_waitcnt_depctr 0xfff
	v_fma_f32 v4, -v2, v3, 1.0
	v_fmac_f32_e32 v3, v4, v3
	s_delay_alu instid0(VALU_DEP_1) | instskip(NEXT) | instid1(VALU_DEP_1)
	v_mul_f32_e32 v4, v5, v3
	v_fma_f32 v6, -v2, v4, v5
	s_delay_alu instid0(VALU_DEP_1) | instskip(NEXT) | instid1(VALU_DEP_1)
	v_fmac_f32_e32 v4, v6, v3
	v_fma_f32 v2, -v2, v4, v5
	s_delay_alu instid0(VALU_DEP_1) | instskip(NEXT) | instid1(VALU_DEP_1)
	v_div_fmas_f32 v2, v2, v3, v4
	v_div_fixup_f32 v1, v2, v1, s2
	s_add_u32 s2, s4, s0
	s_addc_u32 s3, s5, s1
	s_add_u32 s0, s6, s0
	s_addc_u32 s1, s7, s1
	v_mul_f32_e32 v1, v8, v1
	s_clause 0x1
	global_store_b32 v0, v1, s[2:3]
	global_store_b32 v0, v7, s[0:1]
.LBB139_17:
	s_nop 0
	s_sendmsg sendmsg(MSG_DEALLOC_VGPRS)
	s_endpgm
.LBB139_18:
	v_dual_mov_b32 v7, 0 :: v_dual_mov_b32 v8, 0
	s_mov_b32 s2, exec_lo
	v_cmpx_gt_i32_e64 s8, v0
	s_cbranch_execnz .LBB139_16
	s_branch .LBB139_17
	.section	.rodata,"a",@progbits
	.p2align	6, 0x0
	.amdhsa_kernel _ZN5aiter24topk_softplus_kernel_optI6__halfS1_Li128ELb1ELi1EEEvPKT_PKT0_PfPimiif
		.amdhsa_group_segment_fixed_size 0
		.amdhsa_private_segment_fixed_size 0
		.amdhsa_kernarg_size 52
		.amdhsa_user_sgpr_count 15
		.amdhsa_user_sgpr_dispatch_ptr 0
		.amdhsa_user_sgpr_queue_ptr 0
		.amdhsa_user_sgpr_kernarg_segment_ptr 1
		.amdhsa_user_sgpr_dispatch_id 0
		.amdhsa_user_sgpr_private_segment_size 0
		.amdhsa_wavefront_size32 1
		.amdhsa_uses_dynamic_stack 0
		.amdhsa_enable_private_segment 0
		.amdhsa_system_sgpr_workgroup_id_x 1
		.amdhsa_system_sgpr_workgroup_id_y 0
		.amdhsa_system_sgpr_workgroup_id_z 0
		.amdhsa_system_sgpr_workgroup_info 0
		.amdhsa_system_vgpr_workitem_id 0
		.amdhsa_next_free_vgpr 24
		.amdhsa_next_free_sgpr 16
		.amdhsa_reserve_vcc 1
		.amdhsa_float_round_mode_32 0
		.amdhsa_float_round_mode_16_64 0
		.amdhsa_float_denorm_mode_32 3
		.amdhsa_float_denorm_mode_16_64 3
		.amdhsa_dx10_clamp 1
		.amdhsa_ieee_mode 1
		.amdhsa_fp16_overflow 0
		.amdhsa_workgroup_processor_mode 1
		.amdhsa_memory_ordered 1
		.amdhsa_forward_progress 0
		.amdhsa_shared_vgpr_count 0
		.amdhsa_exception_fp_ieee_invalid_op 0
		.amdhsa_exception_fp_denorm_src 0
		.amdhsa_exception_fp_ieee_div_zero 0
		.amdhsa_exception_fp_ieee_overflow 0
		.amdhsa_exception_fp_ieee_underflow 0
		.amdhsa_exception_fp_ieee_inexact 0
		.amdhsa_exception_int_div_zero 0
	.end_amdhsa_kernel
	.section	.text._ZN5aiter24topk_softplus_kernel_optI6__halfS1_Li128ELb1ELi1EEEvPKT_PKT0_PfPimiif,"axG",@progbits,_ZN5aiter24topk_softplus_kernel_optI6__halfS1_Li128ELb1ELi1EEEvPKT_PKT0_PfPimiif,comdat
.Lfunc_end139:
	.size	_ZN5aiter24topk_softplus_kernel_optI6__halfS1_Li128ELb1ELi1EEEvPKT_PKT0_PfPimiif, .Lfunc_end139-_ZN5aiter24topk_softplus_kernel_optI6__halfS1_Li128ELb1ELi1EEEvPKT_PKT0_PfPimiif
                                        ; -- End function
	.section	.AMDGPU.csdata,"",@progbits
; Kernel info:
; codeLenInByte = 1512
; NumSgprs: 18
; NumVgprs: 24
; ScratchSize: 0
; MemoryBound: 0
; FloatMode: 240
; IeeeMode: 1
; LDSByteSize: 0 bytes/workgroup (compile time only)
; SGPRBlocks: 2
; VGPRBlocks: 2
; NumSGPRsForWavesPerEU: 18
; NumVGPRsForWavesPerEU: 24
; Occupancy: 16
; WaveLimiterHint : 0
; COMPUTE_PGM_RSRC2:SCRATCH_EN: 0
; COMPUTE_PGM_RSRC2:USER_SGPR: 15
; COMPUTE_PGM_RSRC2:TRAP_HANDLER: 0
; COMPUTE_PGM_RSRC2:TGID_X_EN: 1
; COMPUTE_PGM_RSRC2:TGID_Y_EN: 0
; COMPUTE_PGM_RSRC2:TGID_Z_EN: 0
; COMPUTE_PGM_RSRC2:TIDIG_COMP_CNT: 0
	.section	.text._ZN5aiter24topk_softplus_kernel_optI6__halfS1_Li128ELb0ELi1EEEvPKT_PKT0_PfPimiif,"axG",@progbits,_ZN5aiter24topk_softplus_kernel_optI6__halfS1_Li128ELb0ELi1EEEvPKT_PKT0_PfPimiif,comdat
	.protected	_ZN5aiter24topk_softplus_kernel_optI6__halfS1_Li128ELb0ELi1EEEvPKT_PKT0_PfPimiif ; -- Begin function _ZN5aiter24topk_softplus_kernel_optI6__halfS1_Li128ELb0ELi1EEEvPKT_PKT0_PfPimiif
	.globl	_ZN5aiter24topk_softplus_kernel_optI6__halfS1_Li128ELb0ELi1EEEvPKT_PKT0_PfPimiif
	.p2align	8
	.type	_ZN5aiter24topk_softplus_kernel_optI6__halfS1_Li128ELb0ELi1EEEvPKT_PKT0_PfPimiif,@function
_ZN5aiter24topk_softplus_kernel_optI6__halfS1_Li128ELb0ELi1EEEvPKT_PKT0_PfPimiif: ; @_ZN5aiter24topk_softplus_kernel_optI6__halfS1_Li128ELb0ELi1EEEvPKT_PKT0_PfPimiif
; %bb.0:
	s_load_b128 s[4:7], s[0:1], 0x0
	s_lshl_b32 s2, s15, 7
	v_lshlrev_b32_e32 v3, 1, v0
	s_ashr_i32 s3, s2, 31
	s_delay_alu instid0(SALU_CYCLE_1)
	s_lshl_b64 s[2:3], s[2:3], 1
	s_waitcnt lgkmcnt(0)
	s_add_u32 s4, s4, s2
	s_addc_u32 s5, s5, s3
	s_mov_b32 s3, 0xbfb8aa3b
	global_load_u16 v1, v3, s[4:5]
	s_cmp_lg_u64 s[6:7], 0
	s_cselect_b32 s2, -1, 0
	s_waitcnt vmcnt(0)
	v_cvt_f32_f16_e32 v2, v1
	s_delay_alu instid0(VALU_DEP_1) | instskip(NEXT) | instid1(VALU_DEP_1)
	v_mul_f32_e32 v2, 0xbfb8aa3b, v2
	v_cmp_gt_f32_e32 vcc_lo, 0xc2fc0000, v2
	v_cndmask_b32_e64 v2, 0, 0x42800000, vcc_lo
	s_delay_alu instid0(VALU_DEP_1) | instskip(SKIP_2) | instid1(VALU_DEP_2)
	v_fma_mix_f32 v1, v1, s3, v2 op_sel_hi:[1,0,0]
	v_cndmask_b32_e64 v2, 1.0, 0x1f800000, vcc_lo
	s_and_b32 vcc_lo, exec_lo, s2
	v_exp_f32_e32 v1, v1
	s_waitcnt_depctr 0xfff
	v_fma_f32 v1, v1, v2, 1.0
	s_delay_alu instid0(VALU_DEP_1) | instskip(SKIP_1) | instid1(VALU_DEP_1)
	v_rcp_f32_e32 v5, v1
	v_add_co_u32 v1, s4, s4, v3
	v_add_co_ci_u32_e64 v2, null, s5, 0, s4
	s_waitcnt_depctr 0xfff
	v_mov_b32_e32 v10, v5
	s_cbranch_vccz .LBB140_2
; %bb.1:
	global_load_u16 v4, v3, s[6:7]
	s_waitcnt vmcnt(0)
	v_cvt_f32_f16_e32 v4, v4
	s_delay_alu instid0(VALU_DEP_1)
	v_add_f32_e32 v10, v5, v4
.LBB140_2:
	global_load_u16 v4, v[1:2], off offset:64
	s_waitcnt vmcnt(0)
	v_cvt_f32_f16_e32 v6, v4
	s_delay_alu instid0(VALU_DEP_1) | instskip(NEXT) | instid1(VALU_DEP_1)
	v_mul_f32_e32 v6, 0xbfb8aa3b, v6
	v_cmp_gt_f32_e32 vcc_lo, 0xc2fc0000, v6
	v_cndmask_b32_e64 v7, 0, 0x42800000, vcc_lo
	v_cndmask_b32_e64 v6, 1.0, 0x1f800000, vcc_lo
	s_and_not1_b32 vcc_lo, exec_lo, s2
	s_delay_alu instid0(VALU_DEP_2) | instskip(SKIP_1) | instid1(VALU_DEP_2)
	v_fma_mix_f32 v4, v4, s3, v7 op_sel_hi:[1,0,0]
	v_cndmask_b32_e64 v7, 0, 1, s2
	v_exp_f32_e32 v4, v4
	s_waitcnt_depctr 0xfff
	v_fma_f32 v4, v4, v6, 1.0
	s_delay_alu instid0(VALU_DEP_1)
	v_rcp_f32_e32 v8, v4
	s_waitcnt_depctr 0xfff
	v_mov_b32_e32 v11, v8
	s_cbranch_vccnz .LBB140_4
; %bb.3:
	global_load_u16 v4, v3, s[6:7] offset:64
	s_waitcnt vmcnt(0)
	v_cvt_f32_f16_e32 v4, v4
	s_delay_alu instid0(VALU_DEP_1)
	v_add_f32_e32 v11, v8, v4
.LBB140_4:
	global_load_u16 v4, v[1:2], off offset:128
	s_mov_b32 s2, 0xbfb8aa3b
	s_waitcnt vmcnt(0)
	v_cvt_f32_f16_e32 v6, v4
	s_delay_alu instid0(VALU_DEP_1) | instskip(NEXT) | instid1(VALU_DEP_1)
	v_mul_f32_e32 v6, 0xbfb8aa3b, v6
	v_cmp_gt_f32_e32 vcc_lo, 0xc2fc0000, v6
	v_cndmask_b32_e64 v9, 0, 0x42800000, vcc_lo
	v_cndmask_b32_e64 v6, 1.0, 0x1f800000, vcc_lo
	v_cmp_ne_u32_e32 vcc_lo, 1, v7
	s_delay_alu instid0(VALU_DEP_3) | instskip(SKIP_1) | instid1(VALU_DEP_1)
	v_fma_mix_f32 v4, v4, s2, v9 op_sel_hi:[1,0,0]
	s_and_b32 vcc_lo, exec_lo, vcc_lo
	v_exp_f32_e32 v4, v4
	s_waitcnt_depctr 0xfff
	v_fma_f32 v4, v4, v6, 1.0
	s_delay_alu instid0(VALU_DEP_1)
	v_rcp_f32_e32 v4, v4
	s_waitcnt_depctr 0xfff
	v_mov_b32_e32 v6, v4
	s_cbranch_vccnz .LBB140_6
; %bb.5:
	global_load_u16 v6, v3, s[6:7] offset:128
	s_waitcnt vmcnt(0)
	v_cvt_f32_f16_e32 v6, v6
	s_delay_alu instid0(VALU_DEP_1)
	v_add_f32_e32 v6, v4, v6
.LBB140_6:
	global_load_u16 v1, v[1:2], off offset:192
	s_waitcnt vmcnt(0)
	v_cvt_f32_f16_e32 v2, v1
	s_delay_alu instid0(VALU_DEP_1) | instskip(NEXT) | instid1(VALU_DEP_1)
	v_mul_f32_e32 v2, 0xbfb8aa3b, v2
	v_cmp_gt_f32_e32 vcc_lo, 0xc2fc0000, v2
	v_cndmask_b32_e64 v9, 0, 0x42800000, vcc_lo
	v_cndmask_b32_e64 v2, 1.0, 0x1f800000, vcc_lo
	v_cmp_ne_u32_e32 vcc_lo, 1, v7
	s_delay_alu instid0(VALU_DEP_3) | instskip(SKIP_1) | instid1(VALU_DEP_1)
	v_fma_mix_f32 v1, v1, s2, v9 op_sel_hi:[1,0,0]
	s_and_b32 vcc_lo, exec_lo, vcc_lo
	v_exp_f32_e32 v1, v1
	s_waitcnt_depctr 0xfff
	v_fma_f32 v1, v1, v2, 1.0
	s_delay_alu instid0(VALU_DEP_1)
	v_rcp_f32_e32 v1, v1
	s_waitcnt_depctr 0xfff
	v_mov_b32_e32 v2, v1
	s_cbranch_vccnz .LBB140_8
; %bb.7:
	global_load_u16 v2, v3, s[6:7] offset:192
	s_waitcnt vmcnt(0)
	v_cvt_f32_f16_e32 v2, v2
	s_delay_alu instid0(VALU_DEP_1)
	v_add_f32_e32 v2, v1, v2
.LBB140_8:
	v_cmp_lt_f32_e32 vcc_lo, v10, v11
	v_add_nc_u32_e32 v12, 32, v0
	v_add_nc_u32_e32 v13, 64, v0
	v_add_nc_u32_e32 v3, 0x60, v0
	s_mov_b32 s2, exec_lo
	v_cndmask_b32_e32 v7, v8, v5, vcc_lo
	v_cndmask_b32_e32 v5, v5, v8, vcc_lo
	;; [unrolled: 1-line block ×3, first 2 shown]
	v_dual_cndmask_b32 v12, v0, v12 :: v_dual_mov_b32 v15, v6
	v_cndmask_b32_e32 v8, v11, v10, vcc_lo
	v_cndmask_b32_e32 v10, v10, v11, vcc_lo
	v_cmpx_lt_f32_e32 v6, v2
	s_xor_b32 s2, exec_lo, s2
; %bb.9:
	v_dual_mov_b32 v16, v6 :: v_dual_mov_b32 v11, v4
	v_mov_b32_e32 v14, v13
	v_swap_b32 v4, v1
	v_swap_b32 v13, v3
	v_mov_b32_e32 v6, v2
	v_dual_mov_b32 v15, v2 :: v_dual_mov_b32 v2, v16
; %bb.10:
	s_or_b32 exec_lo, exec_lo, s2
	s_delay_alu instid0(VALU_DEP_2)
	v_cmp_lt_f32_e32 vcc_lo, v10, v6
	s_mov_b32 s2, exec_lo
	v_dual_cndmask_b32 v14, v4, v5 :: v_dual_cndmask_b32 v11, v13, v12
	v_dual_cndmask_b32 v4, v5, v4 :: v_dual_cndmask_b32 v5, v12, v13
	v_dual_cndmask_b32 v12, v15, v10 :: v_dual_mov_b32 v13, v8
	v_cndmask_b32_e32 v6, v10, v6, vcc_lo
	v_cmpx_lt_f32_e32 v8, v2
; %bb.11:
	v_dual_mov_b32 v15, v8 :: v_dual_mov_b32 v8, v2
	v_dual_mov_b32 v10, v7 :: v_dual_mov_b32 v13, v9
	v_swap_b32 v7, v1
	v_swap_b32 v9, v3
	s_delay_alu instid0(VALU_DEP_4)
	v_dual_mov_b32 v13, v2 :: v_dual_mov_b32 v2, v15
; %bb.12:
	s_or_b32 exec_lo, exec_lo, s2
	s_clause 0x1
	s_load_b32 s8, s[0:1], 0x28
	s_load_b128 s[4:7], s[0:1], 0x10
	s_waitcnt lgkmcnt(0)
	s_cmp_lt_i32 s8, 1
	s_cbranch_scc1 .LBB140_18
; %bb.13:
	v_cmp_lt_f32_e32 vcc_lo, v8, v12
	v_dual_mov_b32 v15, 0 :: v_dual_mov_b32 v16, v0
	s_mov_b32 s9, 0x76543210
	s_mov_b32 s10, s8
	v_dual_cndmask_b32 v10, v11, v9 :: v_dual_cndmask_b32 v9, v9, v11
	v_cndmask_b32_e32 v11, v12, v8, vcc_lo
	v_dual_cndmask_b32 v12, v13, v12 :: v_dual_cndmask_b32 v13, v14, v7
	v_cndmask_b32_e32 v14, v7, v14, vcc_lo
	v_dual_mov_b32 v8, 0 :: v_dual_mov_b32 v7, 0
.LBB140_14:                             ; =>This Inner Loop Header: Depth=1
	v_cmp_eq_u32_e32 vcc_lo, 1, v15
	v_cmp_eq_u32_e64 s2, 2, v15
	v_cmp_gt_u32_e64 s3, 4, v15
	v_dual_cndmask_b32 v17, v6, v12 :: v_dual_cndmask_b32 v18, v5, v9
	v_cndmask_b32_e32 v19, v4, v14, vcc_lo
	v_cmp_eq_u32_e32 vcc_lo, 3, v15
	s_delay_alu instid0(VALU_DEP_3) | instskip(NEXT) | instid1(VALU_DEP_4)
	v_cndmask_b32_e64 v17, v17, v11, s2
	v_cndmask_b32_e64 v18, v18, v10, s2
	s_delay_alu instid0(VALU_DEP_1) | instskip(NEXT) | instid1(VALU_DEP_1)
	v_dual_cndmask_b32 v17, v17, v2 :: v_dual_cndmask_b32 v18, v18, v3
	v_cndmask_b32_e64 v17, 0xff800000, v17, s3
	;;#ASMSTART
	v_max_f32 v20, v17, v17 quad_perm:[1,0,3,2] row_mask:0xf bank_mask:0xf bound_ctrl:1
	;;#ASMEND
	;;#ASMSTART
	v_max_f32 v21, v20, v20 quad_perm:[2,3,0,1] row_mask:0xf bank_mask:0xf bound_ctrl:1
	;;#ASMEND
	;;#ASMSTART
	v_max_f32 v20, v21, v21 row_half_mirror row_mask:0xf bank_mask:0xf bound_ctrl:1
	;;#ASMEND
	;;#ASMSTART
	v_max_f32 v21, v20, v20 row_mirror row_mask:0xf bank_mask:0xf bound_ctrl:1
	;;#ASMEND
	v_permlanex16_b32 v20, v21, s9, 0xfedcba98 op_sel:[1,1]
	s_delay_alu instid0(VALU_DEP_1) | instskip(NEXT) | instid1(VALU_DEP_1)
	v_dual_max_f32 v21, v21, v21 :: v_dual_max_f32 v20, v20, v20
	v_max_f32_e32 v20, v21, v20
	v_cndmask_b32_e64 v19, v19, v13, s2
	s_delay_alu instid0(VALU_DEP_2) | instskip(SKIP_1) | instid1(VALU_DEP_2)
	v_cmp_eq_f32_e64 s2, v17, v20
	v_cndmask_b32_e64 v17, 0, v18, s3
	s_ctz_i32_b32 s11, s2
	s_cmp_lg_u32 s2, 0
	s_cselect_b32 s2, s11, 0
	s_add_i32 s10, s10, -1
	v_readlane_b32 s11, v17, s2
	v_cndmask_b32_e32 v17, v19, v1, vcc_lo
	s_delay_alu instid0(VALU_DEP_2)
	v_cmp_eq_u32_e32 vcc_lo, s11, v18
	s_and_b32 s2, s11, 31
	s_and_b32 vcc_lo, s3, vcc_lo
	s_cmp_eq_u32 s10, 0
	v_cndmask_b32_e32 v17, 0, v17, vcc_lo
	v_add_co_ci_u32_e32 v15, vcc_lo, 0, v15, vcc_lo
	s_delay_alu instid0(VALU_DEP_2) | instskip(SKIP_2) | instid1(VALU_DEP_2)
	v_readlane_b32 s3, v17, s2
	v_cmp_eq_u32_e64 s2, 0, v16
	v_add_nc_u32_e32 v16, -1, v16
	v_cndmask_b32_e64 v8, v8, s3, s2
	v_cndmask_b32_e64 v7, v7, s11, s2
	s_cbranch_scc0 .LBB140_14
; %bb.15:
	s_mov_b32 s2, exec_lo
	v_cmpx_gt_i32_e64 s8, v0
	s_cbranch_execz .LBB140_17
.LBB140_16:
	s_clause 0x1
	s_load_b64 s[2:3], s[0:1], 0x20
	s_load_b32 s8, s[0:1], 0x30
	s_ashr_i32 s0, s15, 31
	v_lshlrev_b32_e32 v0, 2, v0
	s_waitcnt lgkmcnt(0)
	s_mul_i32 s1, s15, s3
	s_mul_hi_u32 s3, s15, s2
	s_mul_i32 s0, s0, s2
	s_add_i32 s1, s3, s1
	v_mul_f32_e32 v1, s8, v8
	s_add_i32 s1, s1, s0
	s_mul_i32 s0, s15, s2
	s_delay_alu instid0(SALU_CYCLE_1) | instskip(NEXT) | instid1(SALU_CYCLE_1)
	s_lshl_b64 s[0:1], s[0:1], 2
	s_add_u32 s2, s4, s0
	s_addc_u32 s3, s5, s1
	s_add_u32 s0, s6, s0
	s_addc_u32 s1, s7, s1
	s_clause 0x1
	global_store_b32 v0, v1, s[2:3]
	global_store_b32 v0, v7, s[0:1]
.LBB140_17:
	s_nop 0
	s_sendmsg sendmsg(MSG_DEALLOC_VGPRS)
	s_endpgm
.LBB140_18:
	v_dual_mov_b32 v7, 0 :: v_dual_mov_b32 v8, 0
	s_mov_b32 s2, exec_lo
	v_cmpx_gt_i32_e64 s8, v0
	s_cbranch_execnz .LBB140_16
	s_branch .LBB140_17
	.section	.rodata,"a",@progbits
	.p2align	6, 0x0
	.amdhsa_kernel _ZN5aiter24topk_softplus_kernel_optI6__halfS1_Li128ELb0ELi1EEEvPKT_PKT0_PfPimiif
		.amdhsa_group_segment_fixed_size 0
		.amdhsa_private_segment_fixed_size 0
		.amdhsa_kernarg_size 52
		.amdhsa_user_sgpr_count 15
		.amdhsa_user_sgpr_dispatch_ptr 0
		.amdhsa_user_sgpr_queue_ptr 0
		.amdhsa_user_sgpr_kernarg_segment_ptr 1
		.amdhsa_user_sgpr_dispatch_id 0
		.amdhsa_user_sgpr_private_segment_size 0
		.amdhsa_wavefront_size32 1
		.amdhsa_uses_dynamic_stack 0
		.amdhsa_enable_private_segment 0
		.amdhsa_system_sgpr_workgroup_id_x 1
		.amdhsa_system_sgpr_workgroup_id_y 0
		.amdhsa_system_sgpr_workgroup_id_z 0
		.amdhsa_system_sgpr_workgroup_info 0
		.amdhsa_system_vgpr_workitem_id 0
		.amdhsa_next_free_vgpr 22
		.amdhsa_next_free_sgpr 16
		.amdhsa_reserve_vcc 1
		.amdhsa_float_round_mode_32 0
		.amdhsa_float_round_mode_16_64 0
		.amdhsa_float_denorm_mode_32 3
		.amdhsa_float_denorm_mode_16_64 3
		.amdhsa_dx10_clamp 1
		.amdhsa_ieee_mode 1
		.amdhsa_fp16_overflow 0
		.amdhsa_workgroup_processor_mode 1
		.amdhsa_memory_ordered 1
		.amdhsa_forward_progress 0
		.amdhsa_shared_vgpr_count 0
		.amdhsa_exception_fp_ieee_invalid_op 0
		.amdhsa_exception_fp_denorm_src 0
		.amdhsa_exception_fp_ieee_div_zero 0
		.amdhsa_exception_fp_ieee_overflow 0
		.amdhsa_exception_fp_ieee_underflow 0
		.amdhsa_exception_fp_ieee_inexact 0
		.amdhsa_exception_int_div_zero 0
	.end_amdhsa_kernel
	.section	.text._ZN5aiter24topk_softplus_kernel_optI6__halfS1_Li128ELb0ELi1EEEvPKT_PKT0_PfPimiif,"axG",@progbits,_ZN5aiter24topk_softplus_kernel_optI6__halfS1_Li128ELb0ELi1EEEvPKT_PKT0_PfPimiif,comdat
.Lfunc_end140:
	.size	_ZN5aiter24topk_softplus_kernel_optI6__halfS1_Li128ELb0ELi1EEEvPKT_PKT0_PfPimiif, .Lfunc_end140-_ZN5aiter24topk_softplus_kernel_optI6__halfS1_Li128ELb0ELi1EEEvPKT_PKT0_PfPimiif
                                        ; -- End function
	.section	.AMDGPU.csdata,"",@progbits
; Kernel info:
; codeLenInByte = 1384
; NumSgprs: 18
; NumVgprs: 22
; ScratchSize: 0
; MemoryBound: 0
; FloatMode: 240
; IeeeMode: 1
; LDSByteSize: 0 bytes/workgroup (compile time only)
; SGPRBlocks: 2
; VGPRBlocks: 2
; NumSGPRsForWavesPerEU: 18
; NumVGPRsForWavesPerEU: 22
; Occupancy: 16
; WaveLimiterHint : 0
; COMPUTE_PGM_RSRC2:SCRATCH_EN: 0
; COMPUTE_PGM_RSRC2:USER_SGPR: 15
; COMPUTE_PGM_RSRC2:TRAP_HANDLER: 0
; COMPUTE_PGM_RSRC2:TGID_X_EN: 1
; COMPUTE_PGM_RSRC2:TGID_Y_EN: 0
; COMPUTE_PGM_RSRC2:TGID_Z_EN: 0
; COMPUTE_PGM_RSRC2:TIDIG_COMP_CNT: 0
	.section	.text._ZN5aiter24topk_softplus_kernel_optI6__halfS1_Li256ELb1ELi1EEEvPKT_PKT0_PfPimiif,"axG",@progbits,_ZN5aiter24topk_softplus_kernel_optI6__halfS1_Li256ELb1ELi1EEEvPKT_PKT0_PfPimiif,comdat
	.protected	_ZN5aiter24topk_softplus_kernel_optI6__halfS1_Li256ELb1ELi1EEEvPKT_PKT0_PfPimiif ; -- Begin function _ZN5aiter24topk_softplus_kernel_optI6__halfS1_Li256ELb1ELi1EEEvPKT_PKT0_PfPimiif
	.globl	_ZN5aiter24topk_softplus_kernel_optI6__halfS1_Li256ELb1ELi1EEEvPKT_PKT0_PfPimiif
	.p2align	8
	.type	_ZN5aiter24topk_softplus_kernel_optI6__halfS1_Li256ELb1ELi1EEEvPKT_PKT0_PfPimiif,@function
_ZN5aiter24topk_softplus_kernel_optI6__halfS1_Li256ELb1ELi1EEEvPKT_PKT0_PfPimiif: ; @_ZN5aiter24topk_softplus_kernel_optI6__halfS1_Li256ELb1ELi1EEEvPKT_PKT0_PfPimiif
; %bb.0:
	s_load_b128 s[4:7], s[0:1], 0x0
	s_lshl_b32 s2, s15, 8
	v_lshlrev_b32_e32 v3, 1, v0
	s_ashr_i32 s3, s2, 31
	s_delay_alu instid0(SALU_CYCLE_1)
	s_lshl_b64 s[2:3], s[2:3], 1
	s_waitcnt lgkmcnt(0)
	s_add_u32 s4, s4, s2
	s_addc_u32 s5, s5, s3
	s_mov_b32 s3, 0xbfb8aa3b
	global_load_u16 v1, v3, s[4:5]
	s_cmp_lg_u64 s[6:7], 0
	s_cselect_b32 s2, -1, 0
	s_waitcnt vmcnt(0)
	v_cvt_f32_f16_e32 v2, v1
	s_delay_alu instid0(VALU_DEP_1) | instskip(NEXT) | instid1(VALU_DEP_1)
	v_mul_f32_e32 v2, 0xbfb8aa3b, v2
	v_cmp_gt_f32_e32 vcc_lo, 0xc2fc0000, v2
	v_cndmask_b32_e64 v2, 0, 0x42800000, vcc_lo
	s_delay_alu instid0(VALU_DEP_1) | instskip(SKIP_2) | instid1(VALU_DEP_2)
	v_fma_mix_f32 v1, v1, s3, v2 op_sel_hi:[1,0,0]
	v_cndmask_b32_e64 v2, 1.0, 0x1f800000, vcc_lo
	s_and_b32 vcc_lo, exec_lo, s2
	v_exp_f32_e32 v1, v1
	s_waitcnt_depctr 0xfff
	v_fma_f32 v1, v1, v2, 1.0
	s_delay_alu instid0(VALU_DEP_1) | instskip(SKIP_1) | instid1(VALU_DEP_1)
	v_rcp_f32_e32 v48, v1
	v_add_co_u32 v1, s4, s4, v3
	v_add_co_ci_u32_e64 v2, null, s5, 0, s4
	s_waitcnt_depctr 0xfff
	v_mov_b32_e32 v32, v48
	s_cbranch_vccz .LBB141_2
; %bb.1:
	global_load_u16 v4, v3, s[6:7]
	s_waitcnt vmcnt(0)
	v_cvt_f32_f16_e32 v4, v4
	s_delay_alu instid0(VALU_DEP_1)
	v_add_f32_e32 v32, v48, v4
.LBB141_2:
	global_load_u16 v4, v[1:2], off offset:64
	s_waitcnt vmcnt(0)
	v_cvt_f32_f16_e32 v5, v4
	s_delay_alu instid0(VALU_DEP_1) | instskip(NEXT) | instid1(VALU_DEP_1)
	v_mul_f32_e32 v5, 0xbfb8aa3b, v5
	v_cmp_gt_f32_e32 vcc_lo, 0xc2fc0000, v5
	v_cndmask_b32_e64 v6, 0, 0x42800000, vcc_lo
	v_cndmask_b32_e64 v5, 1.0, 0x1f800000, vcc_lo
	s_and_not1_b32 vcc_lo, exec_lo, s2
	s_delay_alu instid0(VALU_DEP_2) | instskip(NEXT) | instid1(VALU_DEP_1)
	v_fma_mix_f32 v4, v4, s3, v6 op_sel_hi:[1,0,0]
	v_exp_f32_e32 v4, v4
	s_waitcnt_depctr 0xfff
	v_fma_f32 v4, v4, v5, 1.0
	s_delay_alu instid0(VALU_DEP_1)
	v_rcp_f32_e32 v17, v4
	v_cndmask_b32_e64 v4, 0, 1, s2
	s_waitcnt_depctr 0xfff
	v_mov_b32_e32 v33, v17
	s_cbranch_vccnz .LBB141_4
; %bb.3:
	global_load_u16 v5, v3, s[6:7] offset:64
	s_waitcnt vmcnt(0)
	v_cvt_f32_f16_e32 v5, v5
	s_delay_alu instid0(VALU_DEP_1)
	v_add_f32_e32 v33, v17, v5
.LBB141_4:
	global_load_u16 v5, v[1:2], off offset:128
	s_mov_b32 s2, 0xbfb8aa3b
	s_waitcnt vmcnt(0)
	v_cvt_f32_f16_e32 v6, v5
	s_delay_alu instid0(VALU_DEP_1) | instskip(NEXT) | instid1(VALU_DEP_1)
	v_mul_f32_e32 v6, 0xbfb8aa3b, v6
	v_cmp_gt_f32_e32 vcc_lo, 0xc2fc0000, v6
	v_cndmask_b32_e64 v7, 0, 0x42800000, vcc_lo
	v_cndmask_b32_e64 v6, 1.0, 0x1f800000, vcc_lo
	v_cmp_ne_u32_e32 vcc_lo, 1, v4
	s_delay_alu instid0(VALU_DEP_3) | instskip(SKIP_1) | instid1(VALU_DEP_1)
	v_fma_mix_f32 v5, v5, s2, v7 op_sel_hi:[1,0,0]
	s_and_b32 vcc_lo, exec_lo, vcc_lo
	v_exp_f32_e32 v5, v5
	s_waitcnt_depctr 0xfff
	v_fma_f32 v5, v5, v6, 1.0
	s_delay_alu instid0(VALU_DEP_1)
	v_rcp_f32_e32 v18, v5
	s_waitcnt_depctr 0xfff
	v_mov_b32_e32 v34, v18
	s_cbranch_vccnz .LBB141_6
; %bb.5:
	global_load_u16 v5, v3, s[6:7] offset:128
	s_waitcnt vmcnt(0)
	v_cvt_f32_f16_e32 v5, v5
	s_delay_alu instid0(VALU_DEP_1)
	v_add_f32_e32 v34, v18, v5
.LBB141_6:
	global_load_u16 v5, v[1:2], off offset:192
	s_waitcnt vmcnt(0)
	v_cvt_f32_f16_e32 v6, v5
	s_delay_alu instid0(VALU_DEP_1) | instskip(NEXT) | instid1(VALU_DEP_1)
	v_mul_f32_e32 v6, 0xbfb8aa3b, v6
	v_cmp_gt_f32_e32 vcc_lo, 0xc2fc0000, v6
	v_cndmask_b32_e64 v7, 0, 0x42800000, vcc_lo
	v_cndmask_b32_e64 v6, 1.0, 0x1f800000, vcc_lo
	v_cmp_ne_u32_e32 vcc_lo, 1, v4
	s_delay_alu instid0(VALU_DEP_3) | instskip(SKIP_1) | instid1(VALU_DEP_1)
	v_fma_mix_f32 v5, v5, s2, v7 op_sel_hi:[1,0,0]
	s_and_b32 vcc_lo, exec_lo, vcc_lo
	v_exp_f32_e32 v5, v5
	s_waitcnt_depctr 0xfff
	v_fma_f32 v5, v5, v6, 1.0
	s_delay_alu instid0(VALU_DEP_1)
	v_rcp_f32_e32 v19, v5
	s_waitcnt_depctr 0xfff
	v_mov_b32_e32 v35, v19
	s_cbranch_vccnz .LBB141_8
; %bb.7:
	global_load_u16 v5, v3, s[6:7] offset:192
	s_waitcnt vmcnt(0)
	v_cvt_f32_f16_e32 v5, v5
	s_delay_alu instid0(VALU_DEP_1)
	v_add_f32_e32 v35, v19, v5
.LBB141_8:
	global_load_u16 v5, v[1:2], off offset:256
	s_waitcnt vmcnt(0)
	v_cvt_f32_f16_e32 v6, v5
	s_delay_alu instid0(VALU_DEP_1) | instskip(NEXT) | instid1(VALU_DEP_1)
	v_mul_f32_e32 v6, 0xbfb8aa3b, v6
	v_cmp_gt_f32_e32 vcc_lo, 0xc2fc0000, v6
	v_cndmask_b32_e64 v7, 0, 0x42800000, vcc_lo
	v_cndmask_b32_e64 v6, 1.0, 0x1f800000, vcc_lo
	v_cmp_ne_u32_e32 vcc_lo, 1, v4
	s_delay_alu instid0(VALU_DEP_3) | instskip(SKIP_1) | instid1(VALU_DEP_1)
	v_fma_mix_f32 v5, v5, s2, v7 op_sel_hi:[1,0,0]
	s_and_b32 vcc_lo, exec_lo, vcc_lo
	v_exp_f32_e32 v5, v5
	s_waitcnt_depctr 0xfff
	v_fma_f32 v5, v5, v6, 1.0
	s_delay_alu instid0(VALU_DEP_1)
	v_rcp_f32_e32 v20, v5
	s_waitcnt_depctr 0xfff
	v_mov_b32_e32 v36, v20
	s_cbranch_vccnz .LBB141_10
; %bb.9:
	global_load_u16 v5, v3, s[6:7] offset:256
	s_waitcnt vmcnt(0)
	v_cvt_f32_f16_e32 v5, v5
	s_delay_alu instid0(VALU_DEP_1)
	v_add_f32_e32 v36, v20, v5
.LBB141_10:
	global_load_u16 v5, v[1:2], off offset:320
	s_waitcnt vmcnt(0)
	v_cvt_f32_f16_e32 v6, v5
	s_delay_alu instid0(VALU_DEP_1) | instskip(NEXT) | instid1(VALU_DEP_1)
	v_mul_f32_e32 v6, 0xbfb8aa3b, v6
	v_cmp_gt_f32_e32 vcc_lo, 0xc2fc0000, v6
	v_cndmask_b32_e64 v7, 0, 0x42800000, vcc_lo
	v_cndmask_b32_e64 v6, 1.0, 0x1f800000, vcc_lo
	v_cmp_ne_u32_e32 vcc_lo, 1, v4
	s_delay_alu instid0(VALU_DEP_3) | instskip(SKIP_1) | instid1(VALU_DEP_1)
	v_fma_mix_f32 v5, v5, s2, v7 op_sel_hi:[1,0,0]
	s_and_b32 vcc_lo, exec_lo, vcc_lo
	v_exp_f32_e32 v5, v5
	s_waitcnt_depctr 0xfff
	v_fma_f32 v5, v5, v6, 1.0
	s_delay_alu instid0(VALU_DEP_1)
	v_rcp_f32_e32 v21, v5
	s_waitcnt_depctr 0xfff
	v_mov_b32_e32 v37, v21
	s_cbranch_vccnz .LBB141_12
; %bb.11:
	global_load_u16 v5, v3, s[6:7] offset:320
	s_waitcnt vmcnt(0)
	v_cvt_f32_f16_e32 v5, v5
	s_delay_alu instid0(VALU_DEP_1)
	v_add_f32_e32 v37, v21, v5
.LBB141_12:
	global_load_u16 v5, v[1:2], off offset:384
	s_waitcnt vmcnt(0)
	v_cvt_f32_f16_e32 v6, v5
	s_delay_alu instid0(VALU_DEP_1) | instskip(NEXT) | instid1(VALU_DEP_1)
	v_mul_f32_e32 v6, 0xbfb8aa3b, v6
	v_cmp_gt_f32_e32 vcc_lo, 0xc2fc0000, v6
	v_cndmask_b32_e64 v7, 0, 0x42800000, vcc_lo
	v_cndmask_b32_e64 v6, 1.0, 0x1f800000, vcc_lo
	v_cmp_ne_u32_e32 vcc_lo, 1, v4
	s_delay_alu instid0(VALU_DEP_3) | instskip(SKIP_1) | instid1(VALU_DEP_1)
	v_fma_mix_f32 v5, v5, s2, v7 op_sel_hi:[1,0,0]
	s_and_b32 vcc_lo, exec_lo, vcc_lo
	v_exp_f32_e32 v5, v5
	s_waitcnt_depctr 0xfff
	v_fma_f32 v5, v5, v6, 1.0
	s_delay_alu instid0(VALU_DEP_1)
	v_rcp_f32_e32 v22, v5
	s_waitcnt_depctr 0xfff
	v_mov_b32_e32 v38, v22
	s_cbranch_vccnz .LBB141_14
; %bb.13:
	global_load_u16 v5, v3, s[6:7] offset:384
	s_waitcnt vmcnt(0)
	v_cvt_f32_f16_e32 v5, v5
	s_delay_alu instid0(VALU_DEP_1)
	v_add_f32_e32 v38, v22, v5
.LBB141_14:
	global_load_u16 v1, v[1:2], off offset:448
	s_waitcnt vmcnt(0)
	v_cvt_f32_f16_e32 v2, v1
	s_delay_alu instid0(VALU_DEP_1) | instskip(NEXT) | instid1(VALU_DEP_1)
	v_mul_f32_e32 v2, 0xbfb8aa3b, v2
	v_cmp_gt_f32_e32 vcc_lo, 0xc2fc0000, v2
	v_cndmask_b32_e64 v5, 0, 0x42800000, vcc_lo
	v_cndmask_b32_e64 v2, 1.0, 0x1f800000, vcc_lo
	v_cmp_ne_u32_e32 vcc_lo, 1, v4
	s_delay_alu instid0(VALU_DEP_3) | instskip(NEXT) | instid1(VALU_DEP_1)
	v_fma_mix_f32 v1, v1, s2, v5 op_sel_hi:[1,0,0]
	v_exp_f32_e32 v1, v1
	s_waitcnt_depctr 0xfff
	v_fma_f32 v1, v1, v2, 1.0
	s_delay_alu instid0(VALU_DEP_1)
	v_rcp_f32_e32 v23, v1
	s_cbranch_vccnz .LBB141_16
; %bb.15:
	global_load_u16 v1, v3, s[6:7] offset:448
	s_waitcnt vmcnt(0)
	v_cvt_f32_f16_e32 v1, v1
	s_delay_alu instid0(VALU_DEP_1)
	v_add_f32_e32 v39, v23, v1
	s_branch .LBB141_17
.LBB141_16:
	s_waitcnt_depctr 0xfff
	v_mov_b32_e32 v39, v23
.LBB141_17:
	v_add_nc_u32_e32 v7, 0xe0, v0
	v_dual_mov_b32 v8, v32 :: v_dual_add_nc_u32 v1, 32, v0
	v_dual_mov_b32 v9, v33 :: v_dual_add_nc_u32 v2, 64, v0
	;; [unrolled: 1-line block ×6, first 2 shown]
	v_dual_mov_b32 v14, v38 :: v_dual_mov_b32 v31, v7
	s_delay_alu instid0(VALU_DEP_2)
	v_dual_mov_b32 v47, v7 :: v_dual_mov_b32 v46, v6
	v_dual_mov_b32 v78, v7 :: v_dual_mov_b32 v77, v6
	;; [unrolled: 1-line block ×9, first 2 shown]
	v_mov_b32_e32 v40, v0
	v_dual_mov_b32 v76, v5 :: v_dual_mov_b32 v75, v4
	v_dual_mov_b32 v74, v3 :: v_dual_mov_b32 v73, v2
	;; [unrolled: 1-line block ×7, first 2 shown]
	s_mov_b32 s2, exec_lo
	v_cmpx_lt_f32_e32 v32, v33
	s_xor_b32 s2, exec_lo, s2
	s_cbranch_execz .LBB141_19
; %bb.18:
	v_dual_mov_b32 v30, v6 :: v_dual_mov_b32 v31, v7
	v_dual_mov_b32 v24, v1 :: v_dual_mov_b32 v25, v0
	;; [unrolled: 1-line block ×4, first 2 shown]
	s_delay_alu instid0(VALU_DEP_4)
	v_dual_mov_b32 v47, v31 :: v_dual_mov_b32 v46, v30
	v_dual_mov_b32 v78, v31 :: v_dual_mov_b32 v77, v30
	;; [unrolled: 1-line block ×17, first 2 shown]
	v_mov_b32_e32 v17, v48
	v_mov_b32_e32 v1, v0
.LBB141_19:
	s_or_b32 exec_lo, exec_lo, s2
	v_dual_mov_b32 v62, v23 :: v_dual_mov_b32 v61, v22
	v_dual_mov_b32 v86, v23 :: v_dual_mov_b32 v85, v22
	;; [unrolled: 1-line block ×16, first 2 shown]
	v_mov_b32_e32 v32, v10
	s_mov_b32 s2, exec_lo
	v_cmpx_lt_f32_e32 v33, v10
	s_cbranch_execz .LBB141_21
; %bb.20:
	v_dual_mov_b32 v70, v31 :: v_dual_mov_b32 v69, v30
	v_dual_mov_b32 v64, v25 :: v_dual_mov_b32 v63, v24
	;; [unrolled: 1-line block ×13, first 2 shown]
	v_mov_b32_e32 v74, v3
	v_dual_mov_b32 v87, v95 :: v_dual_mov_b32 v88, v96
	v_dual_mov_b32 v76, v68 :: v_dual_mov_b32 v75, v67
	;; [unrolled: 1-line block ×5, first 2 shown]
	v_mov_b32_e32 v90, v19
	v_dual_mov_b32 v40, v71 :: v_dual_mov_b32 v45, v76
	v_mov_b32_e32 v41, v72
	v_dual_mov_b32 v43, v74 :: v_dual_mov_b32 v46, v77
	;; [unrolled: 2-line block ×3, first 2 shown]
	v_dual_mov_b32 v42, v73 :: v_dual_mov_b32 v47, v78
	v_dual_mov_b32 v44, v4 :: v_dual_mov_b32 v81, v89
	;; [unrolled: 1-line block ×5, first 2 shown]
	v_mov_b32_e32 v84, v92
	v_mov_b32_e32 v86, v94
	v_dual_mov_b32 v24, v40 :: v_dual_mov_b32 v29, v45
	v_dual_mov_b32 v30, v46 :: v_dual_mov_b32 v25, v41
	;; [unrolled: 1-line block ×6, first 2 shown]
	v_mov_b32_e32 v61, v22
	v_mov_b32_e32 v62, v86
	v_dual_mov_b32 v28, v44 :: v_dual_mov_b32 v29, v5
	v_dual_mov_b32 v31, v7 :: v_dual_mov_b32 v32, v33
	;; [unrolled: 1-line block ×3, first 2 shown]
	v_mov_b32_e32 v57, v81
	v_mov_b32_e32 v60, v21
	;; [unrolled: 1-line block ×5, first 2 shown]
.LBB141_21:
	s_or_b32 exec_lo, exec_lo, s2
	v_mov_b32_e32 v1, v11
	s_mov_b32 s2, exec_lo
	v_cmpx_lt_f32_e32 v32, v11
	s_cbranch_execz .LBB141_23
; %bb.22:
	v_mov_b32_e32 v97, v19
	v_mov_b32_e32 v65, v3
	v_dual_mov_b32 v87, v95 :: v_dual_mov_b32 v88, v96
	v_mov_b32_e32 v78, v70
	v_dual_mov_b32 v92, v100 :: v_dual_mov_b32 v71, v63
	v_dual_mov_b32 v90, v98 :: v_dual_mov_b32 v91, v99
	;; [unrolled: 1-line block ×8, first 2 shown]
	v_mov_b32_e32 v80, v88
	s_delay_alu instid0(VALU_DEP_3)
	v_dual_mov_b32 v40, v71 :: v_dual_mov_b32 v41, v72
	v_dual_mov_b32 v83, v91 :: v_dual_mov_b32 v84, v92
	;; [unrolled: 1-line block ×20, first 2 shown]
	v_mov_b32_e32 v1, v32
	v_mov_b32_e32 v19, v18
	;; [unrolled: 1-line block ×3, first 2 shown]
.LBB141_23:
	s_or_b32 exec_lo, exec_lo, s2
	v_mov_b32_e32 v2, v12
	s_mov_b32 s2, exec_lo
	v_cmpx_lt_f32_e32 v1, v12
	s_cbranch_execz .LBB141_25
; %bb.24:
	v_mov_b32_e32 v98, v20
	v_dual_mov_b32 v66, v4 :: v_dual_mov_b32 v79, v95
	v_dual_mov_b32 v40, v63 :: v_dual_mov_b32 v41, v64
	;; [unrolled: 1-line block ×3, first 2 shown]
	s_delay_alu instid0(VALU_DEP_3)
	v_dual_mov_b32 v43, v66 :: v_dual_mov_b32 v80, v96
	v_mov_b32_e32 v81, v97
	v_dual_mov_b32 v46, v69 :: v_dual_mov_b32 v83, v99
	v_dual_mov_b32 v42, v65 :: v_dual_mov_b32 v45, v68
	v_dual_mov_b32 v82, v98 :: v_dual_mov_b32 v85, v101
	v_dual_mov_b32 v84, v100 :: v_dual_mov_b32 v83, v19
	v_dual_mov_b32 v86, v102 :: v_dual_mov_b32 v11, v12
	v_mov_b32_e32 v44, v3
	v_dual_mov_b32 v55, v79 :: v_dual_mov_b32 v56, v80
	v_dual_mov_b32 v57, v81 :: v_dual_mov_b32 v24, v40
	;; [unrolled: 1-line block ×10, first 2 shown]
	v_mov_b32_e32 v73, v65
	v_dual_mov_b32 v12, v1 :: v_dual_mov_b32 v27, v43
	v_dual_mov_b32 v60, v21 :: v_dual_mov_b32 v61, v22
	;; [unrolled: 1-line block ×8, first 2 shown]
	v_mov_b32_e32 v74, v66
	v_mov_b32_e32 v72, v64
	;; [unrolled: 1-line block ×5, first 2 shown]
.LBB141_25:
	s_or_b32 exec_lo, exec_lo, s2
	v_mov_b32_e32 v1, v13
	s_mov_b32 s2, exec_lo
	v_cmpx_lt_f32_e32 v2, v13
	s_cbranch_execz .LBB141_27
; %bb.26:
	v_mov_b32_e32 v75, v5
	v_dual_mov_b32 v91, v21 :: v_dual_mov_b32 v24, v71
	v_mov_b32_e32 v30, v77
	v_mov_b32_e32 v30, v6
	v_mov_b32_e32 v31, v78
	v_mov_b32_e32 v29, v76
	v_dual_mov_b32 v55, v87 :: v_dual_mov_b32 v60, v92
	v_dual_mov_b32 v79, v87 :: v_dual_mov_b32 v82, v90
	;; [unrolled: 1-line block ×17, first 2 shown]
	v_mov_b32_e32 v21, v20
	v_mov_b32_e32 v5, v4
	;; [unrolled: 1-line block ×4, first 2 shown]
.LBB141_27:
	s_or_b32 exec_lo, exec_lo, s2
	v_mov_b32_e32 v2, v14
	s_mov_b32 s2, exec_lo
	v_cmpx_lt_f32_e32 v1, v14
	s_cbranch_execz .LBB141_29
; %bb.28:
	v_dual_mov_b32 v45, v6 :: v_dual_mov_b32 v46, v5
	v_dual_mov_b32 v84, v22 :: v_dual_mov_b32 v85, v21
	;; [unrolled: 1-line block ×12, first 2 shown]
	v_mov_b32_e32 v2, v1
.LBB141_29:
	s_or_b32 exec_lo, exec_lo, s2
	s_delay_alu instid0(VALU_DEP_1)
	v_cmp_lt_f32_e32 vcc_lo, v2, v15
	v_dual_mov_b32 v40, v56 :: v_dual_mov_b32 v43, v59
	v_cmp_lt_f32_e64 s2, v8, v9
	v_dual_mov_b32 v41, v57 :: v_dual_mov_b32 v42, v58
	v_dual_cndmask_b32 v23, v15, v2 :: v_dual_cndmask_b32 v14, v14, v15
	v_dual_cndmask_b32 v46, v62, v61 :: v_dual_mov_b32 v39, v55
	s_delay_alu instid0(VALU_DEP_2) | instskip(SKIP_3) | instid1(VALU_DEP_4)
	v_dual_mov_b32 v44, v60 :: v_dual_mov_b32 v15, v23
	v_cndmask_b32_e32 v45, v61, v62, vcc_lo
	v_dual_cndmask_b32 v54, v31, v30 :: v_dual_cndmask_b32 v53, v30, v31
	v_dual_mov_b32 v47, v24 :: v_dual_mov_b32 v50, v27
	v_mov_b32_e32 v22, v15
	v_dual_mov_b32 v21, v14 :: v_dual_mov_b32 v20, v13
	v_dual_mov_b32 v19, v12 :: v_dual_mov_b32 v18, v11
	;; [unrolled: 1-line block ×5, first 2 shown]
	v_mov_b32_e32 v51, v28
	s_and_saveexec_b32 s3, s2
	s_delay_alu instid0(SALU_CYCLE_1)
	s_xor_b32 s2, exec_lo, s3
	s_cbranch_execz .LBB141_31
; %bb.30:
	v_dual_mov_b32 v16, v9 :: v_dual_mov_b32 v17, v8
	v_dual_mov_b32 v18, v10 :: v_dual_mov_b32 v19, v11
	;; [unrolled: 1-line block ×4, first 2 shown]
	s_delay_alu instid0(VALU_DEP_4)
	v_dual_mov_b32 v15, v16 :: v_dual_mov_b32 v40, v55
	v_dual_mov_b32 v16, v17 :: v_dual_mov_b32 v39, v56
	;; [unrolled: 1-line block ×10, first 2 shown]
.LBB141_31:
	s_or_b32 exec_lo, exec_lo, s2
	v_dual_mov_b32 v31, v39 :: v_dual_mov_b32 v32, v40
	v_dual_mov_b32 v78, v46 :: v_dual_mov_b32 v77, v45
	;; [unrolled: 1-line block ×22, first 2 shown]
	v_mov_b32_e32 v10, v17
	s_mov_b32 s2, exec_lo
	v_dual_mov_b32 v76, v44 :: v_dual_mov_b32 v75, v43
	v_dual_mov_b32 v68, v52 :: v_dual_mov_b32 v67, v51
	v_cmpx_lt_f32_e32 v9, v17
	s_cbranch_execz .LBB141_33
; %bb.32:
	v_dual_mov_b32 v1, v47 :: v_dual_mov_b32 v2, v48
	v_dual_mov_b32 v7, v53 :: v_dual_mov_b32 v8, v54
	v_mov_b32_e32 v2, v49
	v_dual_mov_b32 v3, v49 :: v_dual_mov_b32 v4, v50
	v_dual_mov_b32 v5, v51 :: v_dual_mov_b32 v6, v52
	;; [unrolled: 1-line block ×7, first 2 shown]
	v_mov_b32_e32 v57, v40
	v_dual_mov_b32 v70, v8 :: v_dual_mov_b32 v69, v7
	v_dual_mov_b32 v64, v2 :: v_dual_mov_b32 v63, v1
	;; [unrolled: 1-line block ×6, first 2 shown]
	v_mov_b32_e32 v66, v50
	v_dual_mov_b32 v16, v17 :: v_dual_mov_b32 v75, v59
	v_dual_mov_b32 v17, v9 :: v_dual_mov_b32 v76, v60
	;; [unrolled: 1-line block ×17, first 2 shown]
.LBB141_33:
	s_or_b32 exec_lo, exec_lo, s2
	v_mov_b32_e32 v9, v18
	s_mov_b32 s2, exec_lo
	s_delay_alu instid0(VALU_DEP_2)
	v_cmpx_lt_f32_e32 v10, v18
	s_cbranch_execz .LBB141_35
; %bb.34:
	v_mov_b32_e32 v3, v50
	v_dual_mov_b32 v57, v42 :: v_dual_mov_b32 v70, v8
	v_mov_b32_e32 v66, v4
	v_dual_mov_b32 v78, v62 :: v_dual_mov_b32 v77, v61
	v_mov_b32_e32 v66, v49
	v_mov_b32_e32 v63, v1
	;; [unrolled: 1-line block ×3, first 2 shown]
	v_dual_mov_b32 v69, v7 :: v_dual_mov_b32 v68, v6
	v_dual_mov_b32 v67, v5 :: v_dual_mov_b32 v64, v2
	v_dual_mov_b32 v17, v18 :: v_dual_mov_b32 v76, v60
	v_dual_mov_b32 v75, v59 :: v_dual_mov_b32 v74, v58
	v_mov_b32_e32 v65, v3
	v_dual_mov_b32 v73, v57 :: v_dual_mov_b32 v72, v56
	v_mov_b32_e32 v74, v41
	v_dual_mov_b32 v18, v10 :: v_dual_mov_b32 v23, v63
	v_dual_mov_b32 v24, v64 :: v_dual_mov_b32 v31, v71
	s_delay_alu instid0(VALU_DEP_4)
	v_dual_mov_b32 v32, v72 :: v_dual_mov_b32 v27, v67
	v_dual_mov_b32 v28, v68 :: v_dual_mov_b32 v29, v69
	;; [unrolled: 1-line block ×10, first 2 shown]
	v_mov_b32_e32 v38, v46
	v_dual_mov_b32 v9, v10 :: v_dual_mov_b32 v42, v41
	v_mov_b32_e32 v50, v49
.LBB141_35:
	s_or_b32 exec_lo, exec_lo, s2
	v_mov_b32_e32 v4, v19
	s_mov_b32 s2, exec_lo
	v_cmpx_lt_f32_e32 v9, v19
	s_cbranch_execz .LBB141_37
; %bb.36:
	v_mov_b32_e32 v4, v51
	v_dual_mov_b32 v18, v19 :: v_dual_mov_b32 v19, v9
	v_mov_b32_e32 v58, v43
	v_dual_mov_b32 v30, v8 :: v_dual_mov_b32 v29, v7
	v_dual_mov_b32 v28, v6 :: v_dual_mov_b32 v25, v3
	v_dual_mov_b32 v23, v1 :: v_dual_mov_b32 v28, v52
	v_mov_b32_e32 v31, v55
	v_dual_mov_b32 v27, v5 :: v_dual_mov_b32 v32, v56
	v_dual_mov_b32 v35, v59 :: v_dual_mov_b32 v34, v58
	;; [unrolled: 4-line block ×3, first 2 shown]
	v_dual_mov_b32 v70, v8 :: v_dual_mov_b32 v65, v3
	v_dual_mov_b32 v26, v4 :: v_dual_mov_b32 v27, v50
	;; [unrolled: 1-line block ×11, first 2 shown]
	v_mov_b32_e32 v64, v2
	v_dual_mov_b32 v4, v9 :: v_dual_mov_b32 v51, v50
.LBB141_37:
	s_or_b32 exec_lo, exec_lo, s2
	v_mov_b32_e32 v1, v20
	s_mov_b32 s2, exec_lo
	s_delay_alu instid0(VALU_DEP_2)
	v_cmpx_lt_f32_e32 v4, v20
	s_cbranch_execz .LBB141_39
; %bb.38:
	v_dual_mov_b32 v67, v52 :: v_dual_mov_b32 v68, v51
	v_dual_mov_b32 v69, v53 :: v_dual_mov_b32 v76, v43
	;; [unrolled: 1-line block ×4, first 2 shown]
	v_mov_b32_e32 v19, v20
	v_dual_mov_b32 v20, v4 :: v_dual_mov_b32 v31, v71
	v_dual_mov_b32 v23, v63 :: v_dual_mov_b32 v24, v64
	;; [unrolled: 1-line block ×9, first 2 shown]
.LBB141_39:
	s_or_b32 exec_lo, exec_lo, s2
	s_delay_alu instid0(VALU_DEP_1)
	v_cmp_lt_f32_e32 vcc_lo, v1, v21
	v_mov_b32_e32 v4, v18
	v_mov_b32_e32 v8, v22
	s_mov_b32 s2, exec_lo
	v_dual_mov_b32 v2, v16 :: v_dual_cndmask_b32 v9, v37, v36
	v_cndmask_b32_e32 v36, v36, v37, vcc_lo
	v_cndmask_b32_e32 v10, v29, v28, vcc_lo
	v_dual_cndmask_b32 v28, v28, v29 :: v_dual_mov_b32 v3, v17
	v_cndmask_b32_e32 v7, v21, v1, vcc_lo
	v_dual_cndmask_b32 v6, v20, v21 :: v_dual_mov_b32 v5, v19
	v_mov_b32_e32 v1, v15
	v_cmpx_lt_f32_e32 v15, v16
	s_cbranch_execz .LBB141_41
; %bb.40:
	s_delay_alu instid0(VALU_DEP_2)
	v_dual_mov_b32 v39, v2 :: v_dual_mov_b32 v40, v1
	v_dual_mov_b32 v41, v3 :: v_dual_mov_b32 v42, v4
	;; [unrolled: 1-line block ×4, first 2 shown]
	v_mov_b32_e32 v11, v31
	v_mov_b32_e32 v12, v23
	v_dual_mov_b32 v1, v39 :: v_dual_mov_b32 v4, v42
	v_swap_b32 v31, v32
	v_swap_b32 v23, v24
	v_dual_mov_b32 v2, v40 :: v_dual_mov_b32 v3, v41
	v_dual_mov_b32 v5, v43 :: v_dual_mov_b32 v6, v44
	;; [unrolled: 1-line block ×3, first 2 shown]
	v_mov_b32_e32 v16, v15
.LBB141_41:
	s_or_b32 exec_lo, exec_lo, s2
	v_mov_b32_e32 v29, v10
	v_dual_mov_b32 v37, v9 :: v_dual_mov_b32 v54, v30
	v_mov_b32_e32 v46, v38
	v_dual_mov_b32 v44, v36 :: v_dual_mov_b32 v39, v31
	v_dual_mov_b32 v70, v38 :: v_dual_mov_b32 v49, v25
	s_delay_alu instid0(VALU_DEP_4)
	v_dual_mov_b32 v62, v30 :: v_dual_mov_b32 v45, v37
	v_dual_mov_b32 v43, v35 :: v_dual_mov_b32 v42, v34
	;; [unrolled: 1-line block ×12, first 2 shown]
	v_mov_b32_e32 v57, v25
	v_mov_b32_e32 v55, v23
	;; [unrolled: 1-line block ×3, first 2 shown]
	s_mov_b32 s2, exec_lo
	v_cmpx_lt_f32_e32 v16, v3
	s_cbranch_execz .LBB141_43
; %bb.42:
	v_dual_mov_b32 v62, v30 :: v_dual_mov_b32 v61, v29
	v_dual_mov_b32 v58, v26 :: v_dual_mov_b32 v57, v25
	;; [unrolled: 1-line block ×7, first 2 shown]
	s_delay_alu instid0(VALU_DEP_4)
	v_dual_mov_b32 v47, v55 :: v_dual_mov_b32 v48, v56
	v_dual_mov_b32 v68, v36 :: v_dual_mov_b32 v67, v35
	;; [unrolled: 1-line block ×16, first 2 shown]
	v_mov_b32_e32 v44, v36
	v_dual_mov_b32 v46, v38 :: v_dual_mov_b32 v11, v16
	v_mov_b32_e32 v33, v32
	v_mov_b32_e32 v25, v24
.LBB141_43:
	s_or_b32 exec_lo, exec_lo, s2
	v_mov_b32_e32 v12, v4
	s_mov_b32 s2, exec_lo
	v_cmpx_lt_f32_e32 v11, v4
	s_cbranch_execz .LBB141_45
; %bb.44:
	v_mov_b32_e32 v57, v26
	v_dual_mov_b32 v3, v4 :: v_dual_mov_b32 v4, v11
	v_mov_b32_e32 v65, v34
	v_dual_mov_b32 v47, v55 :: v_dual_mov_b32 v52, v60
	v_dual_mov_b32 v48, v56 :: v_dual_mov_b32 v39, v63
	;; [unrolled: 1-line block ×3, first 2 shown]
	v_mov_b32_e32 v54, v62
	v_dual_mov_b32 v50, v58 :: v_dual_mov_b32 v51, v59
	v_mov_b32_e32 v50, v25
	v_dual_mov_b32 v53, v61 :: v_dual_mov_b32 v52, v28
	v_dual_mov_b32 v41, v65 :: v_dual_mov_b32 v44, v68
	;; [unrolled: 1-line block ×8, first 2 shown]
	v_mov_b32_e32 v12, v11
	v_mov_b32_e32 v34, v33
	;; [unrolled: 1-line block ×3, first 2 shown]
.LBB141_45:
	s_or_b32 exec_lo, exec_lo, s2
	v_mov_b32_e32 v11, v5
	s_mov_b32 s2, exec_lo
	v_cmpx_lt_f32_e32 v12, v5
	s_cbranch_execz .LBB141_47
; %bb.46:
	v_dual_mov_b32 v68, v36 :: v_dual_mov_b32 v69, v9
	v_dual_mov_b32 v58, v27 :: v_dual_mov_b32 v59, v26
	;; [unrolled: 1-line block ×4, first 2 shown]
	v_mov_b32_e32 v70, v38
	v_dual_mov_b32 v4, v5 :: v_dual_mov_b32 v5, v12
	v_dual_mov_b32 v62, v30 :: v_dual_mov_b32 v39, v63
	;; [unrolled: 1-line block ×10, first 2 shown]
.LBB141_47:
	s_or_b32 exec_lo, exec_lo, s2
	s_delay_alu instid0(VALU_DEP_1)
	v_cmp_lt_f32_e32 vcc_lo, v11, v6
	v_dual_mov_b32 v19, v1 :: v_dual_mov_b32 v26, v8
	v_mov_b32_e32 v21, v3
	v_mov_b32_e32 v25, v7
	v_dual_cndmask_b32 v27, v44, v43 :: v_dual_mov_b32 v20, v2
	v_dual_cndmask_b32 v43, v43, v44 :: v_dual_cndmask_b32 v28, v52, v51
	v_dual_cndmask_b32 v51, v51, v52 :: v_dual_cndmask_b32 v24, v6, v11
	v_dual_cndmask_b32 v23, v5, v6 :: v_dual_mov_b32 v22, v4
	s_mov_b32 s2, exec_lo
	v_cmpx_lt_f32_e32 v1, v2
	s_cbranch_execz .LBB141_49
; %bb.48:
	v_dual_mov_b32 v8, v25 :: v_dual_mov_b32 v9, v26
	v_dual_mov_b32 v2, v20 :: v_dual_mov_b32 v3, v19
	;; [unrolled: 1-line block ×4, first 2 shown]
	v_mov_b32_e32 v10, v39
	v_dual_mov_b32 v11, v47 :: v_dual_mov_b32 v26, v9
	v_swap_b32 v39, v40
	v_swap_b32 v47, v48
	v_dual_mov_b32 v25, v8 :: v_dual_mov_b32 v24, v7
	v_dual_mov_b32 v23, v6 :: v_dual_mov_b32 v22, v5
	;; [unrolled: 1-line block ×4, first 2 shown]
.LBB141_49:
	s_or_b32 exec_lo, exec_lo, s2
	v_mov_b32_e32 v52, v28
	v_mov_b32_e32 v44, v27
	;; [unrolled: 1-line block ×4, first 2 shown]
	v_dual_mov_b32 v11, v39 :: v_dual_mov_b32 v4, v48
	v_dual_mov_b32 v12, v40 :: v_dual_mov_b32 v13, v41
	v_dual_mov_b32 v14, v42 :: v_dual_mov_b32 v15, v43
	v_dual_mov_b32 v16, v44 :: v_dual_mov_b32 v17, v45
	v_dual_mov_b32 v18, v46 :: v_dual_mov_b32 v7, v51
	v_dual_mov_b32 v6, v50 :: v_dual_mov_b32 v9, v53
	v_dual_mov_b32 v8, v52 :: v_dual_mov_b32 v1, v21
	v_mov_b32_e32 v10, v54
	s_mov_b32 s2, exec_lo
	v_cmpx_lt_f32_e32 v2, v21
	s_cbranch_execz .LBB141_51
; %bb.50:
	v_dual_mov_b32 v3, v47 :: v_dual_mov_b32 v4, v48
	v_dual_mov_b32 v9, v53 :: v_dual_mov_b32 v10, v54
	;; [unrolled: 1-line block ×17, first 2 shown]
	v_mov_b32_e32 v49, v48
.LBB141_51:
	s_or_b32 exec_lo, exec_lo, s2
	v_mov_b32_e32 v29, v22
	s_mov_b32 s2, exec_lo
	v_cmpx_lt_f32_e32 v1, v22
; %bb.52:
	v_dual_mov_b32 v21, v22 :: v_dual_mov_b32 v22, v1
	v_dual_mov_b32 v5, v50 :: v_dual_mov_b32 v6, v49
	;; [unrolled: 1-line block ×7, first 2 shown]
	v_mov_b32_e32 v29, v1
; %bb.53:
	s_or_b32 exec_lo, exec_lo, s2
	s_delay_alu instid0(VALU_DEP_1)
	v_cmp_lt_f32_e32 vcc_lo, v29, v23
	v_dual_mov_b32 v28, v20 :: v_dual_mov_b32 v33, v25
	v_mov_b32_e32 v32, v24
	v_dual_mov_b32 v34, v26 :: v_dual_cndmask_b32 v1, v15, v14
	v_cndmask_b32_e32 v14, v14, v15, vcc_lo
	v_cndmask_b32_e32 v2, v7, v6, vcc_lo
	v_dual_cndmask_b32 v6, v6, v7 :: v_dual_cndmask_b32 v31, v23, v29
	v_dual_cndmask_b32 v30, v22, v23 :: v_dual_mov_b32 v27, v19
	v_mov_b32_e32 v29, v21
	s_mov_b32 s2, exec_lo
	v_cmpx_lt_f32_e32 v19, v20
	s_cbranch_execz .LBB141_55
; %bb.54:
	v_dual_mov_b32 v20, v28 :: v_dual_mov_b32 v21, v27
	v_dual_mov_b32 v26, v33 :: v_dual_mov_b32 v27, v34
	;; [unrolled: 1-line block ×4, first 2 shown]
	s_delay_alu instid0(VALU_DEP_3)
	v_mov_b32_e32 v34, v27
	v_mov_b32_e32 v7, v11
	v_dual_mov_b32 v15, v3 :: v_dual_mov_b32 v28, v21
	v_swap_b32 v11, v12
	v_swap_b32 v3, v4
	v_dual_mov_b32 v33, v26 :: v_dual_mov_b32 v30, v23
	v_dual_mov_b32 v32, v25 :: v_dual_mov_b32 v31, v24
	v_mov_b32_e32 v29, v22
	v_dual_mov_b32 v27, v20 :: v_dual_mov_b32 v20, v19
.LBB141_55:
	s_or_b32 exec_lo, exec_lo, s2
	v_mov_b32_e32 v7, v2
	v_mov_b32_e32 v15, v1
	;; [unrolled: 1-line block ×3, first 2 shown]
	s_mov_b32 s2, exec_lo
	v_cmpx_lt_f32_e32 v20, v29
	s_cbranch_execz .LBB141_57
; %bb.56:
	v_dual_mov_b32 v42, v10 :: v_dual_mov_b32 v41, v9
	v_dual_mov_b32 v40, v8 :: v_dual_mov_b32 v39, v7
	;; [unrolled: 1-line block ×16, first 2 shown]
	v_mov_b32_e32 v18, v9
	s_delay_alu instid0(VALU_DEP_3) | instskip(NEXT) | instid1(VALU_DEP_4)
	v_dual_mov_b32 v16, v7 :: v_dual_mov_b32 v15, v6
	v_dual_mov_b32 v17, v8 :: v_dual_mov_b32 v14, v5
	;; [unrolled: 1-line block ×3, first 2 shown]
	v_mov_b32_e32 v11, v2
	v_dual_mov_b32 v3, v35 :: v_dual_mov_b32 v4, v36
	v_dual_mov_b32 v5, v37 :: v_dual_mov_b32 v6, v38
	;; [unrolled: 1-line block ×4, first 2 shown]
	v_mov_b32_e32 v19, v20
.LBB141_57:
	s_or_b32 exec_lo, exec_lo, s2
	s_delay_alu instid0(VALU_DEP_1)
	v_cmp_lt_f32_e32 vcc_lo, v19, v30
	v_dual_mov_b32 v20, v7 :: v_dual_mov_b32 v21, v8
	v_dual_mov_b32 v22, v9 :: v_dual_mov_b32 v23, v10
	v_dual_cndmask_b32 v1, v14, v13 :: v_dual_cndmask_b32 v36, v5, v6
	v_dual_cndmask_b32 v35, v13, v14 :: v_dual_cndmask_b32 v2, v6, v5
	;; [unrolled: 1-line block ×3, first 2 shown]
	v_dual_mov_b32 v6, v15 :: v_dual_mov_b32 v13, v16
	v_dual_mov_b32 v14, v17 :: v_dual_mov_b32 v19, v18
	;; [unrolled: 1-line block ×4, first 2 shown]
	v_mov_b32_e32 v29, v34
	s_mov_b32 s2, exec_lo
	v_cmpx_lt_f32_e32 v27, v28
	s_cbranch_execz .LBB141_59
; %bb.58:
	v_dual_mov_b32 v24, v28 :: v_dual_mov_b32 v37, v27
	v_dual_mov_b32 v6, v11 :: v_dual_mov_b32 v13, v16
	;; [unrolled: 1-line block ×3, first 2 shown]
	v_swap_b32 v11, v12
	v_swap_b32 v3, v4
	v_dual_mov_b32 v28, v27 :: v_dual_mov_b32 v21, v8
	v_dual_mov_b32 v6, v15 :: v_dual_mov_b32 v23, v10
	;; [unrolled: 1-line block ×5, first 2 shown]
	v_mov_b32_e32 v24, v31
	v_mov_b32_e32 v26, v33
.LBB141_59:
	s_or_b32 exec_lo, exec_lo, s2
	s_clause 0x1
	s_load_b32 s8, s[0:1], 0x28
	s_load_b128 s[4:7], s[0:1], 0x10
	v_mov_b32_e32 v8, 0
	s_waitcnt lgkmcnt(0)
	s_cmp_lt_i32 s8, 1
	s_cbranch_scc1 .LBB141_65
; %bb.60:
	v_cmp_lt_f32_e32 vcc_lo, v28, v30
	v_dual_mov_b32 v8, 0 :: v_dual_mov_b32 v9, 0
	s_mov_b32 s9, 0x76543210
	s_mov_b32 s10, s8
	v_dual_cndmask_b32 v7, v36, v4 :: v_dual_cndmask_b32 v18, v37, v30
	v_cndmask_b32_e32 v4, v4, v36, vcc_lo
	v_cndmask_b32_e32 v10, v30, v28, vcc_lo
	v_dual_cndmask_b32 v15, v35, v12 :: v_dual_cndmask_b32 v28, v12, v35
	s_delay_alu instid0(VALU_DEP_4) | instskip(NEXT) | instid1(VALU_DEP_1)
	v_cmp_lt_f32_e64 s2, v27, v18
	v_cndmask_b32_e64 v12, v4, v3, s2
	v_cndmask_b32_e64 v16, v3, v4, s2
	;; [unrolled: 1-line block ×6, first 2 shown]
	v_dual_mov_b32 v28, v0 :: v_dual_mov_b32 v3, 0
	v_mov_b32_e32 v4, 0
.LBB141_61:                             ; =>This Inner Loop Header: Depth=1
	v_cmp_eq_u32_e32 vcc_lo, 1, v9
	v_cmp_eq_u32_e64 s2, 2, v9
	v_dual_cndmask_b32 v30, v18, v17 :: v_dual_cndmask_b32 v31, v16, v12
	v_cndmask_b32_e32 v32, v11, v27, vcc_lo
	v_cmp_eq_u32_e32 vcc_lo, 3, v9
	s_delay_alu instid0(VALU_DEP_3) | instskip(NEXT) | instid1(VALU_DEP_4)
	v_cndmask_b32_e64 v30, v30, v10, s2
	v_cndmask_b32_e64 v31, v31, v7, s2
	s_delay_alu instid0(VALU_DEP_4) | instskip(SKIP_1) | instid1(VALU_DEP_3)
	v_cndmask_b32_e64 v32, v32, v15, s2
	v_cmp_eq_u32_e64 s2, 4, v9
	v_dual_cndmask_b32 v30, v30, v5 :: v_dual_cndmask_b32 v31, v31, v2
	s_delay_alu instid0(VALU_DEP_3) | instskip(SKIP_1) | instid1(VALU_DEP_3)
	v_cndmask_b32_e32 v32, v32, v1, vcc_lo
	v_cmp_eq_u32_e32 vcc_lo, 5, v9
	v_cndmask_b32_e64 v30, v30, v24, s2
	s_delay_alu instid0(VALU_DEP_4) | instskip(NEXT) | instid1(VALU_DEP_4)
	v_cndmask_b32_e64 v31, v31, v20, s2
	v_cndmask_b32_e64 v32, v32, v6, s2
	v_cmp_eq_u32_e64 s2, 6, v9
	s_delay_alu instid0(VALU_DEP_4) | instskip(NEXT) | instid1(VALU_DEP_4)
	v_cndmask_b32_e32 v30, v30, v25, vcc_lo
	v_cndmask_b32_e32 v31, v31, v21, vcc_lo
	s_delay_alu instid0(VALU_DEP_4) | instskip(SKIP_1) | instid1(VALU_DEP_4)
	v_cndmask_b32_e32 v32, v32, v13, vcc_lo
	v_cmp_eq_u32_e32 vcc_lo, 7, v9
	v_cndmask_b32_e64 v30, v30, v26, s2
	s_delay_alu instid0(VALU_DEP_4) | instskip(NEXT) | instid1(VALU_DEP_4)
	v_cndmask_b32_e64 v31, v31, v22, s2
	v_cndmask_b32_e64 v32, v32, v14, s2
	v_cmp_gt_u32_e64 s2, 8, v9
	s_delay_alu instid0(VALU_DEP_3) | instskip(NEXT) | instid1(VALU_DEP_1)
	v_dual_cndmask_b32 v30, v30, v29 :: v_dual_cndmask_b32 v31, v31, v23
	v_cndmask_b32_e64 v30, 0xff800000, v30, s2
	;;#ASMSTART
	v_max_f32 v34, v30, v30 quad_perm:[1,0,3,2] row_mask:0xf bank_mask:0xf bound_ctrl:1
	;;#ASMEND
	;;#ASMSTART
	v_max_f32 v35, v34, v34 quad_perm:[2,3,0,1] row_mask:0xf bank_mask:0xf bound_ctrl:1
	;;#ASMEND
	;;#ASMSTART
	v_max_f32 v34, v35, v35 row_half_mirror row_mask:0xf bank_mask:0xf bound_ctrl:1
	;;#ASMEND
	;;#ASMSTART
	v_max_f32 v35, v34, v34 row_mirror row_mask:0xf bank_mask:0xf bound_ctrl:1
	;;#ASMEND
	v_permlanex16_b32 v34, v35, s9, 0xfedcba98 op_sel:[1,1]
	v_max_f32_e32 v35, v35, v35
	v_cndmask_b32_e64 v33, 0, v31, s2
	s_delay_alu instid0(VALU_DEP_3) | instskip(NEXT) | instid1(VALU_DEP_1)
	v_max_f32_e32 v34, v34, v34
	v_max_f32_e32 v34, v35, v34
	s_delay_alu instid0(VALU_DEP_1) | instskip(SKIP_1) | instid1(VALU_DEP_2)
	v_cmp_eq_f32_e64 s3, v30, v34
	v_cndmask_b32_e32 v30, v32, v19, vcc_lo
	s_ctz_i32_b32 s11, s3
	s_cmp_lg_u32 s3, 0
	s_cselect_b32 s3, s11, 0
	s_add_i32 s10, s10, -1
	v_readlane_b32 s3, v33, s3
	s_delay_alu instid0(VALU_DEP_1)
	v_cmp_eq_u32_e32 vcc_lo, s3, v31
	s_and_b32 vcc_lo, s2, vcc_lo
	s_and_b32 s2, s3, 31
	v_cndmask_b32_e32 v30, 0, v30, vcc_lo
	v_add_co_ci_u32_e32 v9, vcc_lo, 0, v9, vcc_lo
	s_cmp_eq_u32 s10, 0
	s_delay_alu instid0(VALU_DEP_2) | instskip(SKIP_2) | instid1(VALU_DEP_3)
	v_readlane_b32 s11, v30, s2
	v_cmp_eq_u32_e64 s2, 0, v28
	v_add_nc_u32_e32 v28, -1, v28
	v_add_f32_e32 v8, s11, v8
	s_delay_alu instid0(VALU_DEP_3)
	v_cndmask_b32_e64 v4, v4, s11, s2
	v_cndmask_b32_e64 v3, v3, s3, s2
	s_cbranch_scc0 .LBB141_61
; %bb.62:
	s_mov_b32 s2, exec_lo
	v_cmpx_gt_i32_e64 s8, v0
	s_cbranch_execz .LBB141_64
.LBB141_63:
	s_load_b32 s2, s[0:1], 0x30
	v_max_f32_e32 v1, v8, v8
	s_load_b64 s[0:1], s[0:1], 0x20
	s_ashr_i32 s3, s15, 31
	s_delay_alu instid0(VALU_DEP_1) | instskip(SKIP_1) | instid1(VALU_DEP_1)
	v_dual_max_f32 v1, 0x1e3ce508, v1 :: v_dual_lshlrev_b32 v0, 2, v0
	s_waitcnt lgkmcnt(0)
	v_div_scale_f32 v2, null, v1, v1, s2
	v_div_scale_f32 v7, vcc_lo, s2, v1, s2
	s_mul_i32 s1, s15, s1
	s_delay_alu instid0(VALU_DEP_2)
	v_rcp_f32_e32 v5, v2
	s_mul_hi_u32 s8, s15, s0
	s_mul_i32 s3, s3, s0
	s_add_i32 s1, s8, s1
	s_mul_i32 s0, s15, s0
	s_add_i32 s1, s1, s3
	s_delay_alu instid0(SALU_CYCLE_1) | instskip(SKIP_2) | instid1(VALU_DEP_1)
	s_lshl_b64 s[0:1], s[0:1], 2
	s_waitcnt_depctr 0xfff
	v_fma_f32 v6, -v2, v5, 1.0
	v_fmac_f32_e32 v5, v6, v5
	s_delay_alu instid0(VALU_DEP_1) | instskip(NEXT) | instid1(VALU_DEP_1)
	v_mul_f32_e32 v6, v7, v5
	v_fma_f32 v8, -v2, v6, v7
	s_delay_alu instid0(VALU_DEP_1) | instskip(NEXT) | instid1(VALU_DEP_1)
	v_fmac_f32_e32 v6, v8, v5
	v_fma_f32 v2, -v2, v6, v7
	s_delay_alu instid0(VALU_DEP_1) | instskip(NEXT) | instid1(VALU_DEP_1)
	v_div_fmas_f32 v2, v2, v5, v6
	v_div_fixup_f32 v1, v2, v1, s2
	s_add_u32 s2, s4, s0
	s_addc_u32 s3, s5, s1
	s_add_u32 s0, s6, s0
	s_addc_u32 s1, s7, s1
	v_mul_f32_e32 v1, v4, v1
	s_clause 0x1
	global_store_b32 v0, v1, s[2:3]
	global_store_b32 v0, v3, s[0:1]
.LBB141_64:
	s_nop 0
	s_sendmsg sendmsg(MSG_DEALLOC_VGPRS)
	s_endpgm
.LBB141_65:
	v_dual_mov_b32 v3, 0 :: v_dual_mov_b32 v4, 0
	s_mov_b32 s2, exec_lo
	v_cmpx_gt_i32_e64 s8, v0
	s_cbranch_execnz .LBB141_63
	s_branch .LBB141_64
	.section	.rodata,"a",@progbits
	.p2align	6, 0x0
	.amdhsa_kernel _ZN5aiter24topk_softplus_kernel_optI6__halfS1_Li256ELb1ELi1EEEvPKT_PKT0_PfPimiif
		.amdhsa_group_segment_fixed_size 0
		.amdhsa_private_segment_fixed_size 0
		.amdhsa_kernarg_size 52
		.amdhsa_user_sgpr_count 15
		.amdhsa_user_sgpr_dispatch_ptr 0
		.amdhsa_user_sgpr_queue_ptr 0
		.amdhsa_user_sgpr_kernarg_segment_ptr 1
		.amdhsa_user_sgpr_dispatch_id 0
		.amdhsa_user_sgpr_private_segment_size 0
		.amdhsa_wavefront_size32 1
		.amdhsa_uses_dynamic_stack 0
		.amdhsa_enable_private_segment 0
		.amdhsa_system_sgpr_workgroup_id_x 1
		.amdhsa_system_sgpr_workgroup_id_y 0
		.amdhsa_system_sgpr_workgroup_id_z 0
		.amdhsa_system_sgpr_workgroup_info 0
		.amdhsa_system_vgpr_workitem_id 0
		.amdhsa_next_free_vgpr 103
		.amdhsa_next_free_sgpr 16
		.amdhsa_reserve_vcc 1
		.amdhsa_float_round_mode_32 0
		.amdhsa_float_round_mode_16_64 0
		.amdhsa_float_denorm_mode_32 3
		.amdhsa_float_denorm_mode_16_64 3
		.amdhsa_dx10_clamp 1
		.amdhsa_ieee_mode 1
		.amdhsa_fp16_overflow 0
		.amdhsa_workgroup_processor_mode 1
		.amdhsa_memory_ordered 1
		.amdhsa_forward_progress 0
		.amdhsa_shared_vgpr_count 0
		.amdhsa_exception_fp_ieee_invalid_op 0
		.amdhsa_exception_fp_denorm_src 0
		.amdhsa_exception_fp_ieee_div_zero 0
		.amdhsa_exception_fp_ieee_overflow 0
		.amdhsa_exception_fp_ieee_underflow 0
		.amdhsa_exception_fp_ieee_inexact 0
		.amdhsa_exception_int_div_zero 0
	.end_amdhsa_kernel
	.section	.text._ZN5aiter24topk_softplus_kernel_optI6__halfS1_Li256ELb1ELi1EEEvPKT_PKT0_PfPimiif,"axG",@progbits,_ZN5aiter24topk_softplus_kernel_optI6__halfS1_Li256ELb1ELi1EEEvPKT_PKT0_PfPimiif,comdat
.Lfunc_end141:
	.size	_ZN5aiter24topk_softplus_kernel_optI6__halfS1_Li256ELb1ELi1EEEvPKT_PKT0_PfPimiif, .Lfunc_end141-_ZN5aiter24topk_softplus_kernel_optI6__halfS1_Li256ELb1ELi1EEEvPKT_PKT0_PfPimiif
                                        ; -- End function
	.section	.AMDGPU.csdata,"",@progbits
; Kernel info:
; codeLenInByte = 6996
; NumSgprs: 18
; NumVgprs: 103
; ScratchSize: 0
; MemoryBound: 0
; FloatMode: 240
; IeeeMode: 1
; LDSByteSize: 0 bytes/workgroup (compile time only)
; SGPRBlocks: 2
; VGPRBlocks: 12
; NumSGPRsForWavesPerEU: 18
; NumVGPRsForWavesPerEU: 103
; Occupancy: 12
; WaveLimiterHint : 0
; COMPUTE_PGM_RSRC2:SCRATCH_EN: 0
; COMPUTE_PGM_RSRC2:USER_SGPR: 15
; COMPUTE_PGM_RSRC2:TRAP_HANDLER: 0
; COMPUTE_PGM_RSRC2:TGID_X_EN: 1
; COMPUTE_PGM_RSRC2:TGID_Y_EN: 0
; COMPUTE_PGM_RSRC2:TGID_Z_EN: 0
; COMPUTE_PGM_RSRC2:TIDIG_COMP_CNT: 0
	.section	.text._ZN5aiter24topk_softplus_kernel_optI6__halfS1_Li256ELb0ELi1EEEvPKT_PKT0_PfPimiif,"axG",@progbits,_ZN5aiter24topk_softplus_kernel_optI6__halfS1_Li256ELb0ELi1EEEvPKT_PKT0_PfPimiif,comdat
	.protected	_ZN5aiter24topk_softplus_kernel_optI6__halfS1_Li256ELb0ELi1EEEvPKT_PKT0_PfPimiif ; -- Begin function _ZN5aiter24topk_softplus_kernel_optI6__halfS1_Li256ELb0ELi1EEEvPKT_PKT0_PfPimiif
	.globl	_ZN5aiter24topk_softplus_kernel_optI6__halfS1_Li256ELb0ELi1EEEvPKT_PKT0_PfPimiif
	.p2align	8
	.type	_ZN5aiter24topk_softplus_kernel_optI6__halfS1_Li256ELb0ELi1EEEvPKT_PKT0_PfPimiif,@function
_ZN5aiter24topk_softplus_kernel_optI6__halfS1_Li256ELb0ELi1EEEvPKT_PKT0_PfPimiif: ; @_ZN5aiter24topk_softplus_kernel_optI6__halfS1_Li256ELb0ELi1EEEvPKT_PKT0_PfPimiif
; %bb.0:
	s_load_b128 s[4:7], s[0:1], 0x0
	s_lshl_b32 s2, s15, 8
	v_lshlrev_b32_e32 v3, 1, v0
	s_ashr_i32 s3, s2, 31
	s_delay_alu instid0(SALU_CYCLE_1)
	s_lshl_b64 s[2:3], s[2:3], 1
	s_waitcnt lgkmcnt(0)
	s_add_u32 s4, s4, s2
	s_addc_u32 s5, s5, s3
	s_mov_b32 s3, 0xbfb8aa3b
	global_load_u16 v1, v3, s[4:5]
	s_cmp_lg_u64 s[6:7], 0
	s_cselect_b32 s2, -1, 0
	s_waitcnt vmcnt(0)
	v_cvt_f32_f16_e32 v2, v1
	s_delay_alu instid0(VALU_DEP_1) | instskip(NEXT) | instid1(VALU_DEP_1)
	v_mul_f32_e32 v2, 0xbfb8aa3b, v2
	v_cmp_gt_f32_e32 vcc_lo, 0xc2fc0000, v2
	v_cndmask_b32_e64 v2, 0, 0x42800000, vcc_lo
	s_delay_alu instid0(VALU_DEP_1) | instskip(SKIP_2) | instid1(VALU_DEP_2)
	v_fma_mix_f32 v1, v1, s3, v2 op_sel_hi:[1,0,0]
	v_cndmask_b32_e64 v2, 1.0, 0x1f800000, vcc_lo
	s_and_b32 vcc_lo, exec_lo, s2
	v_exp_f32_e32 v1, v1
	s_waitcnt_depctr 0xfff
	v_fma_f32 v1, v1, v2, 1.0
	s_delay_alu instid0(VALU_DEP_1) | instskip(SKIP_1) | instid1(VALU_DEP_1)
	v_rcp_f32_e32 v48, v1
	v_add_co_u32 v1, s4, s4, v3
	v_add_co_ci_u32_e64 v2, null, s5, 0, s4
	s_waitcnt_depctr 0xfff
	v_mov_b32_e32 v32, v48
	s_cbranch_vccz .LBB142_2
; %bb.1:
	global_load_u16 v4, v3, s[6:7]
	s_waitcnt vmcnt(0)
	v_cvt_f32_f16_e32 v4, v4
	s_delay_alu instid0(VALU_DEP_1)
	v_add_f32_e32 v32, v48, v4
.LBB142_2:
	global_load_u16 v4, v[1:2], off offset:64
	s_waitcnt vmcnt(0)
	v_cvt_f32_f16_e32 v5, v4
	s_delay_alu instid0(VALU_DEP_1) | instskip(NEXT) | instid1(VALU_DEP_1)
	v_mul_f32_e32 v5, 0xbfb8aa3b, v5
	v_cmp_gt_f32_e32 vcc_lo, 0xc2fc0000, v5
	v_cndmask_b32_e64 v6, 0, 0x42800000, vcc_lo
	v_cndmask_b32_e64 v5, 1.0, 0x1f800000, vcc_lo
	s_and_not1_b32 vcc_lo, exec_lo, s2
	s_delay_alu instid0(VALU_DEP_2) | instskip(NEXT) | instid1(VALU_DEP_1)
	v_fma_mix_f32 v4, v4, s3, v6 op_sel_hi:[1,0,0]
	v_exp_f32_e32 v4, v4
	s_waitcnt_depctr 0xfff
	v_fma_f32 v4, v4, v5, 1.0
	s_delay_alu instid0(VALU_DEP_1)
	v_rcp_f32_e32 v17, v4
	v_cndmask_b32_e64 v4, 0, 1, s2
	s_waitcnt_depctr 0xfff
	v_mov_b32_e32 v33, v17
	s_cbranch_vccnz .LBB142_4
; %bb.3:
	global_load_u16 v5, v3, s[6:7] offset:64
	s_waitcnt vmcnt(0)
	v_cvt_f32_f16_e32 v5, v5
	s_delay_alu instid0(VALU_DEP_1)
	v_add_f32_e32 v33, v17, v5
.LBB142_4:
	global_load_u16 v5, v[1:2], off offset:128
	s_mov_b32 s2, 0xbfb8aa3b
	s_waitcnt vmcnt(0)
	v_cvt_f32_f16_e32 v6, v5
	s_delay_alu instid0(VALU_DEP_1) | instskip(NEXT) | instid1(VALU_DEP_1)
	v_mul_f32_e32 v6, 0xbfb8aa3b, v6
	v_cmp_gt_f32_e32 vcc_lo, 0xc2fc0000, v6
	v_cndmask_b32_e64 v7, 0, 0x42800000, vcc_lo
	v_cndmask_b32_e64 v6, 1.0, 0x1f800000, vcc_lo
	v_cmp_ne_u32_e32 vcc_lo, 1, v4
	s_delay_alu instid0(VALU_DEP_3) | instskip(SKIP_1) | instid1(VALU_DEP_1)
	v_fma_mix_f32 v5, v5, s2, v7 op_sel_hi:[1,0,0]
	s_and_b32 vcc_lo, exec_lo, vcc_lo
	v_exp_f32_e32 v5, v5
	s_waitcnt_depctr 0xfff
	v_fma_f32 v5, v5, v6, 1.0
	s_delay_alu instid0(VALU_DEP_1)
	v_rcp_f32_e32 v18, v5
	s_waitcnt_depctr 0xfff
	v_mov_b32_e32 v34, v18
	s_cbranch_vccnz .LBB142_6
; %bb.5:
	global_load_u16 v5, v3, s[6:7] offset:128
	s_waitcnt vmcnt(0)
	v_cvt_f32_f16_e32 v5, v5
	s_delay_alu instid0(VALU_DEP_1)
	v_add_f32_e32 v34, v18, v5
.LBB142_6:
	global_load_u16 v5, v[1:2], off offset:192
	s_waitcnt vmcnt(0)
	v_cvt_f32_f16_e32 v6, v5
	s_delay_alu instid0(VALU_DEP_1) | instskip(NEXT) | instid1(VALU_DEP_1)
	v_mul_f32_e32 v6, 0xbfb8aa3b, v6
	v_cmp_gt_f32_e32 vcc_lo, 0xc2fc0000, v6
	v_cndmask_b32_e64 v7, 0, 0x42800000, vcc_lo
	v_cndmask_b32_e64 v6, 1.0, 0x1f800000, vcc_lo
	v_cmp_ne_u32_e32 vcc_lo, 1, v4
	s_delay_alu instid0(VALU_DEP_3) | instskip(SKIP_1) | instid1(VALU_DEP_1)
	v_fma_mix_f32 v5, v5, s2, v7 op_sel_hi:[1,0,0]
	s_and_b32 vcc_lo, exec_lo, vcc_lo
	v_exp_f32_e32 v5, v5
	s_waitcnt_depctr 0xfff
	v_fma_f32 v5, v5, v6, 1.0
	s_delay_alu instid0(VALU_DEP_1)
	v_rcp_f32_e32 v19, v5
	s_waitcnt_depctr 0xfff
	v_mov_b32_e32 v35, v19
	s_cbranch_vccnz .LBB142_8
; %bb.7:
	global_load_u16 v5, v3, s[6:7] offset:192
	s_waitcnt vmcnt(0)
	v_cvt_f32_f16_e32 v5, v5
	s_delay_alu instid0(VALU_DEP_1)
	v_add_f32_e32 v35, v19, v5
.LBB142_8:
	global_load_u16 v5, v[1:2], off offset:256
	;; [unrolled: 27-line block ×5, first 2 shown]
	s_waitcnt vmcnt(0)
	v_cvt_f32_f16_e32 v2, v1
	s_delay_alu instid0(VALU_DEP_1) | instskip(NEXT) | instid1(VALU_DEP_1)
	v_mul_f32_e32 v2, 0xbfb8aa3b, v2
	v_cmp_gt_f32_e32 vcc_lo, 0xc2fc0000, v2
	v_cndmask_b32_e64 v5, 0, 0x42800000, vcc_lo
	v_cndmask_b32_e64 v2, 1.0, 0x1f800000, vcc_lo
	v_cmp_ne_u32_e32 vcc_lo, 1, v4
	s_delay_alu instid0(VALU_DEP_3) | instskip(NEXT) | instid1(VALU_DEP_1)
	v_fma_mix_f32 v1, v1, s2, v5 op_sel_hi:[1,0,0]
	v_exp_f32_e32 v1, v1
	s_waitcnt_depctr 0xfff
	v_fma_f32 v1, v1, v2, 1.0
	s_delay_alu instid0(VALU_DEP_1)
	v_rcp_f32_e32 v23, v1
	s_cbranch_vccnz .LBB142_16
; %bb.15:
	global_load_u16 v1, v3, s[6:7] offset:448
	s_waitcnt vmcnt(0)
	v_cvt_f32_f16_e32 v1, v1
	s_delay_alu instid0(VALU_DEP_1)
	v_add_f32_e32 v39, v23, v1
	s_branch .LBB142_17
.LBB142_16:
	s_waitcnt_depctr 0xfff
	v_mov_b32_e32 v39, v23
.LBB142_17:
	v_add_nc_u32_e32 v7, 0xe0, v0
	v_dual_mov_b32 v8, v32 :: v_dual_add_nc_u32 v1, 32, v0
	v_dual_mov_b32 v9, v33 :: v_dual_add_nc_u32 v2, 64, v0
	;; [unrolled: 1-line block ×6, first 2 shown]
	v_dual_mov_b32 v14, v38 :: v_dual_mov_b32 v31, v7
	s_delay_alu instid0(VALU_DEP_2)
	v_dual_mov_b32 v47, v7 :: v_dual_mov_b32 v46, v6
	v_dual_mov_b32 v78, v7 :: v_dual_mov_b32 v77, v6
	;; [unrolled: 1-line block ×9, first 2 shown]
	v_mov_b32_e32 v40, v0
	v_dual_mov_b32 v76, v5 :: v_dual_mov_b32 v75, v4
	v_dual_mov_b32 v74, v3 :: v_dual_mov_b32 v73, v2
	v_dual_mov_b32 v72, v1 :: v_dual_mov_b32 v71, v0
	v_dual_mov_b32 v68, v5 :: v_dual_mov_b32 v67, v4
	v_dual_mov_b32 v66, v3 :: v_dual_mov_b32 v65, v2
	v_dual_mov_b32 v64, v1 :: v_dual_mov_b32 v63, v0
	v_dual_mov_b32 v15, v39 :: v_dual_mov_b32 v16, v48
	s_mov_b32 s2, exec_lo
	v_cmpx_lt_f32_e32 v32, v33
	s_xor_b32 s2, exec_lo, s2
	s_cbranch_execz .LBB142_19
; %bb.18:
	v_dual_mov_b32 v30, v6 :: v_dual_mov_b32 v31, v7
	v_dual_mov_b32 v24, v1 :: v_dual_mov_b32 v25, v0
	;; [unrolled: 1-line block ×4, first 2 shown]
	s_delay_alu instid0(VALU_DEP_4)
	v_dual_mov_b32 v47, v31 :: v_dual_mov_b32 v46, v30
	v_dual_mov_b32 v78, v31 :: v_dual_mov_b32 v77, v30
	;; [unrolled: 1-line block ×17, first 2 shown]
	v_mov_b32_e32 v17, v48
	v_mov_b32_e32 v1, v0
.LBB142_19:
	s_or_b32 exec_lo, exec_lo, s2
	v_dual_mov_b32 v62, v23 :: v_dual_mov_b32 v61, v22
	v_dual_mov_b32 v86, v23 :: v_dual_mov_b32 v85, v22
	;; [unrolled: 1-line block ×16, first 2 shown]
	v_mov_b32_e32 v32, v10
	s_mov_b32 s2, exec_lo
	v_cmpx_lt_f32_e32 v33, v10
	s_cbranch_execz .LBB142_21
; %bb.20:
	v_dual_mov_b32 v70, v31 :: v_dual_mov_b32 v69, v30
	v_dual_mov_b32 v64, v25 :: v_dual_mov_b32 v63, v24
	;; [unrolled: 1-line block ×13, first 2 shown]
	v_mov_b32_e32 v74, v3
	v_dual_mov_b32 v87, v95 :: v_dual_mov_b32 v88, v96
	v_dual_mov_b32 v76, v68 :: v_dual_mov_b32 v75, v67
	;; [unrolled: 1-line block ×5, first 2 shown]
	v_mov_b32_e32 v90, v19
	v_dual_mov_b32 v40, v71 :: v_dual_mov_b32 v45, v76
	v_mov_b32_e32 v41, v72
	v_dual_mov_b32 v43, v74 :: v_dual_mov_b32 v46, v77
	;; [unrolled: 2-line block ×3, first 2 shown]
	v_dual_mov_b32 v42, v73 :: v_dual_mov_b32 v47, v78
	v_dual_mov_b32 v44, v4 :: v_dual_mov_b32 v81, v89
	;; [unrolled: 1-line block ×5, first 2 shown]
	v_mov_b32_e32 v84, v92
	v_mov_b32_e32 v86, v94
	v_dual_mov_b32 v24, v40 :: v_dual_mov_b32 v29, v45
	v_dual_mov_b32 v30, v46 :: v_dual_mov_b32 v25, v41
	;; [unrolled: 1-line block ×6, first 2 shown]
	v_mov_b32_e32 v61, v22
	v_mov_b32_e32 v62, v86
	v_dual_mov_b32 v28, v44 :: v_dual_mov_b32 v29, v5
	v_dual_mov_b32 v31, v7 :: v_dual_mov_b32 v32, v33
	;; [unrolled: 1-line block ×3, first 2 shown]
	v_mov_b32_e32 v57, v81
	v_mov_b32_e32 v60, v21
	;; [unrolled: 1-line block ×5, first 2 shown]
.LBB142_21:
	s_or_b32 exec_lo, exec_lo, s2
	v_mov_b32_e32 v1, v11
	s_mov_b32 s2, exec_lo
	v_cmpx_lt_f32_e32 v32, v11
	s_cbranch_execz .LBB142_23
; %bb.22:
	v_mov_b32_e32 v97, v19
	v_mov_b32_e32 v65, v3
	v_dual_mov_b32 v87, v95 :: v_dual_mov_b32 v88, v96
	v_mov_b32_e32 v78, v70
	v_dual_mov_b32 v92, v100 :: v_dual_mov_b32 v71, v63
	v_dual_mov_b32 v90, v98 :: v_dual_mov_b32 v91, v99
	;; [unrolled: 1-line block ×8, first 2 shown]
	v_mov_b32_e32 v80, v88
	s_delay_alu instid0(VALU_DEP_3)
	v_dual_mov_b32 v40, v71 :: v_dual_mov_b32 v41, v72
	v_dual_mov_b32 v83, v91 :: v_dual_mov_b32 v84, v92
	;; [unrolled: 1-line block ×20, first 2 shown]
	v_mov_b32_e32 v1, v32
	v_mov_b32_e32 v19, v18
	;; [unrolled: 1-line block ×3, first 2 shown]
.LBB142_23:
	s_or_b32 exec_lo, exec_lo, s2
	v_mov_b32_e32 v2, v12
	s_mov_b32 s2, exec_lo
	v_cmpx_lt_f32_e32 v1, v12
	s_cbranch_execz .LBB142_25
; %bb.24:
	v_mov_b32_e32 v98, v20
	v_dual_mov_b32 v66, v4 :: v_dual_mov_b32 v79, v95
	v_dual_mov_b32 v40, v63 :: v_dual_mov_b32 v41, v64
	;; [unrolled: 1-line block ×3, first 2 shown]
	s_delay_alu instid0(VALU_DEP_3)
	v_dual_mov_b32 v43, v66 :: v_dual_mov_b32 v80, v96
	v_mov_b32_e32 v81, v97
	v_dual_mov_b32 v46, v69 :: v_dual_mov_b32 v83, v99
	v_dual_mov_b32 v42, v65 :: v_dual_mov_b32 v45, v68
	;; [unrolled: 1-line block ×5, first 2 shown]
	v_mov_b32_e32 v44, v3
	v_dual_mov_b32 v55, v79 :: v_dual_mov_b32 v56, v80
	v_dual_mov_b32 v57, v81 :: v_dual_mov_b32 v24, v40
	v_dual_mov_b32 v25, v41 :: v_dual_mov_b32 v30, v46
	v_dual_mov_b32 v59, v83 :: v_dual_mov_b32 v26, v42
	v_dual_mov_b32 v29, v45 :: v_dual_mov_b32 v28, v44
	v_dual_mov_b32 v31, v47 :: v_dual_mov_b32 v58, v82
	v_dual_mov_b32 v61, v85 :: v_dual_mov_b32 v60, v84
	v_dual_mov_b32 v29, v5 :: v_dual_mov_b32 v62, v86
	v_dual_mov_b32 v31, v7 :: v_dual_mov_b32 v30, v6
	v_dual_mov_b32 v87, v95 :: v_dual_mov_b32 v78, v70
	v_mov_b32_e32 v73, v65
	v_dual_mov_b32 v12, v1 :: v_dual_mov_b32 v27, v43
	v_dual_mov_b32 v60, v21 :: v_dual_mov_b32 v61, v22
	v_dual_mov_b32 v62, v23 :: v_dual_mov_b32 v89, v97
	v_dual_mov_b32 v88, v96 :: v_dual_mov_b32 v91, v99
	v_dual_mov_b32 v90, v98 :: v_dual_mov_b32 v93, v101
	v_dual_mov_b32 v92, v100 :: v_dual_mov_b32 v77, v69
	v_dual_mov_b32 v94, v102 :: v_dual_mov_b32 v75, v67
	v_dual_mov_b32 v76, v68 :: v_dual_mov_b32 v71, v63
	v_mov_b32_e32 v74, v66
	v_mov_b32_e32 v72, v64
	;; [unrolled: 1-line block ×5, first 2 shown]
.LBB142_25:
	s_or_b32 exec_lo, exec_lo, s2
	v_mov_b32_e32 v1, v13
	s_mov_b32 s2, exec_lo
	v_cmpx_lt_f32_e32 v2, v13
	s_cbranch_execz .LBB142_27
; %bb.26:
	v_mov_b32_e32 v75, v5
	v_dual_mov_b32 v91, v21 :: v_dual_mov_b32 v24, v71
	v_mov_b32_e32 v30, v77
	v_mov_b32_e32 v30, v6
	;; [unrolled: 1-line block ×4, first 2 shown]
	v_dual_mov_b32 v55, v87 :: v_dual_mov_b32 v60, v92
	v_dual_mov_b32 v79, v87 :: v_dual_mov_b32 v82, v90
	;; [unrolled: 1-line block ×17, first 2 shown]
	v_mov_b32_e32 v21, v20
	v_mov_b32_e32 v5, v4
	;; [unrolled: 1-line block ×4, first 2 shown]
.LBB142_27:
	s_or_b32 exec_lo, exec_lo, s2
	v_mov_b32_e32 v2, v14
	s_mov_b32 s2, exec_lo
	v_cmpx_lt_f32_e32 v1, v14
	s_cbranch_execz .LBB142_29
; %bb.28:
	v_dual_mov_b32 v45, v6 :: v_dual_mov_b32 v46, v5
	v_dual_mov_b32 v84, v22 :: v_dual_mov_b32 v85, v21
	;; [unrolled: 1-line block ×12, first 2 shown]
	v_mov_b32_e32 v2, v1
.LBB142_29:
	s_or_b32 exec_lo, exec_lo, s2
	s_delay_alu instid0(VALU_DEP_1)
	v_cmp_lt_f32_e32 vcc_lo, v2, v15
	v_dual_mov_b32 v40, v56 :: v_dual_mov_b32 v43, v59
	v_cmp_lt_f32_e64 s2, v8, v9
	v_dual_mov_b32 v41, v57 :: v_dual_mov_b32 v42, v58
	v_dual_cndmask_b32 v23, v15, v2 :: v_dual_cndmask_b32 v14, v14, v15
	v_dual_cndmask_b32 v46, v62, v61 :: v_dual_mov_b32 v39, v55
	s_delay_alu instid0(VALU_DEP_2) | instskip(SKIP_3) | instid1(VALU_DEP_4)
	v_dual_mov_b32 v44, v60 :: v_dual_mov_b32 v15, v23
	v_cndmask_b32_e32 v45, v61, v62, vcc_lo
	v_dual_cndmask_b32 v54, v31, v30 :: v_dual_cndmask_b32 v53, v30, v31
	v_dual_mov_b32 v47, v24 :: v_dual_mov_b32 v50, v27
	v_mov_b32_e32 v22, v15
	v_dual_mov_b32 v21, v14 :: v_dual_mov_b32 v20, v13
	v_dual_mov_b32 v19, v12 :: v_dual_mov_b32 v18, v11
	;; [unrolled: 1-line block ×5, first 2 shown]
	v_mov_b32_e32 v51, v28
	s_and_saveexec_b32 s3, s2
	s_delay_alu instid0(SALU_CYCLE_1)
	s_xor_b32 s2, exec_lo, s3
	s_cbranch_execz .LBB142_31
; %bb.30:
	v_dual_mov_b32 v16, v9 :: v_dual_mov_b32 v17, v8
	v_dual_mov_b32 v18, v10 :: v_dual_mov_b32 v19, v11
	;; [unrolled: 1-line block ×4, first 2 shown]
	s_delay_alu instid0(VALU_DEP_4)
	v_dual_mov_b32 v15, v16 :: v_dual_mov_b32 v40, v55
	v_dual_mov_b32 v16, v17 :: v_dual_mov_b32 v39, v56
	;; [unrolled: 1-line block ×10, first 2 shown]
.LBB142_31:
	s_or_b32 exec_lo, exec_lo, s2
	v_dual_mov_b32 v31, v39 :: v_dual_mov_b32 v32, v40
	v_dual_mov_b32 v78, v46 :: v_dual_mov_b32 v77, v45
	;; [unrolled: 1-line block ×22, first 2 shown]
	v_mov_b32_e32 v10, v17
	s_mov_b32 s2, exec_lo
	v_dual_mov_b32 v76, v44 :: v_dual_mov_b32 v75, v43
	v_dual_mov_b32 v68, v52 :: v_dual_mov_b32 v67, v51
	v_cmpx_lt_f32_e32 v9, v17
	s_cbranch_execz .LBB142_33
; %bb.32:
	v_dual_mov_b32 v1, v47 :: v_dual_mov_b32 v2, v48
	v_dual_mov_b32 v7, v53 :: v_dual_mov_b32 v8, v54
	v_mov_b32_e32 v2, v49
	v_dual_mov_b32 v3, v49 :: v_dual_mov_b32 v4, v50
	v_dual_mov_b32 v5, v51 :: v_dual_mov_b32 v6, v52
	;; [unrolled: 1-line block ×7, first 2 shown]
	v_mov_b32_e32 v57, v40
	v_dual_mov_b32 v70, v8 :: v_dual_mov_b32 v69, v7
	v_dual_mov_b32 v64, v2 :: v_dual_mov_b32 v63, v1
	;; [unrolled: 1-line block ×6, first 2 shown]
	v_mov_b32_e32 v66, v50
	v_dual_mov_b32 v16, v17 :: v_dual_mov_b32 v75, v59
	v_dual_mov_b32 v17, v9 :: v_dual_mov_b32 v76, v60
	;; [unrolled: 1-line block ×17, first 2 shown]
.LBB142_33:
	s_or_b32 exec_lo, exec_lo, s2
	v_mov_b32_e32 v9, v18
	s_mov_b32 s2, exec_lo
	s_delay_alu instid0(VALU_DEP_2)
	v_cmpx_lt_f32_e32 v10, v18
	s_cbranch_execz .LBB142_35
; %bb.34:
	v_mov_b32_e32 v3, v50
	v_dual_mov_b32 v57, v42 :: v_dual_mov_b32 v70, v8
	v_mov_b32_e32 v66, v4
	v_dual_mov_b32 v78, v62 :: v_dual_mov_b32 v77, v61
	v_mov_b32_e32 v66, v49
	v_mov_b32_e32 v63, v1
	;; [unrolled: 1-line block ×3, first 2 shown]
	v_dual_mov_b32 v69, v7 :: v_dual_mov_b32 v68, v6
	v_dual_mov_b32 v67, v5 :: v_dual_mov_b32 v64, v2
	;; [unrolled: 1-line block ×4, first 2 shown]
	v_mov_b32_e32 v65, v3
	v_dual_mov_b32 v73, v57 :: v_dual_mov_b32 v72, v56
	v_mov_b32_e32 v74, v41
	v_dual_mov_b32 v18, v10 :: v_dual_mov_b32 v23, v63
	v_dual_mov_b32 v24, v64 :: v_dual_mov_b32 v31, v71
	s_delay_alu instid0(VALU_DEP_4)
	v_dual_mov_b32 v32, v72 :: v_dual_mov_b32 v27, v67
	v_dual_mov_b32 v28, v68 :: v_dual_mov_b32 v29, v69
	;; [unrolled: 1-line block ×10, first 2 shown]
	v_mov_b32_e32 v38, v46
	v_dual_mov_b32 v9, v10 :: v_dual_mov_b32 v42, v41
	v_mov_b32_e32 v50, v49
.LBB142_35:
	s_or_b32 exec_lo, exec_lo, s2
	v_mov_b32_e32 v4, v19
	s_mov_b32 s2, exec_lo
	v_cmpx_lt_f32_e32 v9, v19
	s_cbranch_execz .LBB142_37
; %bb.36:
	v_mov_b32_e32 v4, v51
	v_dual_mov_b32 v18, v19 :: v_dual_mov_b32 v19, v9
	v_mov_b32_e32 v58, v43
	v_dual_mov_b32 v30, v8 :: v_dual_mov_b32 v29, v7
	v_dual_mov_b32 v28, v6 :: v_dual_mov_b32 v25, v3
	v_dual_mov_b32 v23, v1 :: v_dual_mov_b32 v28, v52
	v_mov_b32_e32 v31, v55
	v_dual_mov_b32 v27, v5 :: v_dual_mov_b32 v32, v56
	v_dual_mov_b32 v35, v59 :: v_dual_mov_b32 v34, v58
	;; [unrolled: 4-line block ×3, first 2 shown]
	v_dual_mov_b32 v70, v8 :: v_dual_mov_b32 v65, v3
	v_dual_mov_b32 v26, v4 :: v_dual_mov_b32 v27, v50
	;; [unrolled: 1-line block ×11, first 2 shown]
	v_mov_b32_e32 v64, v2
	v_dual_mov_b32 v4, v9 :: v_dual_mov_b32 v51, v50
.LBB142_37:
	s_or_b32 exec_lo, exec_lo, s2
	v_mov_b32_e32 v1, v20
	s_mov_b32 s2, exec_lo
	s_delay_alu instid0(VALU_DEP_2)
	v_cmpx_lt_f32_e32 v4, v20
	s_cbranch_execz .LBB142_39
; %bb.38:
	v_dual_mov_b32 v67, v52 :: v_dual_mov_b32 v68, v51
	v_dual_mov_b32 v69, v53 :: v_dual_mov_b32 v76, v43
	;; [unrolled: 1-line block ×4, first 2 shown]
	v_mov_b32_e32 v19, v20
	v_dual_mov_b32 v20, v4 :: v_dual_mov_b32 v31, v71
	v_dual_mov_b32 v23, v63 :: v_dual_mov_b32 v24, v64
	;; [unrolled: 1-line block ×9, first 2 shown]
.LBB142_39:
	s_or_b32 exec_lo, exec_lo, s2
	s_delay_alu instid0(VALU_DEP_1)
	v_cmp_lt_f32_e32 vcc_lo, v1, v21
	v_mov_b32_e32 v4, v18
	v_mov_b32_e32 v8, v22
	s_mov_b32 s2, exec_lo
	v_dual_mov_b32 v2, v16 :: v_dual_cndmask_b32 v9, v37, v36
	v_cndmask_b32_e32 v36, v36, v37, vcc_lo
	v_cndmask_b32_e32 v10, v29, v28, vcc_lo
	v_dual_cndmask_b32 v28, v28, v29 :: v_dual_mov_b32 v3, v17
	v_cndmask_b32_e32 v7, v21, v1, vcc_lo
	v_dual_cndmask_b32 v6, v20, v21 :: v_dual_mov_b32 v5, v19
	v_mov_b32_e32 v1, v15
	v_cmpx_lt_f32_e32 v15, v16
	s_cbranch_execz .LBB142_41
; %bb.40:
	s_delay_alu instid0(VALU_DEP_2)
	v_dual_mov_b32 v39, v2 :: v_dual_mov_b32 v40, v1
	v_dual_mov_b32 v41, v3 :: v_dual_mov_b32 v42, v4
	;; [unrolled: 1-line block ×4, first 2 shown]
	v_mov_b32_e32 v11, v31
	v_mov_b32_e32 v12, v23
	v_dual_mov_b32 v1, v39 :: v_dual_mov_b32 v4, v42
	v_swap_b32 v31, v32
	v_swap_b32 v23, v24
	v_dual_mov_b32 v2, v40 :: v_dual_mov_b32 v3, v41
	v_dual_mov_b32 v5, v43 :: v_dual_mov_b32 v6, v44
	;; [unrolled: 1-line block ×3, first 2 shown]
	v_mov_b32_e32 v16, v15
.LBB142_41:
	s_or_b32 exec_lo, exec_lo, s2
	v_mov_b32_e32 v29, v10
	v_dual_mov_b32 v37, v9 :: v_dual_mov_b32 v54, v30
	v_mov_b32_e32 v46, v38
	v_dual_mov_b32 v44, v36 :: v_dual_mov_b32 v39, v31
	v_dual_mov_b32 v70, v38 :: v_dual_mov_b32 v49, v25
	s_delay_alu instid0(VALU_DEP_4)
	v_dual_mov_b32 v62, v30 :: v_dual_mov_b32 v45, v37
	v_dual_mov_b32 v43, v35 :: v_dual_mov_b32 v42, v34
	;; [unrolled: 1-line block ×12, first 2 shown]
	v_mov_b32_e32 v57, v25
	v_mov_b32_e32 v55, v23
	;; [unrolled: 1-line block ×3, first 2 shown]
	s_mov_b32 s2, exec_lo
	v_cmpx_lt_f32_e32 v16, v3
	s_cbranch_execz .LBB142_43
; %bb.42:
	v_dual_mov_b32 v62, v30 :: v_dual_mov_b32 v61, v29
	v_dual_mov_b32 v58, v26 :: v_dual_mov_b32 v57, v25
	;; [unrolled: 1-line block ×7, first 2 shown]
	s_delay_alu instid0(VALU_DEP_4)
	v_dual_mov_b32 v47, v55 :: v_dual_mov_b32 v48, v56
	v_dual_mov_b32 v68, v36 :: v_dual_mov_b32 v67, v35
	;; [unrolled: 1-line block ×16, first 2 shown]
	v_mov_b32_e32 v44, v36
	v_dual_mov_b32 v46, v38 :: v_dual_mov_b32 v11, v16
	v_mov_b32_e32 v33, v32
	v_mov_b32_e32 v25, v24
.LBB142_43:
	s_or_b32 exec_lo, exec_lo, s2
	v_mov_b32_e32 v12, v4
	s_mov_b32 s2, exec_lo
	v_cmpx_lt_f32_e32 v11, v4
	s_cbranch_execz .LBB142_45
; %bb.44:
	v_mov_b32_e32 v57, v26
	v_dual_mov_b32 v3, v4 :: v_dual_mov_b32 v4, v11
	v_mov_b32_e32 v65, v34
	v_dual_mov_b32 v47, v55 :: v_dual_mov_b32 v52, v60
	v_dual_mov_b32 v48, v56 :: v_dual_mov_b32 v39, v63
	v_dual_mov_b32 v42, v66 :: v_dual_mov_b32 v49, v57
	v_mov_b32_e32 v54, v62
	v_dual_mov_b32 v50, v58 :: v_dual_mov_b32 v51, v59
	v_mov_b32_e32 v50, v25
	v_dual_mov_b32 v53, v61 :: v_dual_mov_b32 v52, v28
	v_dual_mov_b32 v41, v65 :: v_dual_mov_b32 v44, v68
	;; [unrolled: 1-line block ×8, first 2 shown]
	v_mov_b32_e32 v12, v11
	v_mov_b32_e32 v34, v33
	;; [unrolled: 1-line block ×3, first 2 shown]
.LBB142_45:
	s_or_b32 exec_lo, exec_lo, s2
	v_mov_b32_e32 v11, v5
	s_mov_b32 s2, exec_lo
	v_cmpx_lt_f32_e32 v12, v5
	s_cbranch_execz .LBB142_47
; %bb.46:
	v_dual_mov_b32 v68, v36 :: v_dual_mov_b32 v69, v9
	v_dual_mov_b32 v58, v27 :: v_dual_mov_b32 v59, v26
	;; [unrolled: 1-line block ×4, first 2 shown]
	v_mov_b32_e32 v70, v38
	v_dual_mov_b32 v4, v5 :: v_dual_mov_b32 v5, v12
	v_dual_mov_b32 v62, v30 :: v_dual_mov_b32 v39, v63
	v_dual_mov_b32 v44, v68 :: v_dual_mov_b32 v47, v55
	v_dual_mov_b32 v40, v64 :: v_dual_mov_b32 v41, v65
	v_dual_mov_b32 v42, v66 :: v_dual_mov_b32 v45, v69
	v_dual_mov_b32 v43, v67 :: v_dual_mov_b32 v46, v70
	v_dual_mov_b32 v49, v57 :: v_dual_mov_b32 v48, v56
	v_dual_mov_b32 v51, v59 :: v_dual_mov_b32 v50, v58
	v_dual_mov_b32 v53, v61 :: v_dual_mov_b32 v52, v60
	v_dual_mov_b32 v54, v62 :: v_dual_mov_b32 v11, v12
.LBB142_47:
	s_or_b32 exec_lo, exec_lo, s2
	s_delay_alu instid0(VALU_DEP_1)
	v_cmp_lt_f32_e32 vcc_lo, v11, v6
	v_dual_mov_b32 v19, v1 :: v_dual_mov_b32 v26, v8
	v_mov_b32_e32 v21, v3
	v_mov_b32_e32 v25, v7
	v_dual_cndmask_b32 v27, v44, v43 :: v_dual_mov_b32 v20, v2
	v_dual_cndmask_b32 v43, v43, v44 :: v_dual_cndmask_b32 v28, v52, v51
	v_dual_cndmask_b32 v51, v51, v52 :: v_dual_cndmask_b32 v24, v6, v11
	v_dual_cndmask_b32 v23, v5, v6 :: v_dual_mov_b32 v22, v4
	s_mov_b32 s2, exec_lo
	v_cmpx_lt_f32_e32 v1, v2
	s_cbranch_execz .LBB142_49
; %bb.48:
	v_dual_mov_b32 v8, v25 :: v_dual_mov_b32 v9, v26
	v_dual_mov_b32 v2, v20 :: v_dual_mov_b32 v3, v19
	;; [unrolled: 1-line block ×4, first 2 shown]
	v_mov_b32_e32 v10, v39
	v_dual_mov_b32 v11, v47 :: v_dual_mov_b32 v26, v9
	v_swap_b32 v39, v40
	v_swap_b32 v47, v48
	v_dual_mov_b32 v25, v8 :: v_dual_mov_b32 v24, v7
	v_dual_mov_b32 v23, v6 :: v_dual_mov_b32 v22, v5
	;; [unrolled: 1-line block ×4, first 2 shown]
.LBB142_49:
	s_or_b32 exec_lo, exec_lo, s2
	v_mov_b32_e32 v52, v28
	v_mov_b32_e32 v44, v27
	;; [unrolled: 1-line block ×4, first 2 shown]
	v_dual_mov_b32 v11, v39 :: v_dual_mov_b32 v4, v48
	v_dual_mov_b32 v12, v40 :: v_dual_mov_b32 v13, v41
	;; [unrolled: 1-line block ×7, first 2 shown]
	v_mov_b32_e32 v10, v54
	s_mov_b32 s2, exec_lo
	v_cmpx_lt_f32_e32 v2, v21
	s_cbranch_execz .LBB142_51
; %bb.50:
	v_dual_mov_b32 v3, v47 :: v_dual_mov_b32 v4, v48
	v_dual_mov_b32 v9, v53 :: v_dual_mov_b32 v10, v54
	;; [unrolled: 1-line block ×17, first 2 shown]
	v_mov_b32_e32 v49, v48
.LBB142_51:
	s_or_b32 exec_lo, exec_lo, s2
	v_mov_b32_e32 v29, v22
	s_mov_b32 s2, exec_lo
	v_cmpx_lt_f32_e32 v1, v22
; %bb.52:
	v_dual_mov_b32 v21, v22 :: v_dual_mov_b32 v22, v1
	v_dual_mov_b32 v5, v50 :: v_dual_mov_b32 v6, v49
	v_dual_mov_b32 v7, v51 :: v_dual_mov_b32 v8, v28
	v_dual_mov_b32 v9, v53 :: v_dual_mov_b32 v10, v54
	v_dual_mov_b32 v13, v42 :: v_dual_mov_b32 v14, v41
	v_dual_mov_b32 v15, v43 :: v_dual_mov_b32 v18, v46
	v_dual_mov_b32 v16, v27 :: v_dual_mov_b32 v17, v45
	v_mov_b32_e32 v29, v1
; %bb.53:
	s_or_b32 exec_lo, exec_lo, s2
	s_delay_alu instid0(VALU_DEP_1)
	v_cmp_lt_f32_e32 vcc_lo, v29, v23
	v_dual_mov_b32 v28, v20 :: v_dual_mov_b32 v33, v25
	v_mov_b32_e32 v32, v24
	v_dual_mov_b32 v34, v26 :: v_dual_cndmask_b32 v1, v15, v14
	v_cndmask_b32_e32 v14, v14, v15, vcc_lo
	v_cndmask_b32_e32 v2, v7, v6, vcc_lo
	v_dual_cndmask_b32 v6, v6, v7 :: v_dual_cndmask_b32 v31, v23, v29
	v_dual_cndmask_b32 v30, v22, v23 :: v_dual_mov_b32 v27, v19
	v_mov_b32_e32 v29, v21
	s_mov_b32 s2, exec_lo
	v_cmpx_lt_f32_e32 v19, v20
	s_cbranch_execz .LBB142_55
; %bb.54:
	v_dual_mov_b32 v20, v28 :: v_dual_mov_b32 v21, v27
	v_dual_mov_b32 v26, v33 :: v_dual_mov_b32 v27, v34
	;; [unrolled: 1-line block ×4, first 2 shown]
	s_delay_alu instid0(VALU_DEP_3)
	v_mov_b32_e32 v34, v27
	v_mov_b32_e32 v7, v11
	v_dual_mov_b32 v15, v3 :: v_dual_mov_b32 v28, v21
	v_swap_b32 v11, v12
	v_swap_b32 v3, v4
	v_dual_mov_b32 v33, v26 :: v_dual_mov_b32 v30, v23
	v_dual_mov_b32 v32, v25 :: v_dual_mov_b32 v31, v24
	v_mov_b32_e32 v29, v22
	v_dual_mov_b32 v27, v20 :: v_dual_mov_b32 v20, v19
.LBB142_55:
	s_or_b32 exec_lo, exec_lo, s2
	v_mov_b32_e32 v7, v2
	v_mov_b32_e32 v15, v1
	;; [unrolled: 1-line block ×3, first 2 shown]
	s_mov_b32 s2, exec_lo
	v_cmpx_lt_f32_e32 v20, v29
	s_cbranch_execz .LBB142_57
; %bb.56:
	v_dual_mov_b32 v42, v10 :: v_dual_mov_b32 v41, v9
	v_dual_mov_b32 v40, v8 :: v_dual_mov_b32 v39, v7
	v_dual_mov_b32 v38, v6 :: v_dual_mov_b32 v37, v5
	v_dual_mov_b32 v36, v4 :: v_dual_mov_b32 v35, v3
	v_dual_mov_b32 v36, v5 :: v_dual_mov_b32 v37, v4
	v_dual_mov_b32 v38, v6 :: v_dual_mov_b32 v41, v9
	v_dual_mov_b32 v39, v2 :: v_dual_mov_b32 v40, v8
	v_dual_mov_b32 v2, v11 :: v_dual_mov_b32 v3, v12
	v_dual_mov_b32 v8, v17 :: v_dual_mov_b32 v9, v18
	v_dual_mov_b32 v4, v13 :: v_dual_mov_b32 v5, v14
	v_dual_mov_b32 v6, v15 :: v_dual_mov_b32 v7, v16
	v_dual_mov_b32 v9, v18 :: v_dual_mov_b32 v28, v29
	v_dual_mov_b32 v3, v13 :: v_dual_mov_b32 v4, v12
	v_dual_mov_b32 v5, v14 :: v_dual_mov_b32 v6, v1
	v_dual_mov_b32 v7, v16 :: v_dual_mov_b32 v8, v17
	v_dual_mov_b32 v42, v10 :: v_dual_mov_b32 v29, v20
	v_mov_b32_e32 v18, v9
	s_delay_alu instid0(VALU_DEP_3) | instskip(NEXT) | instid1(VALU_DEP_4)
	v_dual_mov_b32 v16, v7 :: v_dual_mov_b32 v15, v6
	v_dual_mov_b32 v17, v8 :: v_dual_mov_b32 v14, v5
	;; [unrolled: 1-line block ×3, first 2 shown]
	v_mov_b32_e32 v11, v2
	v_dual_mov_b32 v3, v35 :: v_dual_mov_b32 v4, v36
	v_dual_mov_b32 v5, v37 :: v_dual_mov_b32 v6, v38
	;; [unrolled: 1-line block ×4, first 2 shown]
	v_mov_b32_e32 v19, v20
.LBB142_57:
	s_or_b32 exec_lo, exec_lo, s2
	s_delay_alu instid0(VALU_DEP_1)
	v_cmp_lt_f32_e32 vcc_lo, v19, v30
	v_dual_mov_b32 v20, v7 :: v_dual_mov_b32 v21, v8
	v_dual_mov_b32 v22, v9 :: v_dual_mov_b32 v23, v10
	v_dual_cndmask_b32 v1, v14, v13 :: v_dual_cndmask_b32 v36, v5, v6
	v_dual_cndmask_b32 v35, v13, v14 :: v_dual_cndmask_b32 v2, v6, v5
	;; [unrolled: 1-line block ×3, first 2 shown]
	v_dual_mov_b32 v6, v15 :: v_dual_mov_b32 v13, v16
	v_dual_mov_b32 v14, v17 :: v_dual_mov_b32 v19, v18
	v_dual_mov_b32 v37, v28 :: v_dual_mov_b32 v24, v31
	v_dual_mov_b32 v25, v32 :: v_dual_mov_b32 v26, v33
	v_mov_b32_e32 v29, v34
	s_mov_b32 s2, exec_lo
	v_cmpx_lt_f32_e32 v27, v28
	s_cbranch_execz .LBB142_59
; %bb.58:
	v_dual_mov_b32 v24, v28 :: v_dual_mov_b32 v37, v27
	v_dual_mov_b32 v6, v11 :: v_dual_mov_b32 v13, v16
	;; [unrolled: 1-line block ×3, first 2 shown]
	v_swap_b32 v11, v12
	v_swap_b32 v3, v4
	v_dual_mov_b32 v28, v27 :: v_dual_mov_b32 v21, v8
	v_dual_mov_b32 v6, v15 :: v_dual_mov_b32 v23, v10
	v_dual_mov_b32 v14, v17 :: v_dual_mov_b32 v27, v24
	v_dual_mov_b32 v20, v7 :: v_dual_mov_b32 v25, v32
	v_dual_mov_b32 v22, v9 :: v_dual_mov_b32 v29, v34
	v_mov_b32_e32 v24, v31
	v_mov_b32_e32 v26, v33
.LBB142_59:
	s_or_b32 exec_lo, exec_lo, s2
	s_clause 0x1
	s_load_b32 s8, s[0:1], 0x28
	s_load_b128 s[4:7], s[0:1], 0x10
	s_waitcnt lgkmcnt(0)
	s_cmp_lt_i32 s8, 1
	s_cbranch_scc1 .LBB142_65
; %bb.60:
	v_cmp_lt_f32_e32 vcc_lo, v28, v30
	v_mov_b32_e32 v9, 0
	s_mov_b32 s9, 0x76543210
	s_mov_b32 s10, s8
	v_mov_b32_e32 v8, 0
	v_dual_cndmask_b32 v10, v35, v12 :: v_dual_cndmask_b32 v17, v37, v30
	v_cndmask_b32_e32 v7, v36, v4, vcc_lo
	v_cndmask_b32_e32 v15, v4, v36, vcc_lo
	;; [unrolled: 1-line block ×4, first 2 shown]
	v_cmp_lt_f32_e64 s2, v27, v17
	s_delay_alu instid0(VALU_DEP_1)
	v_cndmask_b32_e64 v12, v15, v3, s2
	v_cndmask_b32_e64 v15, v3, v15, s2
	v_mov_b32_e32 v3, 0
	v_cndmask_b32_e64 v16, v17, v27, s2
	v_cndmask_b32_e64 v17, v27, v17, s2
	;; [unrolled: 1-line block ×4, first 2 shown]
	v_mov_b32_e32 v27, v0
.LBB142_61:                             ; =>This Inner Loop Header: Depth=1
	v_cmp_eq_u32_e32 vcc_lo, 1, v9
	v_cmp_eq_u32_e64 s2, 2, v9
	v_cmp_gt_u32_e64 s3, 8, v9
	v_dual_cndmask_b32 v28, v17, v16 :: v_dual_cndmask_b32 v31, v11, v18
	v_cndmask_b32_e32 v30, v15, v12, vcc_lo
	v_cmp_eq_u32_e32 vcc_lo, 3, v9
	s_delay_alu instid0(VALU_DEP_3) | instskip(NEXT) | instid1(VALU_DEP_4)
	v_cndmask_b32_e64 v28, v28, v4, s2
	v_cndmask_b32_e64 v31, v31, v10, s2
	s_delay_alu instid0(VALU_DEP_4) | instskip(SKIP_1) | instid1(VALU_DEP_4)
	v_cndmask_b32_e64 v30, v30, v7, s2
	v_cmp_eq_u32_e64 s2, 4, v9
	v_cndmask_b32_e32 v28, v28, v5, vcc_lo
	s_delay_alu instid0(VALU_DEP_3) | instskip(SKIP_1) | instid1(VALU_DEP_3)
	v_dual_cndmask_b32 v31, v31, v1 :: v_dual_cndmask_b32 v30, v30, v2
	v_cmp_eq_u32_e32 vcc_lo, 5, v9
	v_cndmask_b32_e64 v28, v28, v24, s2
	s_delay_alu instid0(VALU_DEP_3) | instskip(NEXT) | instid1(VALU_DEP_4)
	v_cndmask_b32_e64 v31, v31, v6, s2
	v_cndmask_b32_e64 v30, v30, v20, s2
	v_cmp_eq_u32_e64 s2, 6, v9
	s_delay_alu instid0(VALU_DEP_4) | instskip(NEXT) | instid1(VALU_DEP_4)
	v_cndmask_b32_e32 v28, v28, v25, vcc_lo
	v_cndmask_b32_e32 v31, v31, v13, vcc_lo
	s_delay_alu instid0(VALU_DEP_4) | instskip(SKIP_1) | instid1(VALU_DEP_4)
	v_cndmask_b32_e32 v30, v30, v21, vcc_lo
	v_cmp_eq_u32_e32 vcc_lo, 7, v9
	v_cndmask_b32_e64 v28, v28, v26, s2
	s_delay_alu instid0(VALU_DEP_3) | instskip(NEXT) | instid1(VALU_DEP_2)
	v_cndmask_b32_e64 v30, v30, v22, s2
	v_cndmask_b32_e32 v28, v28, v29, vcc_lo
	s_delay_alu instid0(VALU_DEP_2) | instskip(NEXT) | instid1(VALU_DEP_2)
	v_cndmask_b32_e32 v30, v30, v23, vcc_lo
	v_cndmask_b32_e64 v28, 0xff800000, v28, s3
	;;#ASMSTART
	v_max_f32 v32, v28, v28 quad_perm:[1,0,3,2] row_mask:0xf bank_mask:0xf bound_ctrl:1
	;;#ASMEND
	;;#ASMSTART
	v_max_f32 v33, v32, v32 quad_perm:[2,3,0,1] row_mask:0xf bank_mask:0xf bound_ctrl:1
	;;#ASMEND
	;;#ASMSTART
	v_max_f32 v32, v33, v33 row_half_mirror row_mask:0xf bank_mask:0xf bound_ctrl:1
	;;#ASMEND
	;;#ASMSTART
	v_max_f32 v33, v32, v32 row_mirror row_mask:0xf bank_mask:0xf bound_ctrl:1
	;;#ASMEND
	v_permlanex16_b32 v32, v33, s9, 0xfedcba98 op_sel:[1,1]
	s_delay_alu instid0(VALU_DEP_1) | instskip(SKIP_1) | instid1(VALU_DEP_2)
	v_dual_max_f32 v33, v33, v33 :: v_dual_max_f32 v32, v32, v32
	v_cndmask_b32_e64 v31, v31, v14, s2
	v_max_f32_e32 v32, v33, v32
	s_delay_alu instid0(VALU_DEP_1) | instskip(SKIP_1) | instid1(VALU_DEP_2)
	v_cmp_eq_f32_e64 s2, v28, v32
	v_cndmask_b32_e64 v28, 0, v30, s3
	s_ctz_i32_b32 s11, s2
	s_cmp_lg_u32 s2, 0
	s_cselect_b32 s2, s11, 0
	s_add_i32 s10, s10, -1
	v_readlane_b32 s11, v28, s2
	v_cndmask_b32_e32 v28, v31, v19, vcc_lo
	s_delay_alu instid0(VALU_DEP_2)
	v_cmp_eq_u32_e32 vcc_lo, s11, v30
	s_and_b32 s2, s11, 31
	s_and_b32 vcc_lo, s3, vcc_lo
	s_cmp_eq_u32 s10, 0
	v_cndmask_b32_e32 v28, 0, v28, vcc_lo
	v_add_co_ci_u32_e32 v9, vcc_lo, 0, v9, vcc_lo
	s_delay_alu instid0(VALU_DEP_2) | instskip(SKIP_2) | instid1(VALU_DEP_2)
	v_readlane_b32 s3, v28, s2
	v_cmp_eq_u32_e64 s2, 0, v27
	v_add_nc_u32_e32 v27, -1, v27
	v_cndmask_b32_e64 v8, v8, s3, s2
	v_cndmask_b32_e64 v3, v3, s11, s2
	s_cbranch_scc0 .LBB142_61
; %bb.62:
	s_mov_b32 s2, exec_lo
	v_cmpx_gt_i32_e64 s8, v0
	s_cbranch_execz .LBB142_64
.LBB142_63:
	s_clause 0x1
	s_load_b64 s[2:3], s[0:1], 0x20
	s_load_b32 s8, s[0:1], 0x30
	s_ashr_i32 s0, s15, 31
	v_lshlrev_b32_e32 v0, 2, v0
	s_waitcnt lgkmcnt(0)
	s_mul_i32 s1, s15, s3
	s_mul_hi_u32 s3, s15, s2
	s_mul_i32 s0, s0, s2
	s_add_i32 s1, s3, s1
	v_mul_f32_e32 v1, s8, v8
	s_add_i32 s1, s1, s0
	s_mul_i32 s0, s15, s2
	s_delay_alu instid0(SALU_CYCLE_1) | instskip(NEXT) | instid1(SALU_CYCLE_1)
	s_lshl_b64 s[0:1], s[0:1], 2
	s_add_u32 s2, s4, s0
	s_addc_u32 s3, s5, s1
	s_add_u32 s0, s6, s0
	s_addc_u32 s1, s7, s1
	s_clause 0x1
	global_store_b32 v0, v1, s[2:3]
	global_store_b32 v0, v3, s[0:1]
.LBB142_64:
	s_nop 0
	s_sendmsg sendmsg(MSG_DEALLOC_VGPRS)
	s_endpgm
.LBB142_65:
	v_dual_mov_b32 v3, 0 :: v_dual_mov_b32 v8, 0
	s_mov_b32 s2, exec_lo
	v_cmpx_gt_i32_e64 s8, v0
	s_cbranch_execnz .LBB142_63
	s_branch .LBB142_64
	.section	.rodata,"a",@progbits
	.p2align	6, 0x0
	.amdhsa_kernel _ZN5aiter24topk_softplus_kernel_optI6__halfS1_Li256ELb0ELi1EEEvPKT_PKT0_PfPimiif
		.amdhsa_group_segment_fixed_size 0
		.amdhsa_private_segment_fixed_size 0
		.amdhsa_kernarg_size 52
		.amdhsa_user_sgpr_count 15
		.amdhsa_user_sgpr_dispatch_ptr 0
		.amdhsa_user_sgpr_queue_ptr 0
		.amdhsa_user_sgpr_kernarg_segment_ptr 1
		.amdhsa_user_sgpr_dispatch_id 0
		.amdhsa_user_sgpr_private_segment_size 0
		.amdhsa_wavefront_size32 1
		.amdhsa_uses_dynamic_stack 0
		.amdhsa_enable_private_segment 0
		.amdhsa_system_sgpr_workgroup_id_x 1
		.amdhsa_system_sgpr_workgroup_id_y 0
		.amdhsa_system_sgpr_workgroup_id_z 0
		.amdhsa_system_sgpr_workgroup_info 0
		.amdhsa_system_vgpr_workitem_id 0
		.amdhsa_next_free_vgpr 103
		.amdhsa_next_free_sgpr 16
		.amdhsa_reserve_vcc 1
		.amdhsa_float_round_mode_32 0
		.amdhsa_float_round_mode_16_64 0
		.amdhsa_float_denorm_mode_32 3
		.amdhsa_float_denorm_mode_16_64 3
		.amdhsa_dx10_clamp 1
		.amdhsa_ieee_mode 1
		.amdhsa_fp16_overflow 0
		.amdhsa_workgroup_processor_mode 1
		.amdhsa_memory_ordered 1
		.amdhsa_forward_progress 0
		.amdhsa_shared_vgpr_count 0
		.amdhsa_exception_fp_ieee_invalid_op 0
		.amdhsa_exception_fp_denorm_src 0
		.amdhsa_exception_fp_ieee_div_zero 0
		.amdhsa_exception_fp_ieee_overflow 0
		.amdhsa_exception_fp_ieee_underflow 0
		.amdhsa_exception_fp_ieee_inexact 0
		.amdhsa_exception_int_div_zero 0
	.end_amdhsa_kernel
	.section	.text._ZN5aiter24topk_softplus_kernel_optI6__halfS1_Li256ELb0ELi1EEEvPKT_PKT0_PfPimiif,"axG",@progbits,_ZN5aiter24topk_softplus_kernel_optI6__halfS1_Li256ELb0ELi1EEEvPKT_PKT0_PfPimiif,comdat
.Lfunc_end142:
	.size	_ZN5aiter24topk_softplus_kernel_optI6__halfS1_Li256ELb0ELi1EEEvPKT_PKT0_PfPimiif, .Lfunc_end142-_ZN5aiter24topk_softplus_kernel_optI6__halfS1_Li256ELb0ELi1EEEvPKT_PKT0_PfPimiif
                                        ; -- End function
	.section	.AMDGPU.csdata,"",@progbits
; Kernel info:
; codeLenInByte = 6876
; NumSgprs: 18
; NumVgprs: 103
; ScratchSize: 0
; MemoryBound: 0
; FloatMode: 240
; IeeeMode: 1
; LDSByteSize: 0 bytes/workgroup (compile time only)
; SGPRBlocks: 2
; VGPRBlocks: 12
; NumSGPRsForWavesPerEU: 18
; NumVGPRsForWavesPerEU: 103
; Occupancy: 12
; WaveLimiterHint : 0
; COMPUTE_PGM_RSRC2:SCRATCH_EN: 0
; COMPUTE_PGM_RSRC2:USER_SGPR: 15
; COMPUTE_PGM_RSRC2:TRAP_HANDLER: 0
; COMPUTE_PGM_RSRC2:TGID_X_EN: 1
; COMPUTE_PGM_RSRC2:TGID_Y_EN: 0
; COMPUTE_PGM_RSRC2:TGID_Z_EN: 0
; COMPUTE_PGM_RSRC2:TIDIG_COMP_CNT: 0
	.section	.text._ZN5aiter24topk_softplus_kernel_optI6__halfS1_Li384ELb1ELi1EEEvPKT_PKT0_PfPimiif,"axG",@progbits,_ZN5aiter24topk_softplus_kernel_optI6__halfS1_Li384ELb1ELi1EEEvPKT_PKT0_PfPimiif,comdat
	.protected	_ZN5aiter24topk_softplus_kernel_optI6__halfS1_Li384ELb1ELi1EEEvPKT_PKT0_PfPimiif ; -- Begin function _ZN5aiter24topk_softplus_kernel_optI6__halfS1_Li384ELb1ELi1EEEvPKT_PKT0_PfPimiif
	.globl	_ZN5aiter24topk_softplus_kernel_optI6__halfS1_Li384ELb1ELi1EEEvPKT_PKT0_PfPimiif
	.p2align	8
	.type	_ZN5aiter24topk_softplus_kernel_optI6__halfS1_Li384ELb1ELi1EEEvPKT_PKT0_PfPimiif,@function
_ZN5aiter24topk_softplus_kernel_optI6__halfS1_Li384ELb1ELi1EEEvPKT_PKT0_PfPimiif: ; @_ZN5aiter24topk_softplus_kernel_optI6__halfS1_Li384ELb1ELi1EEEvPKT_PKT0_PfPimiif
; %bb.0:
	s_load_b128 s[4:7], s[0:1], 0x0
	s_mul_i32 s2, s15, 0x180
	v_lshlrev_b32_e32 v3, 1, v0
	s_ashr_i32 s3, s2, 31
	s_delay_alu instid0(SALU_CYCLE_1)
	s_lshl_b64 s[2:3], s[2:3], 1
	s_waitcnt lgkmcnt(0)
	s_add_u32 s4, s4, s2
	s_addc_u32 s5, s5, s3
	s_mov_b32 s3, 0xbfb8aa3b
	global_load_u16 v1, v3, s[4:5]
	s_cmp_lg_u64 s[6:7], 0
	s_cselect_b32 s2, -1, 0
	s_waitcnt vmcnt(0)
	v_cvt_f32_f16_e32 v2, v1
	s_delay_alu instid0(VALU_DEP_1) | instskip(NEXT) | instid1(VALU_DEP_1)
	v_mul_f32_e32 v2, 0xbfb8aa3b, v2
	v_cmp_gt_f32_e32 vcc_lo, 0xc2fc0000, v2
	v_cndmask_b32_e64 v2, 0, 0x42800000, vcc_lo
	s_delay_alu instid0(VALU_DEP_1) | instskip(SKIP_2) | instid1(VALU_DEP_2)
	v_fma_mix_f32 v1, v1, s3, v2 op_sel_hi:[1,0,0]
	v_cndmask_b32_e64 v2, 1.0, 0x1f800000, vcc_lo
	s_and_b32 vcc_lo, exec_lo, s2
	v_exp_f32_e32 v1, v1
	s_waitcnt_depctr 0xfff
	v_fma_f32 v1, v1, v2, 1.0
	s_delay_alu instid0(VALU_DEP_1) | instskip(SKIP_1) | instid1(VALU_DEP_1)
	v_rcp_f32_e32 v37, v1
	v_add_co_u32 v1, s4, s4, v3
	v_add_co_ci_u32_e64 v2, null, s5, 0, s4
	s_waitcnt_depctr 0xfff
	v_mov_b32_e32 v48, v37
	s_cbranch_vccz .LBB143_2
; %bb.1:
	global_load_u16 v4, v3, s[6:7]
	s_waitcnt vmcnt(0)
	v_cvt_f32_f16_e32 v4, v4
	s_delay_alu instid0(VALU_DEP_1)
	v_add_f32_e32 v48, v37, v4
.LBB143_2:
	global_load_u16 v4, v[1:2], off offset:64
	s_waitcnt vmcnt(0)
	v_cvt_f32_f16_e32 v5, v4
	s_delay_alu instid0(VALU_DEP_1) | instskip(NEXT) | instid1(VALU_DEP_1)
	v_mul_f32_e32 v5, 0xbfb8aa3b, v5
	v_cmp_gt_f32_e32 vcc_lo, 0xc2fc0000, v5
	v_cndmask_b32_e64 v6, 0, 0x42800000, vcc_lo
	v_cndmask_b32_e64 v5, 1.0, 0x1f800000, vcc_lo
	s_and_not1_b32 vcc_lo, exec_lo, s2
	s_delay_alu instid0(VALU_DEP_2) | instskip(NEXT) | instid1(VALU_DEP_1)
	v_fma_mix_f32 v4, v4, s3, v6 op_sel_hi:[1,0,0]
	v_exp_f32_e32 v4, v4
	s_waitcnt_depctr 0xfff
	v_fma_f32 v4, v4, v5, 1.0
	s_delay_alu instid0(VALU_DEP_1)
	v_rcp_f32_e32 v14, v4
	v_cndmask_b32_e64 v4, 0, 1, s2
	s_waitcnt_depctr 0xfff
	v_mov_b32_e32 v49, v14
	s_cbranch_vccnz .LBB143_4
; %bb.3:
	global_load_u16 v5, v3, s[6:7] offset:64
	s_waitcnt vmcnt(0)
	v_cvt_f32_f16_e32 v5, v5
	s_delay_alu instid0(VALU_DEP_1)
	v_add_f32_e32 v49, v14, v5
.LBB143_4:
	global_load_u16 v5, v[1:2], off offset:128
	s_mov_b32 s2, 0xbfb8aa3b
	s_waitcnt vmcnt(0)
	v_cvt_f32_f16_e32 v6, v5
	s_delay_alu instid0(VALU_DEP_1) | instskip(NEXT) | instid1(VALU_DEP_1)
	v_mul_f32_e32 v6, 0xbfb8aa3b, v6
	v_cmp_gt_f32_e32 vcc_lo, 0xc2fc0000, v6
	v_cndmask_b32_e64 v7, 0, 0x42800000, vcc_lo
	v_cndmask_b32_e64 v6, 1.0, 0x1f800000, vcc_lo
	v_cmp_ne_u32_e32 vcc_lo, 1, v4
	s_delay_alu instid0(VALU_DEP_3) | instskip(SKIP_1) | instid1(VALU_DEP_1)
	v_fma_mix_f32 v5, v5, s2, v7 op_sel_hi:[1,0,0]
	s_and_b32 vcc_lo, exec_lo, vcc_lo
	v_exp_f32_e32 v5, v5
	s_waitcnt_depctr 0xfff
	v_fma_f32 v5, v5, v6, 1.0
	s_delay_alu instid0(VALU_DEP_1)
	v_rcp_f32_e32 v15, v5
	s_waitcnt_depctr 0xfff
	v_mov_b32_e32 v50, v15
	s_cbranch_vccnz .LBB143_6
; %bb.5:
	global_load_u16 v5, v3, s[6:7] offset:128
	s_waitcnt vmcnt(0)
	v_cvt_f32_f16_e32 v5, v5
	s_delay_alu instid0(VALU_DEP_1)
	v_add_f32_e32 v50, v15, v5
.LBB143_6:
	global_load_u16 v5, v[1:2], off offset:192
	s_waitcnt vmcnt(0)
	v_cvt_f32_f16_e32 v6, v5
	s_delay_alu instid0(VALU_DEP_1) | instskip(NEXT) | instid1(VALU_DEP_1)
	v_mul_f32_e32 v6, 0xbfb8aa3b, v6
	v_cmp_gt_f32_e32 vcc_lo, 0xc2fc0000, v6
	v_cndmask_b32_e64 v7, 0, 0x42800000, vcc_lo
	v_cndmask_b32_e64 v6, 1.0, 0x1f800000, vcc_lo
	v_cmp_ne_u32_e32 vcc_lo, 1, v4
	s_delay_alu instid0(VALU_DEP_3) | instskip(SKIP_1) | instid1(VALU_DEP_1)
	v_fma_mix_f32 v5, v5, s2, v7 op_sel_hi:[1,0,0]
	s_and_b32 vcc_lo, exec_lo, vcc_lo
	v_exp_f32_e32 v5, v5
	s_waitcnt_depctr 0xfff
	v_fma_f32 v5, v5, v6, 1.0
	s_delay_alu instid0(VALU_DEP_1)
	v_rcp_f32_e32 v16, v5
	s_waitcnt_depctr 0xfff
	v_mov_b32_e32 v51, v16
	s_cbranch_vccnz .LBB143_8
; %bb.7:
	global_load_u16 v5, v3, s[6:7] offset:192
	s_waitcnt vmcnt(0)
	v_cvt_f32_f16_e32 v5, v5
	s_delay_alu instid0(VALU_DEP_1)
	v_add_f32_e32 v51, v16, v5
.LBB143_8:
	global_load_u16 v5, v[1:2], off offset:256
	;; [unrolled: 27-line block ×9, first 2 shown]
	s_waitcnt vmcnt(0)
	v_cvt_f32_f16_e32 v2, v1
	s_delay_alu instid0(VALU_DEP_1) | instskip(NEXT) | instid1(VALU_DEP_1)
	v_mul_f32_e32 v2, 0xbfb8aa3b, v2
	v_cmp_gt_f32_e32 vcc_lo, 0xc2fc0000, v2
	v_cndmask_b32_e64 v5, 0, 0x42800000, vcc_lo
	v_cndmask_b32_e64 v2, 1.0, 0x1f800000, vcc_lo
	v_cmp_ne_u32_e32 vcc_lo, 1, v4
	s_delay_alu instid0(VALU_DEP_3) | instskip(NEXT) | instid1(VALU_DEP_1)
	v_fma_mix_f32 v1, v1, s2, v5 op_sel_hi:[1,0,0]
	v_exp_f32_e32 v1, v1
	s_waitcnt_depctr 0xfff
	v_fma_f32 v1, v1, v2, 1.0
	s_delay_alu instid0(VALU_DEP_1)
	v_rcp_f32_e32 v24, v1
	s_cbranch_vccnz .LBB143_24
; %bb.23:
	global_load_u16 v1, v3, s[6:7] offset:704
	s_waitcnt vmcnt(0)
	v_cvt_f32_f16_e32 v1, v1
	s_delay_alu instid0(VALU_DEP_1)
	v_add_f32_e32 v59, v24, v1
	s_branch .LBB143_25
.LBB143_24:
	s_waitcnt_depctr 0xfff
	v_mov_b32_e32 v59, v24
.LBB143_25:
	v_dual_mov_b32 v1, v48 :: v_dual_add_nc_u32 v26, 32, v0
	v_dual_mov_b32 v2, v49 :: v_dual_add_nc_u32 v27, 64, v0
	;; [unrolled: 1-line block ×11, first 2 shown]
	v_dual_mov_b32 v12, v59 :: v_dual_mov_b32 v13, v37
	v_mov_b32_e32 v25, v0
	s_mov_b32 s2, exec_lo
	v_cmpx_lt_f32_e32 v48, v49
	s_xor_b32 s2, exec_lo, s2
; %bb.26:
	v_dual_mov_b32 v1, v49 :: v_dual_mov_b32 v2, v48
	v_dual_mov_b32 v3, v50 :: v_dual_mov_b32 v4, v51
	;; [unrolled: 1-line block ×6, first 2 shown]
	v_mov_b32_e32 v49, v48
	v_dual_mov_b32 v13, v14 :: v_dual_mov_b32 v14, v37
	v_dual_mov_b32 v25, v26 :: v_dual_mov_b32 v26, v0
; %bb.27:
	s_or_b32 exec_lo, exec_lo, s2
	v_dual_mov_b32 v122, v24 :: v_dual_mov_b32 v119, v21
	v_dual_mov_b32 v86, v24 :: v_dual_mov_b32 v85, v23
	;; [unrolled: 1-line block ×37, first 2 shown]
	s_clause 0x8
	scratch_store_b128 off, v[13:16], off
	scratch_store_b128 off, v[17:20], off offset:16
	scratch_store_b128 off, v[21:24], off offset:32
	;; [unrolled: 1-line block ×8, first 2 shown]
	v_dual_mov_b32 v72, v34 :: v_dual_mov_b32 v69, v31
	v_dual_mov_b32 v70, v32 :: v_dual_mov_b32 v67, v29
	;; [unrolled: 1-line block ×29, first 2 shown]
	v_mov_b32_e32 v160, v26
	s_clause 0x2
	scratch_store_b128 off, v[25:28], off offset:144
	scratch_store_b128 off, v[29:32], off offset:160
	scratch_store_b128 off, v[33:36], off offset:176
	s_mov_b32 s2, exec_lo
	v_dual_mov_b32 v182, v36 :: v_dual_mov_b32 v179, v33
	v_dual_mov_b32 v181, v35 :: v_dual_mov_b32 v180, v34
	;; [unrolled: 1-line block ×6, first 2 shown]
	v_cmpx_lt_f32_e32 v49, v3
	s_cbranch_execz .LBB143_29
; %bb.28:
	v_dual_mov_b32 v182, v36 :: v_dual_mov_b32 v179, v33
	v_dual_mov_b32 v174, v28 :: v_dual_mov_b32 v171, v25
	;; [unrolled: 1-line block ×3, first 2 shown]
	v_mov_b32_e32 v172, v26
	v_dual_mov_b32 v62, v49 :: v_dual_mov_b32 v181, v35
	v_dual_mov_b32 v180, v34 :: v_dual_mov_b32 v177, v31
	;; [unrolled: 1-line block ×11, first 2 shown]
	v_mov_b32_e32 v125, v14
	v_dual_mov_b32 v162, v174 :: v_dual_mov_b32 v163, v175
	v_dual_mov_b32 v164, v176 :: v_dual_mov_b32 v165, v177
	;; [unrolled: 1-line block ×5, first 2 shown]
	v_mov_b32_e32 v162, v28
	v_dual_mov_b32 v170, v182 :: v_dual_mov_b32 v37, v159
	s_clause 0x2
	scratch_store_b128 off, v[123:126], off offset:96
	scratch_store_b128 off, v[127:130], off offset:112
	;; [unrolled: 1-line block ×3, first 2 shown]
	v_dual_mov_b32 v42, v164 :: v_dual_mov_b32 v47, v169
	v_dual_mov_b32 v126, v16 :: v_dual_mov_b32 v45, v167
	;; [unrolled: 1-line block ×5, first 2 shown]
	v_mov_b32_e32 v38, v160
	v_mov_b32_e32 v40, v162
	s_clause 0x2
	scratch_store_b128 off, v[37:40], off offset:144
	scratch_store_b128 off, v[41:44], off offset:160
	;; [unrolled: 1-line block ×3, first 2 shown]
	v_dual_mov_b32 v2, v3 :: v_dual_mov_b32 v3, v49
	v_mov_b32_e32 v147, v159
	v_mov_b32_e32 v127, v17
	;; [unrolled: 1-line block ×3, first 2 shown]
	v_dual_mov_b32 v151, v163 :: v_dual_mov_b32 v148, v160
	v_dual_mov_b32 v153, v165 :: v_dual_mov_b32 v152, v164
	v_dual_mov_b32 v157, v169 :: v_dual_mov_b32 v154, v166
	v_mov_b32_e32 v158, v170
	v_dual_mov_b32 v150, v162 :: v_dual_mov_b32 v155, v167
	v_mov_b32_e32 v156, v168
	v_mov_b32_e32 v152, v30
	;; [unrolled: 1-line block ×3, first 2 shown]
	v_dual_mov_b32 v27, v26 :: v_dual_mov_b32 v42, v128
	v_mov_b32_e32 v37, v123
	v_dual_mov_b32 v43, v129 :: v_dual_mov_b32 v44, v130
	v_mov_b32_e32 v39, v125
	v_dual_mov_b32 v45, v131 :: v_dual_mov_b32 v46, v132
	v_dual_mov_b32 v47, v133 :: v_dual_mov_b32 v48, v134
	v_mov_b32_e32 v38, v124
	v_mov_b32_e32 v40, v126
	s_clause 0x2
	scratch_store_b128 off, v[37:40], off offset:48
	scratch_store_b128 off, v[41:44], off offset:64
	;; [unrolled: 1-line block ×3, first 2 shown]
	v_mov_b32_e32 v37, v123
	v_mov_b32_e32 v39, v125
	v_dual_mov_b32 v41, v127 :: v_dual_mov_b32 v38, v124
	v_mov_b32_e32 v99, v147
	v_mov_b32_e32 v105, v153
	v_dual_mov_b32 v105, v31 :: v_dual_mov_b32 v106, v154
	v_dual_mov_b32 v40, v126 :: v_dual_mov_b32 v101, v149
	;; [unrolled: 1-line block ×3, first 2 shown]
	v_mov_b32_e32 v110, v158
	v_mov_b32_e32 v50, v123
	v_dual_mov_b32 v100, v148 :: v_dual_mov_b32 v107, v155
	v_dual_mov_b32 v102, v150 :: v_dual_mov_b32 v109, v157
	;; [unrolled: 1-line block ×7, first 2 shown]
	v_mov_b32_e32 v58, v131
	v_mov_b32_e32 v56, v19
	s_clause 0x2
	scratch_store_b128 off, v[37:40], off
	scratch_store_b128 off, v[41:44], off offset:16
	scratch_store_b128 off, v[45:48], off offset:32
	v_dual_mov_b32 v60, v133 :: v_dual_mov_b32 v55, v128
	v_mov_b32_e32 v37, v99
	v_mov_b32_e32 v41, v103
	;; [unrolled: 1-line block ×3, first 2 shown]
	v_dual_mov_b32 v43, v105 :: v_dual_mov_b32 v48, v110
	v_dual_mov_b32 v38, v100 :: v_dual_mov_b32 v45, v107
	v_mov_b32_e32 v44, v106
	v_dual_mov_b32 v122, v61 :: v_dual_mov_b32 v113, v52
	v_dual_mov_b32 v40, v102 :: v_dual_mov_b32 v47, v109
	;; [unrolled: 1-line block ×7, first 2 shown]
	v_mov_b32_e32 v114, v53
	v_mov_b32_e32 v116, v55
	;; [unrolled: 1-line block ×4, first 2 shown]
	v_dual_mov_b32 v98, v48 :: v_dual_mov_b32 v95, v45
	v_mov_b32_e32 v95, v33
	v_mov_b32_e32 v93, v43
	;; [unrolled: 1-line block ×4, first 2 shown]
	v_dual_mov_b32 v87, v37 :: v_dual_mov_b32 v146, v122
	v_dual_mov_b32 v137, v113 :: v_dual_mov_b32 v96, v46
	;; [unrolled: 1-line block ×3, first 2 shown]
	v_mov_b32_e32 v135, v111
	v_dual_mov_b32 v97, v47 :: v_dual_mov_b32 v94, v44
	v_dual_mov_b32 v92, v42 :: v_dual_mov_b32 v143, v119
	;; [unrolled: 1-line block ×4, first 2 shown]
	v_mov_b32_e32 v138, v114
	v_dual_mov_b32 v142, v118 :: v_dual_mov_b32 v143, v21
	v_dual_mov_b32 v140, v116 :: v_dual_mov_b32 v63, v87
	;; [unrolled: 1-line block ×8, first 2 shown]
	v_mov_b32_e32 v86, v146
	v_dual_mov_b32 v64, v88 :: v_dual_mov_b32 v69, v93
	v_dual_mov_b32 v66, v90 :: v_dual_mov_b32 v71, v95
	;; [unrolled: 1-line block ×7, first 2 shown]
	v_mov_b32_e32 v82, v142
	v_mov_b32_e32 v84, v22
	;; [unrolled: 1-line block ×3, first 2 shown]
.LBB143_29:
	s_or_b32 exec_lo, exec_lo, s2
	v_mov_b32_e32 v13, v4
	s_mov_b32 s2, exec_lo
	v_cmpx_lt_f32_e32 v62, v4
	s_cbranch_execz .LBB143_31
; %bb.30:
	s_clause 0x2
	scratch_load_b128 v[37:40], off, off offset:96
	scratch_load_b128 v[41:44], off, off offset:112
	;; [unrolled: 1-line block ×3, first 2 shown]
	v_dual_mov_b32 v173, v28 :: v_dual_mov_b32 v28, v27
	v_mov_b32_e32 v3, v4
	s_waitcnt vmcnt(0)
	v_dual_mov_b32 v13, v62 :: v_dual_mov_b32 v134, v48
	v_dual_mov_b32 v133, v47 :: v_dual_mov_b32 v124, v38
	;; [unrolled: 1-line block ×3, first 2 shown]
	v_mov_b32_e32 v125, v16
	v_dual_mov_b32 v159, v171 :: v_dual_mov_b32 v160, v172
	s_delay_alu instid0(VALU_DEP_3) | instskip(NEXT) | instid1(VALU_DEP_3)
	v_dual_mov_b32 v162, v174 :: v_dual_mov_b32 v37, v123
	v_dual_mov_b32 v38, v124 :: v_dual_mov_b32 v39, v125
	;; [unrolled: 1-line block ×5, first 2 shown]
	v_mov_b32_e32 v126, v15
	s_clause 0x2
	scratch_store_b128 off, v[37:40], off offset:96
	scratch_store_b128 off, v[41:44], off offset:112
	scratch_store_b128 off, v[45:48], off offset:128
	v_dual_mov_b32 v161, v173 :: v_dual_mov_b32 v164, v176
	v_dual_mov_b32 v167, v179 :: v_dual_mov_b32 v170, v182
	;; [unrolled: 1-line block ×5, first 2 shown]
	s_delay_alu instid0(VALU_DEP_2) | instskip(SKIP_2) | instid1(VALU_DEP_4)
	v_dual_mov_b32 v42, v164 :: v_dual_mov_b32 v43, v165
	v_dual_mov_b32 v48, v170 :: v_dual_mov_b32 v37, v159
	;; [unrolled: 1-line block ×6, first 2 shown]
	s_clause 0x2
	scratch_store_b128 off, v[37:40], off offset:144
	scratch_store_b128 off, v[41:44], off offset:160
	;; [unrolled: 1-line block ×3, first 2 shown]
	v_dual_mov_b32 v42, v128 :: v_dual_mov_b32 v43, v129
	v_dual_mov_b32 v48, v134 :: v_dual_mov_b32 v37, v123
	;; [unrolled: 1-line block ×6, first 2 shown]
	s_clause 0x2
	scratch_store_b128 off, v[37:40], off offset:48
	scratch_store_b128 off, v[41:44], off offset:64
	;; [unrolled: 1-line block ×3, first 2 shown]
	v_dual_mov_b32 v147, v159 :: v_dual_mov_b32 v148, v160
	v_dual_mov_b32 v151, v163 :: v_dual_mov_b32 v152, v164
	v_dual_mov_b32 v153, v165 :: v_dual_mov_b32 v154, v166
	v_dual_mov_b32 v157, v169 :: v_dual_mov_b32 v158, v170
	v_dual_mov_b32 v149, v161 :: v_dual_mov_b32 v150, v162
	v_dual_mov_b32 v152, v30 :: v_dual_mov_b32 v37, v123
	v_dual_mov_b32 v155, v167 :: v_dual_mov_b32 v156, v168
	v_dual_mov_b32 v38, v124 :: v_dual_mov_b32 v39, v125
	v_dual_mov_b32 v40, v126 :: v_dual_mov_b32 v41, v127
	v_dual_mov_b32 v128, v18 :: v_dual_mov_b32 v99, v147
	s_delay_alu instid0(VALU_DEP_4)
	v_dual_mov_b32 v106, v154 :: v_dual_mov_b32 v107, v155
	v_mov_b32_e32 v110, v158
	v_dual_mov_b32 v100, v148 :: v_dual_mov_b32 v101, v149
	v_dual_mov_b32 v104, v152 :: v_dual_mov_b32 v105, v153
	;; [unrolled: 1-line block ×5, first 2 shown]
	v_mov_b32_e32 v61, v134
	s_clause 0x2
	scratch_store_b128 off, v[37:40], off
	scratch_store_b128 off, v[41:44], off offset:16
	scratch_store_b128 off, v[45:48], off offset:32
	v_dual_mov_b32 v54, v127 :: v_dual_mov_b32 v55, v128
	v_dual_mov_b32 v56, v129 :: v_dual_mov_b32 v57, v130
	;; [unrolled: 1-line block ×8, first 2 shown]
	v_mov_b32_e32 v48, v110
	v_mov_b32_e32 v44, v32
	v_dual_mov_b32 v42, v104 :: v_dual_mov_b32 v43, v105
	v_dual_mov_b32 v46, v108 :: v_dual_mov_b32 v47, v109
	;; [unrolled: 1-line block ×9, first 2 shown]
	v_mov_b32_e32 v114, v53
	v_mov_b32_e32 v112, v51
	v_dual_mov_b32 v98, v48 :: v_dual_mov_b32 v91, v41
	v_dual_mov_b32 v94, v44 :: v_dual_mov_b32 v87, v37
	;; [unrolled: 1-line block ×3, first 2 shown]
	v_mov_b32_e32 v89, v39
	v_mov_b32_e32 v95, v45
	v_dual_mov_b32 v93, v43 :: v_dual_mov_b32 v146, v122
	v_dual_mov_b32 v143, v119 :: v_dual_mov_b32 v140, v116
	;; [unrolled: 1-line block ×15, first 2 shown]
	v_mov_b32_e32 v86, v146
	v_dual_mov_b32 v64, v88 :: v_dual_mov_b32 v65, v89
	v_dual_mov_b32 v66, v90 :: v_dual_mov_b32 v67, v91
	v_dual_mov_b32 v68, v92 :: v_dual_mov_b32 v69, v93
	v_dual_mov_b32 v70, v94 :: v_dual_mov_b32 v71, v95
	v_dual_mov_b32 v74, v36 :: v_dual_mov_b32 v77, v137
	v_dual_mov_b32 v76, v136 :: v_dual_mov_b32 v79, v139
	v_dual_mov_b32 v78, v138 :: v_dual_mov_b32 v81, v141
	v_dual_mov_b32 v80, v140 :: v_dual_mov_b32 v83, v143
	v_mov_b32_e32 v84, v22
	v_mov_b32_e32 v86, v24
.LBB143_31:
	s_or_b32 exec_lo, exec_lo, s2
	v_mov_b32_e32 v14, v5
	s_mov_b32 s2, exec_lo
	v_cmpx_lt_f32_e32 v13, v5
	s_cbranch_execz .LBB143_33
; %bb.32:
	s_clause 0x2
	scratch_load_b128 v[37:40], off, off offset:96
	scratch_load_b128 v[41:44], off, off offset:112
	;; [unrolled: 1-line block ×3, first 2 shown]
	v_mov_b32_e32 v174, v29
	v_mov_b32_e32 v14, v13
	;; [unrolled: 1-line block ×3, first 2 shown]
	v_dual_mov_b32 v17, v16 :: v_dual_mov_b32 v4, v5
	v_mov_b32_e32 v29, v28
	s_waitcnt vmcnt(0)
	v_dual_mov_b32 v73, v48 :: v_dual_mov_b32 v64, v39
	v_dual_mov_b32 v70, v45 :: v_dual_mov_b32 v69, v44
	;; [unrolled: 1-line block ×18, first 2 shown]
	v_mov_b32_e32 v127, v16
	v_dual_mov_b32 v147, v159 :: v_dual_mov_b32 v148, v160
	v_dual_mov_b32 v149, v161 :: v_dual_mov_b32 v152, v164
	;; [unrolled: 1-line block ×19, first 2 shown]
	v_mov_b32_e32 v61, v134
	s_clause 0x2
	scratch_store_b128 off, v[37:40], off
	scratch_store_b128 off, v[41:44], off offset:16
	scratch_store_b128 off, v[45:48], off offset:32
	v_dual_mov_b32 v53, v126 :: v_dual_mov_b32 v54, v127
	v_dual_mov_b32 v101, v149 :: v_dual_mov_b32 v102, v150
	;; [unrolled: 1-line block ×10, first 2 shown]
	v_mov_b32_e32 v46, v108
	v_dual_mov_b32 v122, v61 :: v_dual_mov_b32 v121, v60
	v_dual_mov_b32 v43, v105 :: v_dual_mov_b32 v44, v106
	;; [unrolled: 1-line block ×8, first 2 shown]
	v_mov_b32_e32 v112, v51
	v_mov_b32_e32 v118, v20
	v_dual_mov_b32 v98, v48 :: v_dual_mov_b32 v93, v43
	v_dual_mov_b32 v92, v42 :: v_dual_mov_b32 v87, v37
	v_mov_b32_e32 v97, v47
	v_dual_mov_b32 v95, v45 :: v_dual_mov_b32 v146, v122
	v_dual_mov_b32 v143, v119 :: v_dual_mov_b32 v138, v114
	;; [unrolled: 1-line block ×7, first 2 shown]
	v_mov_b32_e32 v89, v39
	s_clause 0x5
	scratch_store_b128 off, v[62:65], off offset:48
	scratch_store_b128 off, v[66:69], off offset:64
	;; [unrolled: 1-line block ×6, first 2 shown]
	v_dual_mov_b32 v142, v118 :: v_dual_mov_b32 v139, v115
	v_dual_mov_b32 v140, v116 :: v_dual_mov_b32 v137, v113
	;; [unrolled: 1-line block ×17, first 2 shown]
	v_mov_b32_e32 v84, v22
	v_mov_b32_e32 v86, v24
.LBB143_33:
	s_or_b32 exec_lo, exec_lo, s2
	v_mov_b32_e32 v13, v6
	s_mov_b32 s2, exec_lo
	v_cmpx_lt_f32_e32 v14, v6
	s_cbranch_execz .LBB143_35
; %bb.34:
	s_clause 0x2
	scratch_load_b128 v[37:40], off, off offset:144
	scratch_load_b128 v[41:44], off, off offset:160
	scratch_load_b128 v[45:48], off, off offset:176
	v_mov_b32_e32 v5, v6
	s_waitcnt vmcnt(0)
	v_dual_mov_b32 v13, v14 :: v_dual_mov_b32 v170, v48
	v_dual_mov_b32 v169, v47 :: v_dual_mov_b32 v162, v40
	v_dual_mov_b32 v159, v37 :: v_dual_mov_b32 v168, v46
	v_dual_mov_b32 v167, v45 :: v_dual_mov_b32 v166, v44
	v_dual_mov_b32 v165, v43 :: v_dual_mov_b32 v164, v42
	v_dual_mov_b32 v161, v39 :: v_dual_mov_b32 v160, v38
	s_clause 0x2
	scratch_load_b128 v[37:40], off, off offset:48
	scratch_load_b128 v[41:44], off, off offset:64
	;; [unrolled: 1-line block ×3, first 2 shown]
	v_dual_mov_b32 v163, v30 :: v_dual_mov_b32 v30, v29
	s_waitcnt vmcnt(0)
	v_dual_mov_b32 v73, v48 :: v_dual_mov_b32 v72, v47
	v_dual_mov_b32 v65, v40 :: v_dual_mov_b32 v62, v37
	v_mov_b32_e32 v63, v38
	v_dual_mov_b32 v67, v42 :: v_dual_mov_b32 v64, v39
	v_dual_mov_b32 v71, v46 :: v_dual_mov_b32 v70, v45
	;; [unrolled: 1-line block ×4, first 2 shown]
	v_mov_b32_e32 v148, v160
	v_dual_mov_b32 v134, v73 :: v_dual_mov_b32 v133, v72
	v_dual_mov_b32 v124, v63 :: v_dual_mov_b32 v123, v62
	;; [unrolled: 1-line block ×11, first 2 shown]
	v_mov_b32_e32 v128, v17
	v_mov_b32_e32 v152, v29
	v_dual_mov_b32 v50, v123 :: v_dual_mov_b32 v51, v124
	v_mov_b32_e32 v99, v147
	s_delay_alu instid0(VALU_DEP_3)
	v_dual_mov_b32 v53, v126 :: v_dual_mov_b32 v104, v152
	v_dual_mov_b32 v105, v153 :: v_dual_mov_b32 v100, v148
	;; [unrolled: 1-line block ×7, first 2 shown]
	v_mov_b32_e32 v57, v130
	v_dual_mov_b32 v102, v150 :: v_dual_mov_b32 v103, v151
	v_dual_mov_b32 v108, v156 :: v_dual_mov_b32 v109, v157
	;; [unrolled: 1-line block ×3, first 2 shown]
	v_mov_b32_e32 v58, v131
	v_mov_b32_e32 v56, v19
	v_dual_mov_b32 v37, v99 :: v_dual_mov_b32 v38, v100
	v_mov_b32_e32 v39, v101
	v_dual_mov_b32 v43, v105 :: v_dual_mov_b32 v48, v110
	s_delay_alu instid0(VALU_DEP_4)
	v_dual_mov_b32 v122, v61 :: v_dual_mov_b32 v117, v56
	v_dual_mov_b32 v42, v104 :: v_dual_mov_b32 v45, v107
	;; [unrolled: 1-line block ×9, first 2 shown]
	v_mov_b32_e32 v118, v20
	v_mov_b32_e32 v44, v32
	;; [unrolled: 1-line block ×3, first 2 shown]
	v_dual_mov_b32 v98, v48 :: v_dual_mov_b32 v95, v45
	v_dual_mov_b32 v146, v122 :: v_dual_mov_b32 v145, v121
	s_delay_alu instid0(VALU_DEP_4)
	v_dual_mov_b32 v94, v44 :: v_dual_mov_b32 v87, v37
	v_dual_mov_b32 v97, v47 :: v_dual_mov_b32 v144, v120
	;; [unrolled: 1-line block ×5, first 2 shown]
	v_mov_b32_e32 v93, v43
	v_dual_mov_b32 v91, v41 :: v_dual_mov_b32 v90, v40
	v_dual_mov_b32 v141, v117 :: v_dual_mov_b32 v88, v38
	;; [unrolled: 1-line block ×6, first 2 shown]
	s_clause 0x2
	scratch_store_b128 off, v[62:65], off
	scratch_store_b128 off, v[66:69], off offset:16
	scratch_store_b128 off, v[70:73], off offset:32
	v_dual_mov_b32 v63, v87 :: v_dual_mov_b32 v74, v98
	v_dual_mov_b32 v75, v135 :: v_dual_mov_b32 v72, v96
	;; [unrolled: 1-line block ×14, first 2 shown]
	v_mov_b32_e32 v84, v22
	v_mov_b32_e32 v86, v24
	;; [unrolled: 1-line block ×3, first 2 shown]
.LBB143_35:
	s_or_b32 exec_lo, exec_lo, s2
	v_mov_b32_e32 v14, v7
	s_mov_b32 s2, exec_lo
	v_cmpx_lt_f32_e32 v13, v7
	s_cbranch_execz .LBB143_37
; %bb.36:
	s_clause 0x2
	scratch_load_b128 v[37:40], off, off
	scratch_load_b128 v[41:44], off, off offset:16
	scratch_load_b128 v[45:48], off, off offset:32
	v_mov_b32_e32 v164, v31
	v_dual_mov_b32 v14, v13 :: v_dual_mov_b32 v31, v30
	s_waitcnt vmcnt(0)
	v_dual_mov_b32 v134, v48 :: v_dual_mov_b32 v133, v47
	v_dual_mov_b32 v130, v44 :: v_dual_mov_b32 v127, v41
	;; [unrolled: 1-line block ×5, first 2 shown]
	v_mov_b32_e32 v125, v39
	v_dual_mov_b32 v99, v159 :: v_dual_mov_b32 v100, v160
	v_dual_mov_b32 v128, v19 :: v_dual_mov_b32 v101, v161
	v_mov_b32_e32 v110, v170
	v_dual_mov_b32 v50, v123 :: v_dual_mov_b32 v53, v126
	v_dual_mov_b32 v106, v166 :: v_dual_mov_b32 v107, v167
	;; [unrolled: 1-line block ×19, first 2 shown]
	v_mov_b32_e32 v47, v109
	v_dual_mov_b32 v114, v53 :: v_dual_mov_b32 v111, v50
	v_mov_b32_e32 v118, v20
	v_dual_mov_b32 v120, v59 :: v_dual_mov_b32 v117, v56
	v_dual_mov_b32 v116, v55 :: v_dual_mov_b32 v113, v52
	v_mov_b32_e32 v44, v32
	v_mov_b32_e32 v112, v51
	v_dual_mov_b32 v98, v48 :: v_dual_mov_b32 v95, v45
	v_dual_mov_b32 v146, v122 :: v_dual_mov_b32 v145, v121
	;; [unrolled: 1-line block ×8, first 2 shown]
	v_mov_b32_e32 v89, v39
	v_dual_mov_b32 v93, v43 :: v_dual_mov_b32 v88, v38
	v_dual_mov_b32 v141, v117 :: v_dual_mov_b32 v140, v116
	v_mov_b32_e32 v95, v33
	v_dual_mov_b32 v139, v115 :: v_dual_mov_b32 v138, v114
	v_dual_mov_b32 v143, v21 :: v_dual_mov_b32 v136, v112
	;; [unrolled: 1-line block ×24, first 2 shown]
	v_mov_b32_e32 v158, v170
.LBB143_37:
	s_or_b32 exec_lo, exec_lo, s2
	v_mov_b32_e32 v13, v8
	s_mov_b32 s2, exec_lo
	v_cmpx_lt_f32_e32 v14, v8
	s_cbranch_execz .LBB143_39
; %bb.38:
	v_mov_b32_e32 v129, v20
	v_mov_b32_e32 v153, v32
	v_dual_mov_b32 v111, v123 :: v_dual_mov_b32 v114, v126
	v_dual_mov_b32 v37, v147 :: v_dual_mov_b32 v38, v148
	;; [unrolled: 1-line block ×10, first 2 shown]
	v_mov_b32_e32 v120, v132
	v_dual_mov_b32 v116, v128 :: v_dual_mov_b32 v121, v133
	v_mov_b32_e32 v44, v31
	v_dual_mov_b32 v119, v131 :: v_dual_mov_b32 v98, v48
	v_dual_mov_b32 v118, v19 :: v_dual_mov_b32 v95, v45
	;; [unrolled: 1-line block ×13, first 2 shown]
	v_mov_b32_e32 v95, v33
	v_dual_mov_b32 v7, v8 :: v_dual_mov_b32 v8, v14
	v_mov_b32_e32 v143, v21
	v_dual_mov_b32 v63, v87 :: v_dual_mov_b32 v68, v92
	v_dual_mov_b32 v64, v88 :: v_dual_mov_b32 v75, v135
	v_dual_mov_b32 v80, v140 :: v_dual_mov_b32 v67, v91
	v_dual_mov_b32 v72, v96 :: v_dual_mov_b32 v69, v93
	v_dual_mov_b32 v74, v98 :: v_dual_mov_b32 v73, v97
	v_dual_mov_b32 v78, v138 :: v_dual_mov_b32 v79, v139
	v_dual_mov_b32 v84, v144 :: v_dual_mov_b32 v81, v141
	v_dual_mov_b32 v86, v146 :: v_dual_mov_b32 v85, v145
	v_mov_b32_e32 v74, v36
	v_dual_mov_b32 v50, v123 :: v_dual_mov_b32 v51, v124
	v_dual_mov_b32 v99, v147 :: v_dual_mov_b32 v100, v148
	v_dual_mov_b32 v65, v89 :: v_dual_mov_b32 v70, v94
	v_dual_mov_b32 v66, v90 :: v_dual_mov_b32 v71, v95
	v_dual_mov_b32 v76, v136 :: v_dual_mov_b32 v77, v137
	v_dual_mov_b32 v82, v142 :: v_dual_mov_b32 v83, v143
	v_dual_mov_b32 v72, v34 :: v_dual_mov_b32 v73, v35
	;; [unrolled: 9-line block ×3, first 2 shown]
	v_dual_mov_b32 v105, v153 :: v_dual_mov_b32 v106, v154
	v_dual_mov_b32 v107, v155 :: v_dual_mov_b32 v108, v156
	;; [unrolled: 1-line block ×4, first 2 shown]
	v_mov_b32_e32 v32, v31
.LBB143_39:
	s_or_b32 exec_lo, exec_lo, s2
	v_mov_b32_e32 v14, v9
	s_mov_b32 s2, exec_lo
	v_cmpx_lt_f32_e32 v13, v9
	s_cbranch_execz .LBB143_41
; %bb.40:
	v_mov_b32_e32 v57, v21
	v_mov_b32_e32 v106, v33
	v_dual_mov_b32 v146, v61 :: v_dual_mov_b32 v145, v60
	v_dual_mov_b32 v87, v99 :: v_dual_mov_b32 v90, v102
	v_mov_b32_e32 v88, v100
	v_dual_mov_b32 v136, v51 :: v_dual_mov_b32 v135, v50
	v_dual_mov_b32 v91, v103 :: v_dual_mov_b32 v94, v106
	;; [unrolled: 1-line block ×7, first 2 shown]
	v_mov_b32_e32 v139, v54
	v_dual_mov_b32 v89, v101 :: v_dual_mov_b32 v92, v104
	v_dual_mov_b32 v138, v53 :: v_dual_mov_b32 v137, v52
	;; [unrolled: 1-line block ×3, first 2 shown]
	v_mov_b32_e32 v143, v20
	s_delay_alu instid0(VALU_DEP_4)
	v_dual_mov_b32 v63, v87 :: v_dual_mov_b32 v68, v92
	v_dual_mov_b32 v66, v90 :: v_dual_mov_b32 v75, v135
	;; [unrolled: 1-line block ×8, first 2 shown]
	v_mov_b32_e32 v74, v36
	v_dual_mov_b32 v122, v61 :: v_dual_mov_b32 v121, v60
	v_dual_mov_b32 v37, v99 :: v_dual_mov_b32 v38, v100
	;; [unrolled: 1-line block ×20, first 2 shown]
	v_mov_b32_e32 v33, v32
.LBB143_41:
	s_or_b32 exec_lo, exec_lo, s2
	v_mov_b32_e32 v15, v10
	s_mov_b32 s2, exec_lo
	v_cmpx_lt_f32_e32 v14, v10
	s_cbranch_execz .LBB143_43
; %bb.42:
	v_mov_b32_e32 v45, v34
	v_dual_mov_b32 v9, v10 :: v_dual_mov_b32 v74, v48
	v_mov_b32_e32 v72, v46
	v_mov_b32_e32 v72, v33
	s_delay_alu instid0(VALU_DEP_4) | instskip(SKIP_4) | instid1(VALU_DEP_4)
	v_mov_b32_e32 v71, v45
	v_dual_mov_b32 v119, v22 :: v_dual_mov_b32 v70, v44
	v_dual_mov_b32 v75, v111 :: v_dual_mov_b32 v78, v114
	;; [unrolled: 1-line block ×27, first 2 shown]
	v_mov_b32_e32 v34, v33
.LBB143_43:
	s_or_b32 exec_lo, exec_lo, s2
	v_mov_b32_e32 v13, v11
	s_mov_b32 s2, exec_lo
	v_cmpx_lt_f32_e32 v15, v11
	s_cbranch_execz .LBB143_45
; %bb.44:
	v_dual_mov_b32 v144, v23 :: v_dual_mov_b32 v145, v22
	v_dual_mov_b32 v96, v35 :: v_dual_mov_b32 v97, v34
	v_mov_b32_e32 v146, v24
	v_mov_b32_e32 v10, v11
	v_dual_mov_b32 v11, v15 :: v_dual_mov_b32 v98, v36
	v_dual_mov_b32 v75, v135 :: v_dual_mov_b32 v84, v144
	;; [unrolled: 1-line block ×3, first 2 shown]
	v_mov_b32_e32 v79, v139
	v_dual_mov_b32 v77, v137 :: v_dual_mov_b32 v78, v138
	v_dual_mov_b32 v81, v141 :: v_dual_mov_b32 v80, v140
	;; [unrolled: 1-line block ×10, first 2 shown]
.LBB143_45:
	s_or_b32 exec_lo, exec_lo, s2
	s_delay_alu instid0(VALU_DEP_1)
	v_cmp_lt_f32_e32 vcc_lo, v13, v12
	v_cmp_lt_f32_e64 s2, v1, v2
	v_dual_mov_b32 v40, v76 :: v_dual_mov_b32 v41, v77
	v_dual_mov_b32 v43, v79 :: v_dual_mov_b32 v44, v80
	v_dual_cndmask_b32 v23, v12, v13 :: v_dual_mov_b32 v42, v78
	v_dual_cndmask_b32 v11, v11, v12 :: v_dual_cndmask_b32 v62, v74, v73
	s_delay_alu instid0(VALU_DEP_2) | instskip(SKIP_3) | instid1(VALU_DEP_4)
	v_dual_cndmask_b32 v49, v85, v86 :: v_dual_mov_b32 v12, v23
	v_dual_cndmask_b32 v61, v73, v74 :: v_dual_cndmask_b32 v50, v86, v85
	v_mov_b32_e32 v39, v75
	v_dual_mov_b32 v45, v81 :: v_dual_mov_b32 v48, v84
	v_dual_mov_b32 v38, v12 :: v_dual_mov_b32 v37, v11
	;; [unrolled: 1-line block ×13, first 2 shown]
	s_and_saveexec_b32 s3, s2
	s_delay_alu instid0(SALU_CYCLE_1)
	s_xor_b32 s2, exec_lo, s3
	s_cbranch_execz .LBB143_47
; %bb.46:
	v_dual_mov_b32 v12, v2 :: v_dual_mov_b32 v13, v1
	v_dual_mov_b32 v14, v3 :: v_dual_mov_b32 v15, v4
	;; [unrolled: 1-line block ×6, first 2 shown]
	s_delay_alu instid0(VALU_DEP_2) | instskip(NEXT) | instid1(VALU_DEP_2)
	v_dual_mov_b32 v38, v23 :: v_dual_mov_b32 v35, v20
	v_dual_mov_b32 v36, v21 :: v_dual_mov_b32 v37, v22
	;; [unrolled: 1-line block ×15, first 2 shown]
	v_mov_b32_e32 v58, v70
	v_mov_b32_e32 v60, v72
.LBB143_47:
	s_or_b32 exec_lo, exec_lo, s2
	v_dual_mov_b32 v1, v29 :: v_dual_mov_b32 v122, v50
	v_dual_mov_b32 v15, v39 :: v_dual_mov_b32 v16, v40
	v_dual_mov_b32 v110, v50 :: v_dual_mov_b32 v109, v49
	v_dual_mov_b32 v86, v50 :: v_dual_mov_b32 v85, v49
	v_dual_mov_b32 v111, v39 :: v_dual_mov_b32 v146, v50
	v_dual_mov_b32 v17, v41 :: v_dual_mov_b32 v18, v42
	v_dual_mov_b32 v19, v43 :: v_dual_mov_b32 v20, v44
	v_dual_mov_b32 v21, v45 :: v_dual_mov_b32 v22, v46
	v_dual_mov_b32 v23, v47 :: v_dual_mov_b32 v24, v48
	v_dual_mov_b32 v25, v49 :: v_dual_mov_b32 v26, v50
	v_dual_mov_b32 v108, v48 :: v_dual_mov_b32 v107, v47
	v_dual_mov_b32 v106, v46 :: v_dual_mov_b32 v105, v45
	v_dual_mov_b32 v104, v44 :: v_dual_mov_b32 v103, v43
	v_dual_mov_b32 v102, v42 :: v_dual_mov_b32 v101, v41
	v_dual_mov_b32 v100, v40 :: v_dual_mov_b32 v99, v39
	v_dual_mov_b32 v84, v48 :: v_dual_mov_b32 v83, v47
	v_dual_mov_b32 v82, v46 :: v_dual_mov_b32 v81, v45
	v_dual_mov_b32 v80, v44 :: v_dual_mov_b32 v79, v43
	v_dual_mov_b32 v78, v42 :: v_dual_mov_b32 v77, v41
	v_dual_mov_b32 v76, v40 :: v_dual_mov_b32 v75, v39
	v_dual_mov_b32 v121, v49 :: v_dual_mov_b32 v120, v48
	v_dual_mov_b32 v119, v47 :: v_dual_mov_b32 v118, v46
	v_dual_mov_b32 v117, v45 :: v_dual_mov_b32 v116, v44
	v_dual_mov_b32 v115, v43 :: v_dual_mov_b32 v114, v42
	v_dual_mov_b32 v113, v41 :: v_dual_mov_b32 v112, v40
	v_dual_mov_b32 v145, v49 :: v_dual_mov_b32 v144, v48
	v_dual_mov_b32 v143, v47 :: v_dual_mov_b32 v142, v46
	v_dual_mov_b32 v141, v45 :: v_dual_mov_b32 v140, v44
	v_dual_mov_b32 v139, v43 :: v_dual_mov_b32 v138, v42
	v_dual_mov_b32 v137, v41 :: v_dual_mov_b32 v136, v40
	v_mov_b32_e32 v135, v39
	s_clause 0x2
	scratch_store_b128 off, v[39:42], off offset:48
	scratch_store_b128 off, v[43:46], off offset:64
	;; [unrolled: 1-line block ×3, first 2 shown]
	v_dual_mov_b32 v3, v51 :: v_dual_mov_b32 v6, v54
	v_dual_mov_b32 v13, v61 :: v_dual_mov_b32 v74, v62
	;; [unrolled: 1-line block ×34, first 2 shown]
	v_mov_b32_e32 v159, v51
	s_mov_b32 s2, exec_lo
	v_dual_mov_b32 v73, v61 :: v_dual_mov_b32 v72, v60
	v_mov_b32_e32 v4, v52
	s_clause 0x2
	scratch_store_b128 off, v[51:54], off
	scratch_store_b128 off, v[55:58], off offset:16
	scratch_store_b128 off, v[59:62], off offset:32
	v_dual_mov_b32 v182, v50 :: v_dual_mov_b32 v181, v49
	v_dual_mov_b32 v180, v48 :: v_dual_mov_b32 v179, v47
	;; [unrolled: 1-line block ×6, first 2 shown]
	v_cmpx_lt_f32_e32 v2, v29
	s_cbranch_execz .LBB143_49
; %bb.48:
	v_dual_mov_b32 v170, v62 :: v_dual_mov_b32 v169, v61
	v_dual_mov_b32 v162, v54 :: v_dual_mov_b32 v161, v53
	;; [unrolled: 1-line block ×7, first 2 shown]
	s_clause 0x2
	scratch_store_b128 off, v[159:162], off
	scratch_store_b128 off, v[163:166], off offset:16
	scratch_store_b128 off, v[167:170], off offset:32
	v_dual_mov_b32 v182, v50 :: v_dual_mov_b32 v181, v49
	v_dual_mov_b32 v172, v40 :: v_dual_mov_b32 v171, v39
	;; [unrolled: 1-line block ×8, first 2 shown]
	s_delay_alu instid0(VALU_DEP_3)
	v_dual_mov_b32 v140, v176 :: v_dual_mov_b32 v141, v177
	v_dual_mov_b32 v138, v174 :: v_dual_mov_b32 v139, v175
	;; [unrolled: 1-line block ×3, first 2 shown]
	v_mov_b32_e32 v146, v182
	v_dual_mov_b32 v136, v172 :: v_dual_mov_b32 v137, v173
	v_mov_b32_e32 v138, v42
	v_dual_mov_b32 v142, v178 :: v_dual_mov_b32 v143, v179
	v_mov_b32_e32 v53, v52
	v_mov_b32_e32 v139, v43
	;; [unrolled: 1-line block ×3, first 2 shown]
	v_dual_mov_b32 v147, v159 :: v_dual_mov_b32 v148, v160
	v_mov_b32_e32 v151, v163
	v_dual_mov_b32 v149, v161 :: v_dual_mov_b32 v150, v162
	v_dual_mov_b32 v153, v165 :: v_dual_mov_b32 v152, v164
	;; [unrolled: 1-line block ×16, first 2 shown]
	v_mov_b32_e32 v122, v146
	v_dual_mov_b32 v114, v138 :: v_dual_mov_b32 v117, v141
	v_dual_mov_b32 v116, v140 :: v_dual_mov_b32 v119, v143
	;; [unrolled: 1-line block ×14, first 2 shown]
	v_mov_b32_e32 v82, v118
	v_dual_mov_b32 v76, v112 :: v_dual_mov_b32 v81, v117
	v_dual_mov_b32 v80, v116 :: v_dual_mov_b32 v85, v121
	;; [unrolled: 1-line block ×6, first 2 shown]
	v_mov_b32_e32 v81, v45
	v_dual_mov_b32 v65, v89 :: v_dual_mov_b32 v72, v96
	v_mov_b32_e32 v29, v2
	s_delay_alu instid0(VALU_DEP_3)
	v_dual_mov_b32 v110, v86 :: v_dual_mov_b32 v105, v81
	v_dual_mov_b32 v70, v94 :: v_dual_mov_b32 v73, v97
	;; [unrolled: 1-line block ×11, first 2 shown]
	v_mov_b32_e32 v106, v46
	s_clause 0x2
	scratch_store_b128 off, v[3:6], off offset:48
	scratch_store_b128 off, v[7:10], off offset:64
	scratch_store_b128 off, v[11:14], off offset:80
	v_dual_mov_b32 v100, v76 :: v_dual_mov_b32 v3, v63
	v_dual_mov_b32 v12, v72 :: v_dual_mov_b32 v5, v65
	;; [unrolled: 1-line block ×16, first 2 shown]
	v_mov_b32_e32 v26, v50
.LBB143_49:
	s_or_b32 exec_lo, exec_lo, s2
	v_mov_b32_e32 v2, v30
	s_mov_b32 s2, exec_lo
	v_cmpx_lt_f32_e32 v1, v30
	s_cbranch_execz .LBB143_51
; %bb.50:
	s_clause 0x2
	scratch_load_b128 v[2:5], off, off
	scratch_load_b128 v[6:9], off, off offset:16
	scratch_load_b128 v[10:13], off, off offset:32
	v_dual_mov_b32 v29, v30 :: v_dual_mov_b32 v30, v1
	v_dual_mov_b32 v161, v54 :: v_dual_mov_b32 v54, v53
	s_waitcnt vmcnt(0)
	v_dual_mov_b32 v170, v13 :: v_dual_mov_b32 v169, v12
	v_mov_b32_e32 v160, v3
	v_dual_mov_b32 v162, v5 :: v_dual_mov_b32 v159, v2
	v_dual_mov_b32 v173, v42 :: v_dual_mov_b32 v168, v11
	;; [unrolled: 1-line block ×3, first 2 shown]
	s_delay_alu instid0(VALU_DEP_3)
	v_dual_mov_b32 v165, v8 :: v_dual_mov_b32 v2, v159
	v_dual_mov_b32 v3, v160 :: v_dual_mov_b32 v4, v161
	;; [unrolled: 1-line block ×3, first 2 shown]
	s_clause 0x2
	scratch_store_b128 off, v[2:5], off
	scratch_store_b128 off, v[6:9], off offset:16
	scratch_store_b128 off, v[10:13], off offset:32
	v_dual_mov_b32 v162, v53 :: v_dual_mov_b32 v135, v171
	v_dual_mov_b32 v140, v176 :: v_dual_mov_b32 v141, v177
	v_dual_mov_b32 v138, v174 :: v_dual_mov_b32 v139, v175
	v_dual_mov_b32 v146, v182 :: v_dual_mov_b32 v147, v159
	v_dual_mov_b32 v138, v41 :: v_dual_mov_b32 v151, v163
	v_dual_mov_b32 v148, v160 :: v_dual_mov_b32 v149, v161
	v_dual_mov_b32 v142, v178 :: v_dual_mov_b32 v143, v179
	v_dual_mov_b32 v144, v180 :: v_dual_mov_b32 v145, v181
	v_dual_mov_b32 v150, v162 :: v_dual_mov_b32 v153, v165
	v_dual_mov_b32 v152, v164 :: v_dual_mov_b32 v155, v167
	v_dual_mov_b32 v154, v166 :: v_dual_mov_b32 v157, v169
	v_dual_mov_b32 v156, v168 :: v_dual_mov_b32 v151, v55
	v_dual_mov_b32 v158, v170 :: v_dual_mov_b32 v7, v140
	v_dual_mov_b32 v139, v43 :: v_dual_mov_b32 v136, v172
	v_mov_b32_e32 v137, v173
	v_dual_mov_b32 v123, v147 :: v_dual_mov_b32 v126, v150
	v_dual_mov_b32 v124, v148 :: v_dual_mov_b32 v111, v135
	s_delay_alu instid0(VALU_DEP_4)
	v_dual_mov_b32 v112, v136 :: v_dual_mov_b32 v125, v149
	v_dual_mov_b32 v128, v152 :: v_dual_mov_b32 v115, v139
	;; [unrolled: 1-line block ×7, first 2 shown]
	v_mov_b32_e32 v128, v56
	v_dual_mov_b32 v116, v44 :: v_dual_mov_b32 v87, v123
	v_dual_mov_b32 v113, v137 :: v_dual_mov_b32 v114, v138
	;; [unrolled: 1-line block ×21, first 2 shown]
	v_mov_b32_e32 v81, v45
	v_dual_mov_b32 v63, v87 :: v_dual_mov_b32 v66, v90
	v_mov_b32_e32 v64, v88
	v_dual_mov_b32 v110, v86 :: v_dual_mov_b32 v109, v85
	v_dual_mov_b32 v65, v89 :: v_dual_mov_b32 v68, v92
	v_dual_mov_b32 v67, v91 :: v_dual_mov_b32 v70, v94
	v_dual_mov_b32 v71, v95 :: v_dual_mov_b32 v74, v98
	v_dual_mov_b32 v104, v80 :: v_dual_mov_b32 v99, v75
	v_dual_mov_b32 v69, v93 :: v_dual_mov_b32 v72, v96
	v_dual_mov_b32 v73, v97 :: v_dual_mov_b32 v70, v58
	v_dual_mov_b32 v108, v84 :: v_dual_mov_b32 v105, v81
	v_dual_mov_b32 v106, v82 :: v_dual_mov_b32 v101, v77
	v_mov_b32_e32 v102, v78
	v_dual_mov_b32 v42, v41 :: v_dual_mov_b32 v103, v79
	v_mov_b32_e32 v100, v76
	v_mov_b32_e32 v106, v46
	s_clause 0x2
	scratch_store_b128 off, v[2:5], off offset:48
	scratch_store_b128 off, v[6:9], off offset:64
	;; [unrolled: 1-line block ×3, first 2 shown]
	v_dual_mov_b32 v2, v1 :: v_dual_mov_b32 v107, v83
	v_mov_b32_e32 v3, v63
	v_mov_b32_e32 v5, v65
	v_dual_mov_b32 v7, v67 :: v_dual_mov_b32 v14, v74
	v_dual_mov_b32 v15, v99 :: v_dual_mov_b32 v6, v66
	;; [unrolled: 1-line block ×14, first 2 shown]
	v_mov_b32_e32 v24, v48
	v_mov_b32_e32 v26, v50
.LBB143_51:
	s_or_b32 exec_lo, exec_lo, s2
	v_mov_b32_e32 v1, v31
	s_mov_b32 s2, exec_lo
	v_cmpx_lt_f32_e32 v2, v31
	s_cbranch_execz .LBB143_53
; %bb.52:
	s_clause 0x2
	scratch_load_b128 v[3:6], off, off
	scratch_load_b128 v[7:10], off, off offset:16
	scratch_load_b128 v[11:14], off, off offset:32
	v_dual_mov_b32 v30, v31 :: v_dual_mov_b32 v31, v2
	v_mov_b32_e32 v1, v2
	s_waitcnt vmcnt(0)
	v_dual_mov_b32 v170, v14 :: v_dual_mov_b32 v169, v13
	v_dual_mov_b32 v161, v5 :: v_dual_mov_b32 v160, v4
	;; [unrolled: 1-line block ×5, first 2 shown]
	v_mov_b32_e32 v174, v43
	v_mov_b32_e32 v159, v3
	;; [unrolled: 1-line block ×3, first 2 shown]
	v_dual_mov_b32 v135, v171 :: v_dual_mov_b32 v136, v172
	v_mov_b32_e32 v137, v173
	s_delay_alu instid0(VALU_DEP_4) | instskip(NEXT) | instid1(VALU_DEP_4)
	v_dual_mov_b32 v147, v159 :: v_dual_mov_b32 v148, v160
	v_dual_mov_b32 v149, v161 :: v_dual_mov_b32 v150, v162
	;; [unrolled: 1-line block ×10, first 2 shown]
	v_mov_b32_e32 v139, v42
	v_mov_b32_e32 v151, v54
	v_dual_mov_b32 v146, v182 :: v_dual_mov_b32 v123, v147
	v_dual_mov_b32 v111, v135 :: v_dual_mov_b32 v112, v136
	;; [unrolled: 1-line block ×3, first 2 shown]
	s_delay_alu instid0(VALU_DEP_4)
	v_dual_mov_b32 v124, v148 :: v_dual_mov_b32 v127, v151
	v_dual_mov_b32 v128, v152 :: v_dual_mov_b32 v131, v155
	;; [unrolled: 1-line block ×9, first 2 shown]
	v_mov_b32_e32 v120, v144
	v_dual_mov_b32 v116, v44 :: v_dual_mov_b32 v87, v123
	v_mov_b32_e32 v114, v138
	v_dual_mov_b32 v98, v134 :: v_dual_mov_b32 v75, v111
	v_dual_mov_b32 v88, v124 :: v_dual_mov_b32 v89, v125
	;; [unrolled: 1-line block ×3, first 2 shown]
	v_mov_b32_e32 v86, v122
	v_dual_mov_b32 v90, v126 :: v_dual_mov_b32 v91, v127
	v_dual_mov_b32 v92, v128 :: v_dual_mov_b32 v93, v129
	;; [unrolled: 1-line block ×8, first 2 shown]
	v_mov_b32_e32 v79, v115
	v_mov_b32_e32 v81, v45
	v_dual_mov_b32 v63, v87 :: v_dual_mov_b32 v66, v90
	v_dual_mov_b32 v64, v88 :: v_dual_mov_b32 v73, v97
	;; [unrolled: 1-line block ×9, first 2 shown]
	v_mov_b32_e32 v108, v84
	v_dual_mov_b32 v106, v46 :: v_dual_mov_b32 v3, v63
	v_dual_mov_b32 v105, v81 :: v_dual_mov_b32 v104, v80
	;; [unrolled: 1-line block ×19, first 2 shown]
	v_mov_b32_e32 v26, v50
	v_mov_b32_e32 v43, v42
	;; [unrolled: 1-line block ×3, first 2 shown]
	s_clause 0x2
	scratch_store_b128 off, v[171:174], off offset:48
	scratch_store_b128 off, v[175:178], off offset:64
	;; [unrolled: 1-line block ×3, first 2 shown]
.LBB143_53:
	s_or_b32 exec_lo, exec_lo, s2
	v_mov_b32_e32 v2, v32
	s_mov_b32 s2, exec_lo
	v_cmpx_lt_f32_e32 v1, v32
	s_cbranch_execz .LBB143_55
; %bb.54:
	s_clause 0x2
	scratch_load_b128 v[2:5], off, off offset:48
	scratch_load_b128 v[6:9], off, off offset:64
	;; [unrolled: 1-line block ×3, first 2 shown]
	v_dual_mov_b32 v163, v56 :: v_dual_mov_b32 v56, v55
	s_waitcnt vmcnt(0)
	v_dual_mov_b32 v31, v32 :: v_dual_mov_b32 v146, v13
	v_dual_mov_b32 v138, v5 :: v_dual_mov_b32 v137, v4
	;; [unrolled: 1-line block ×6, first 2 shown]
	v_mov_b32_e32 v139, v44
	v_dual_mov_b32 v123, v159 :: v_dual_mov_b32 v124, v160
	v_dual_mov_b32 v125, v161 :: v_dual_mov_b32 v128, v164
	;; [unrolled: 1-line block ×12, first 2 shown]
	v_mov_b32_e32 v120, v144
	v_mov_b32_e32 v116, v43
	v_dual_mov_b32 v87, v123 :: v_dual_mov_b32 v88, v124
	v_dual_mov_b32 v89, v125 :: v_dual_mov_b32 v98, v134
	;; [unrolled: 1-line block ×12, first 2 shown]
	v_mov_b32_e32 v79, v115
	v_mov_b32_e32 v81, v45
	v_dual_mov_b32 v63, v87 :: v_dual_mov_b32 v66, v90
	v_dual_mov_b32 v64, v88 :: v_dual_mov_b32 v73, v97
	;; [unrolled: 1-line block ×8, first 2 shown]
	v_mov_b32_e32 v70, v58
	v_dual_mov_b32 v106, v46 :: v_dual_mov_b32 v65, v89
	v_dual_mov_b32 v68, v92 :: v_dual_mov_b32 v105, v81
	;; [unrolled: 1-line block ×4, first 2 shown]
	v_mov_b32_e32 v100, v76
	v_dual_mov_b32 v32, v1 :: v_dual_mov_b32 v3, v63
	v_dual_mov_b32 v14, v74 :: v_dual_mov_b32 v15, v99
	v_mov_b32_e32 v26, v110
	v_dual_mov_b32 v10, v70 :: v_dual_mov_b32 v11, v71
	v_dual_mov_b32 v12, v72 :: v_dual_mov_b32 v13, v73
	;; [unrolled: 1-line block ×20, first 2 shown]
	v_mov_b32_e32 v2, v1
	v_mov_b32_e32 v44, v43
.LBB143_55:
	s_or_b32 exec_lo, exec_lo, s2
	v_mov_b32_e32 v1, v33
	s_mov_b32 s2, exec_lo
	v_cmpx_lt_f32_e32 v2, v33
	s_cbranch_execz .LBB143_57
; %bb.56:
	v_mov_b32_e32 v140, v45
	v_dual_mov_b32 v152, v57 :: v_dual_mov_b32 v75, v135
	v_dual_mov_b32 v87, v147 :: v_dual_mov_b32 v90, v150
	;; [unrolled: 1-line block ×3, first 2 shown]
	s_delay_alu instid0(VALU_DEP_3)
	v_dual_mov_b32 v92, v152 :: v_dual_mov_b32 v93, v153
	v_dual_mov_b32 v76, v136 :: v_dual_mov_b32 v79, v139
	;; [unrolled: 1-line block ×6, first 2 shown]
	v_mov_b32_e32 v93, v56
	v_dual_mov_b32 v84, v144 :: v_dual_mov_b32 v63, v87
	v_dual_mov_b32 v78, v138 :: v_dual_mov_b32 v81, v141
	;; [unrolled: 1-line block ×5, first 2 shown]
	s_delay_alu instid0(VALU_DEP_3) | instskip(SKIP_1) | instid1(VALU_DEP_4)
	v_dual_mov_b32 v110, v86 :: v_dual_mov_b32 v109, v85
	v_dual_mov_b32 v100, v76 :: v_dual_mov_b32 v99, v75
	;; [unrolled: 1-line block ×11, first 2 shown]
	v_mov_b32_e32 v106, v46
	v_dual_mov_b32 v70, v58 :: v_dual_mov_b32 v15, v99
	v_dual_mov_b32 v3, v63 :: v_dual_mov_b32 v24, v108
	;; [unrolled: 1-line block ×3, first 2 shown]
	s_delay_alu instid0(VALU_DEP_3)
	v_dual_mov_b32 v10, v70 :: v_dual_mov_b32 v11, v71
	v_dual_mov_b32 v12, v72 :: v_dual_mov_b32 v13, v73
	;; [unrolled: 1-line block ×26, first 2 shown]
	v_mov_b32_e32 v1, v2
	v_dual_mov_b32 v134, v158 :: v_dual_mov_b32 v45, v44
	v_mov_b32_e32 v57, v56
.LBB143_57:
	s_or_b32 exec_lo, exec_lo, s2
	v_mov_b32_e32 v2, v34
	s_mov_b32 s2, exec_lo
	v_cmpx_lt_f32_e32 v1, v34
	s_cbranch_execz .LBB143_59
; %bb.58:
	v_mov_b32_e32 v129, v58
	v_dual_mov_b32 v63, v123 :: v_dual_mov_b32 v70, v130
	v_dual_mov_b32 v70, v57 :: v_dual_mov_b32 v71, v131
	;; [unrolled: 1-line block ×22, first 2 shown]
	v_mov_b32_e32 v34, v1
	v_dual_mov_b32 v5, v65 :: v_dual_mov_b32 v6, v66
	v_dual_mov_b32 v7, v67 :: v_dual_mov_b32 v8, v68
	;; [unrolled: 1-line block ×20, first 2 shown]
	v_mov_b32_e32 v2, v1
	v_mov_b32_e32 v46, v45
	;; [unrolled: 1-line block ×3, first 2 shown]
.LBB143_59:
	s_or_b32 exec_lo, exec_lo, s2
	v_mov_b32_e32 v1, v35
	s_mov_b32 s2, exec_lo
	v_cmpx_lt_f32_e32 v2, v35
	s_cbranch_execz .LBB143_61
; %bb.60:
	v_mov_b32_e32 v94, v59
	v_dual_mov_b32 v34, v35 :: v_dual_mov_b32 v35, v2
	v_mov_b32_e32 v82, v47
	v_dual_mov_b32 v3, v87 :: v_dual_mov_b32 v4, v88
	v_dual_mov_b32 v12, v96 :: v_dual_mov_b32 v9, v93
	;; [unrolled: 1-line block ×13, first 2 shown]
	v_mov_b32_e32 v7, v91
	v_mov_b32_e32 v11, v58
	v_dual_mov_b32 v14, v62 :: v_dual_mov_b32 v17, v77
	v_dual_mov_b32 v16, v76 :: v_dual_mov_b32 v19, v79
	;; [unrolled: 1-line block ×14, first 2 shown]
	v_mov_b32_e32 v47, v46
	v_mov_b32_e32 v59, v58
	;; [unrolled: 1-line block ×3, first 2 shown]
.LBB143_61:
	s_or_b32 exec_lo, exec_lo, s2
	v_mov_b32_e32 v39, v36
	s_mov_b32 s2, exec_lo
	v_cmpx_lt_f32_e32 v1, v36
	s_cbranch_execz .LBB143_63
; %bb.62:
	v_dual_mov_b32 v71, v60 :: v_dual_mov_b32 v72, v59
	v_dual_mov_b32 v73, v61 :: v_dual_mov_b32 v108, v47
	;; [unrolled: 1-line block ×17, first 2 shown]
	v_mov_b32_e32 v39, v1
.LBB143_63:
	s_or_b32 exec_lo, exec_lo, s2
	s_delay_alu instid0(VALU_DEP_1)
	v_cmp_lt_f32_e32 vcc_lo, v39, v37
	v_dual_mov_b32 v40, v28 :: v_dual_mov_b32 v43, v31
	v_dual_mov_b32 v42, v30 :: v_dual_mov_b32 v45, v33
	v_dual_cndmask_b32 v1, v25, v24 :: v_dual_cndmask_b32 v24, v24, v25
	v_cndmask_b32_e32 v2, v13, v12, vcc_lo
	v_dual_cndmask_b32 v12, v12, v13 :: v_dual_cndmask_b32 v49, v37, v39
	v_dual_cndmask_b32 v48, v36, v37 :: v_dual_mov_b32 v41, v29
	v_dual_mov_b32 v39, v27 :: v_dual_mov_b32 v44, v32
	v_dual_mov_b32 v47, v35 :: v_dual_mov_b32 v46, v34
	v_mov_b32_e32 v50, v38
	s_mov_b32 s2, exec_lo
	v_cmpx_lt_f32_e32 v27, v28
	s_cbranch_execz .LBB143_65
; %bb.64:
	v_dual_mov_b32 v28, v40 :: v_dual_mov_b32 v29, v39
	v_dual_mov_b32 v38, v49 :: v_dual_mov_b32 v39, v50
	;; [unrolled: 1-line block ×6, first 2 shown]
	v_mov_b32_e32 v50, v39
	v_mov_b32_e32 v13, v15
	v_dual_mov_b32 v25, v3 :: v_dual_mov_b32 v44, v33
	v_swap_b32 v15, v16
	v_swap_b32 v3, v4
	v_dual_mov_b32 v49, v38 :: v_dual_mov_b32 v46, v35
	v_dual_mov_b32 v48, v37 :: v_dual_mov_b32 v47, v36
	;; [unrolled: 1-line block ×4, first 2 shown]
	v_mov_b32_e32 v41, v30
	v_dual_mov_b32 v39, v28 :: v_dual_mov_b32 v28, v27
.LBB143_65:
	s_or_b32 exec_lo, exec_lo, s2
	v_mov_b32_e32 v13, v2
	v_dual_mov_b32 v25, v1 :: v_dual_mov_b32 v62, v14
	v_dual_mov_b32 v74, v26 :: v_dual_mov_b32 v63, v15
	v_mov_b32_e32 v86, v26
	v_dual_mov_b32 v72, v24 :: v_dual_mov_b32 v75, v15
	v_dual_mov_b32 v110, v26 :: v_dual_mov_b32 v53, v5
	;; [unrolled: 1-line block ×61, first 2 shown]
	v_mov_b32_e32 v149, v5
	v_mov_b32_e32 v147, v3
	;; [unrolled: 1-line block ×3, first 2 shown]
	s_mov_b32 s2, exec_lo
	v_dual_mov_b32 v85, v25 :: v_dual_mov_b32 v84, v24
	v_dual_mov_b32 v83, v23 :: v_dual_mov_b32 v82, v22
	s_clause 0x2
	scratch_store_b128 off, v[3:6], off
	scratch_store_b128 off, v[7:10], off offset:16
	scratch_store_b128 off, v[11:14], off offset:32
	v_cmpx_lt_f32_e32 v28, v41
	s_cbranch_execz .LBB143_67
; %bb.66:
	v_dual_mov_b32 v158, v14 :: v_dual_mov_b32 v157, v13
	v_dual_mov_b32 v150, v6 :: v_dual_mov_b32 v149, v5
	;; [unrolled: 1-line block ×7, first 2 shown]
	s_clause 0x2
	scratch_store_b128 off, v[147:150], off
	scratch_store_b128 off, v[151:154], off offset:16
	scratch_store_b128 off, v[155:158], off offset:32
	v_dual_mov_b32 v182, v26 :: v_dual_mov_b32 v181, v25
	v_dual_mov_b32 v172, v16 :: v_dual_mov_b32 v171, v15
	;; [unrolled: 1-line block ×8, first 2 shown]
	s_delay_alu instid0(VALU_DEP_4) | instskip(SKIP_1) | instid1(VALU_DEP_4)
	v_dual_mov_b32 v160, v172 :: v_dual_mov_b32 v161, v173
	v_dual_mov_b32 v162, v174 :: v_dual_mov_b32 v163, v175
	;; [unrolled: 1-line block ×4, first 2 shown]
	v_mov_b32_e32 v170, v182
	v_dual_mov_b32 v166, v178 :: v_dual_mov_b32 v167, v179
	v_mov_b32_e32 v162, v18
	v_dual_mov_b32 v40, v41 :: v_dual_mov_b32 v41, v28
	v_mov_b32_e32 v5, v4
	v_mov_b32_e32 v17, v16
	;; [unrolled: 1-line block ×3, first 2 shown]
	v_dual_mov_b32 v137, v149 :: v_dual_mov_b32 v144, v156
	v_dual_mov_b32 v123, v159 :: v_dual_mov_b32 v136, v148
	;; [unrolled: 1-line block ×12, first 2 shown]
	v_mov_b32_e32 v133, v169
	v_dual_mov_b32 v111, v135 :: v_dual_mov_b32 v112, v136
	v_dual_mov_b32 v99, v123 :: v_dual_mov_b32 v100, v124
	;; [unrolled: 1-line block ×12, first 2 shown]
	v_mov_b32_e32 v104, v20
	v_dual_mov_b32 v116, v8 :: v_dual_mov_b32 v75, v99
	v_mov_b32_e32 v87, v111
	v_dual_mov_b32 v93, v117 :: v_dual_mov_b32 v78, v102
	s_delay_alu instid0(VALU_DEP_3)
	v_dual_mov_b32 v81, v105 :: v_dual_mov_b32 v92, v116
	v_dual_mov_b32 v90, v114 :: v_dual_mov_b32 v91, v115
	;; [unrolled: 1-line block ×11, first 2 shown]
	v_mov_b32_e32 v51, v87
	v_dual_mov_b32 v63, v75 :: v_dual_mov_b32 v66, v78
	v_dual_mov_b32 v55, v91 :: v_dual_mov_b32 v58, v94
	v_dual_mov_b32 v57, v93 :: v_dual_mov_b32 v60, v96
	v_dual_mov_b32 v59, v95 :: v_dual_mov_b32 v62, v98
	v_dual_mov_b32 v61, v97 :: v_dual_mov_b32 v64, v76
	v_dual_mov_b32 v67, v79 :: v_dual_mov_b32 v70, v82
	v_dual_mov_b32 v69, v81 :: v_dual_mov_b32 v72, v84
	v_dual_mov_b32 v71, v83 :: v_dual_mov_b32 v74, v86
	v_dual_mov_b32 v73, v85 :: v_dual_mov_b32 v58, v10
	v_dual_mov_b32 v13, v28 :: v_dual_mov_b32 v54, v90
	v_dual_mov_b32 v52, v88 :: v_dual_mov_b32 v53, v89
	v_dual_mov_b32 v56, v92 :: v_dual_mov_b32 v65, v77
	v_dual_mov_b32 v68, v80 :: v_dual_mov_b32 v59, v11
	v_dual_mov_b32 v60, v12 :: v_dual_mov_b32 v61, v2
	v_mov_b32_e32 v72, v24
	v_dual_mov_b32 v62, v14 :: v_dual_mov_b32 v71, v23
	v_dual_mov_b32 v70, v22 :: v_dual_mov_b32 v73, v1
	v_mov_b32_e32 v74, v26
.LBB143_67:
	s_or_b32 exec_lo, exec_lo, s2
	v_mov_b32_e32 v3, v42
	v_cmp_lt_f32_e32 vcc_lo, v13, v42
	s_mov_b32 s2, exec_lo
	s_clause 0x2
	scratch_load_b128 v[27:30], off, off
	scratch_load_b128 v[31:34], off, off offset:16
	scratch_load_b128 v[35:38], off, off offset:32
	s_and_b32 s3, s2, vcc_lo
	s_delay_alu instid0(SALU_CYCLE_1)
	s_mov_b32 exec_lo, s3
	s_cbranch_execz .LBB143_69
; %bb.68:
	v_mov_b32_e32 v173, v18
	s_waitcnt vmcnt(2)
	v_mov_b32_e32 v29, v6
	v_dual_mov_b32 v159, v171 :: v_dual_mov_b32 v160, v172
	s_waitcnt vmcnt(0)
	v_dual_mov_b32 v158, v38 :: v_dual_mov_b32 v157, v37
	v_dual_mov_b32 v156, v36 :: v_dual_mov_b32 v147, v27
	;; [unrolled: 1-line block ×6, first 2 shown]
	v_mov_b32_e32 v168, v180
	v_dual_mov_b32 v164, v176 :: v_dual_mov_b32 v165, v177
	v_dual_mov_b32 v170, v182 :: v_dual_mov_b32 v155, v35
	;; [unrolled: 1-line block ×4, first 2 shown]
	v_mov_b32_e32 v150, v5
	v_mov_b32_e32 v169, v181
	v_dual_mov_b32 v162, v17 :: v_dual_mov_b32 v135, v147
	v_dual_mov_b32 v136, v148 :: v_dual_mov_b32 v123, v159
	v_dual_mov_b32 v124, v160 :: v_dual_mov_b32 v137, v149
	v_dual_mov_b32 v138, v150 :: v_dual_mov_b32 v139, v151
	v_dual_mov_b32 v140, v152 :: v_dual_mov_b32 v141, v153
	v_dual_mov_b32 v142, v154 :: v_dual_mov_b32 v127, v163
	v_dual_mov_b32 v128, v164 :: v_dual_mov_b32 v129, v165
	v_dual_mov_b32 v130, v166 :: v_dual_mov_b32 v143, v155
	v_dual_mov_b32 v144, v156 :: v_dual_mov_b32 v145, v157
	v_dual_mov_b32 v146, v158 :: v_dual_mov_b32 v125, v161
	v_dual_mov_b32 v126, v162 :: v_dual_mov_b32 v131, v167
	v_dual_mov_b32 v132, v168 :: v_dual_mov_b32 v133, v169
	v_dual_mov_b32 v134, v170 :: v_dual_mov_b32 v127, v19
	v_mov_b32_e32 v139, v7
	v_dual_mov_b32 v99, v123 :: v_dual_mov_b32 v100, v124
	v_dual_mov_b32 v111, v135 :: v_dual_mov_b32 v114, v138
	;; [unrolled: 1-line block ×4, first 2 shown]
	v_mov_b32_e32 v120, v144
	v_dual_mov_b32 v104, v128 :: v_dual_mov_b32 v105, v129
	v_dual_mov_b32 v110, v134 :: v_dual_mov_b32 v115, v139
	;; [unrolled: 1-line block ×21, first 2 shown]
	v_mov_b32_e32 v93, v9
	v_dual_mov_b32 v63, v75 :: v_dual_mov_b32 v64, v76
	v_dual_mov_b32 v51, v87 :: v_dual_mov_b32 v54, v90
	v_dual_mov_b32 v52, v88 :: v_dual_mov_b32 v55, v91
	s_delay_alu instid0(VALU_DEP_4)
	v_dual_mov_b32 v58, v94 :: v_dual_mov_b32 v57, v93
	v_dual_mov_b32 v60, v96 :: v_dual_mov_b32 v59, v95
	;; [unrolled: 1-line block ×9, first 2 shown]
	v_mov_b32_e32 v42, v13
	v_dual_mov_b32 v53, v89 :: v_dual_mov_b32 v56, v92
	v_dual_mov_b32 v68, v80 :: v_dual_mov_b32 v59, v11
	v_mov_b32_e32 v62, v14
	v_dual_mov_b32 v61, v2 :: v_dual_mov_b32 v72, v24
	v_dual_mov_b32 v70, v22 :: v_dual_mov_b32 v71, v23
	v_dual_mov_b32 v73, v1 :: v_dual_mov_b32 v74, v26
	v_mov_b32_e32 v3, v13
	v_mov_b32_e32 v18, v17
	;; [unrolled: 1-line block ×3, first 2 shown]
.LBB143_69:
	s_or_b32 exec_lo, exec_lo, s2
	v_mov_b32_e32 v4, v43
	s_mov_b32 s2, exec_lo
	v_cmpx_lt_f32_e32 v3, v43
	s_cbranch_execz .LBB143_71
; %bb.70:
	v_mov_b32_e32 v174, v19
	s_waitcnt vmcnt(2)
	v_mov_b32_e32 v30, v7
	v_mov_b32_e32 v123, v171
	s_waitcnt vmcnt(0)
	v_dual_mov_b32 v125, v173 :: v_dual_mov_b32 v146, v38
	s_delay_alu instid0(VALU_DEP_3)
	v_dual_mov_b32 v143, v35 :: v_dual_mov_b32 v138, v30
	v_mov_b32_e32 v135, v27
	v_dual_mov_b32 v145, v37 :: v_dual_mov_b32 v142, v34
	v_dual_mov_b32 v139, v31 :: v_dual_mov_b32 v136, v28
	;; [unrolled: 1-line block ×6, first 2 shown]
	v_mov_b32_e32 v139, v6
	v_dual_mov_b32 v127, v18 :: v_dual_mov_b32 v124, v172
	v_dual_mov_b32 v126, v174 :: v_dual_mov_b32 v129, v177
	v_dual_mov_b32 v130, v178 :: v_dual_mov_b32 v133, v181
	v_dual_mov_b32 v134, v182 :: v_dual_mov_b32 v111, v135
	v_dual_mov_b32 v112, v136 :: v_dual_mov_b32 v99, v123
	v_dual_mov_b32 v100, v124 :: v_dual_mov_b32 v115, v139
	v_dual_mov_b32 v116, v140 :: v_dual_mov_b32 v103, v127
	v_dual_mov_b32 v104, v128 :: v_dual_mov_b32 v113, v137
	v_dual_mov_b32 v114, v138 :: v_dual_mov_b32 v117, v141
	v_dual_mov_b32 v118, v142 :: v_dual_mov_b32 v119, v143
	v_dual_mov_b32 v120, v144 :: v_dual_mov_b32 v121, v145
	v_dual_mov_b32 v122, v146 :: v_dual_mov_b32 v101, v125
	v_dual_mov_b32 v102, v126 :: v_dual_mov_b32 v105, v129
	v_dual_mov_b32 v106, v130 :: v_dual_mov_b32 v107, v131
	v_dual_mov_b32 v108, v132 :: v_dual_mov_b32 v109, v133
	v_mov_b32_e32 v110, v134
	v_mov_b32_e32 v104, v20
	v_dual_mov_b32 v116, v8 :: v_dual_mov_b32 v75, v99
	v_mov_b32_e32 v87, v111
	v_dual_mov_b32 v93, v117 :: v_dual_mov_b32 v78, v102
	s_delay_alu instid0(VALU_DEP_3)
	v_dual_mov_b32 v81, v105 :: v_dual_mov_b32 v92, v116
	v_dual_mov_b32 v80, v104 :: v_dual_mov_b32 v83, v107
	;; [unrolled: 1-line block ×11, first 2 shown]
	v_mov_b32_e32 v63, v75
	s_delay_alu instid0(VALU_DEP_3)
	v_dual_mov_b32 v51, v87 :: v_dual_mov_b32 v54, v90
	v_dual_mov_b32 v71, v83 :: v_dual_mov_b32 v72, v84
	;; [unrolled: 1-line block ×14, first 2 shown]
	v_mov_b32_e32 v68, v80
	v_dual_mov_b32 v58, v10 :: v_dual_mov_b32 v59, v11
	v_dual_mov_b32 v60, v12 :: v_dual_mov_b32 v61, v2
	;; [unrolled: 1-line block ×14, first 2 shown]
	v_mov_b32_e32 v150, v30
	v_dual_mov_b32 v148, v28 :: v_dual_mov_b32 v19, v18
	v_dual_mov_b32 v4, v3 :: v_dual_mov_b32 v7, v6
.LBB143_71:
	s_or_b32 exec_lo, exec_lo, s2
	v_mov_b32_e32 v3, v44
	s_mov_b32 s2, exec_lo
	s_delay_alu instid0(VALU_DEP_2)
	v_cmpx_lt_f32_e32 v4, v44
	s_cbranch_execz .LBB143_73
; %bb.72:
	v_mov_b32_e32 v163, v20
	v_mov_b32_e32 v151, v8
	v_dual_mov_b32 v99, v159 :: v_dual_mov_b32 v102, v162
	v_dual_mov_b32 v111, v147 :: v_dual_mov_b32 v112, v148
	;; [unrolled: 1-line block ×10, first 2 shown]
	v_mov_b32_e32 v108, v168
	v_dual_mov_b32 v104, v164 :: v_dual_mov_b32 v109, v169
	v_mov_b32_e32 v116, v7
	v_mov_b32_e32 v107, v167
	;; [unrolled: 1-line block ×3, first 2 shown]
	v_dual_mov_b32 v87, v111 :: v_dual_mov_b32 v90, v114
	v_dual_mov_b32 v88, v112 :: v_dual_mov_b32 v89, v113
	;; [unrolled: 1-line block ×12, first 2 shown]
	v_mov_b32_e32 v93, v9
	v_mov_b32_e32 v43, v44
	v_dual_mov_b32 v44, v4 :: v_dual_mov_b32 v81, v21
	v_dual_mov_b32 v51, v87 :: v_dual_mov_b32 v56, v92
	;; [unrolled: 1-line block ×15, first 2 shown]
	v_mov_b32_e32 v136, v148
	v_dual_mov_b32 v54, v90 :: v_dual_mov_b32 v59, v11
	v_mov_b32_e32 v62, v14
	v_dual_mov_b32 v61, v2 :: v_dual_mov_b32 v72, v24
	v_dual_mov_b32 v70, v22 :: v_dual_mov_b32 v71, v23
	;; [unrolled: 1-line block ×14, first 2 shown]
	v_mov_b32_e32 v8, v7
.LBB143_73:
	s_or_b32 exec_lo, exec_lo, s2
	v_mov_b32_e32 v4, v45
	s_mov_b32 s2, exec_lo
	v_cmpx_lt_f32_e32 v3, v45
	s_cbranch_execz .LBB143_75
; %bb.74:
	v_mov_b32_e32 v140, v9
	v_dual_mov_b32 v128, v21 :: v_dual_mov_b32 v87, v135
	v_mov_b32_e32 v93, v141
	v_dual_mov_b32 v93, v8 :: v_dual_mov_b32 v94, v142
	v_dual_mov_b32 v96, v144 :: v_dual_mov_b32 v97, v145
	v_mov_b32_e32 v98, v146
	v_dual_mov_b32 v44, v45 :: v_dual_mov_b32 v75, v123
	v_dual_mov_b32 v84, v132 :: v_dual_mov_b32 v85, v133
	;; [unrolled: 1-line block ×8, first 2 shown]
	v_mov_b32_e32 v81, v20
	v_dual_mov_b32 v51, v87 :: v_dual_mov_b32 v52, v88
	v_dual_mov_b32 v76, v124 :: v_dual_mov_b32 v77, v125
	;; [unrolled: 1-line block ×30, first 2 shown]
	v_mov_b32_e32 v120, v144
	v_dual_mov_b32 v122, v146 :: v_dual_mov_b32 v21, v20
	v_dual_mov_b32 v4, v3 :: v_dual_mov_b32 v9, v8
.LBB143_75:
	s_or_b32 exec_lo, exec_lo, s2
	v_mov_b32_e32 v3, v46
	s_mov_b32 s2, exec_lo
	s_delay_alu instid0(VALU_DEP_2)
	v_cmpx_lt_f32_e32 v4, v46
	s_cbranch_execz .LBB143_77
; %bb.76:
	v_mov_b32_e32 v117, v10
	v_dual_mov_b32 v45, v46 :: v_dual_mov_b32 v46, v4
	v_mov_b32_e32 v105, v22
	v_dual_mov_b32 v51, v111 :: v_dual_mov_b32 v54, v114
	v_dual_mov_b32 v56, v116 :: v_dual_mov_b32 v63, v99
	;; [unrolled: 1-line block ×6, first 2 shown]
	v_mov_b32_e32 v58, v9
	v_dual_mov_b32 v61, v121 :: v_dual_mov_b32 v60, v12
	v_dual_mov_b32 v67, v103 :: v_dual_mov_b32 v70, v106
	;; [unrolled: 1-line block ×8, first 2 shown]
	v_mov_b32_e32 v62, v14
	v_dual_mov_b32 v61, v2 :: v_dual_mov_b32 v64, v100
	v_dual_mov_b32 v65, v101 :: v_dual_mov_b32 v68, v104
	v_dual_mov_b32 v70, v21 :: v_dual_mov_b32 v71, v23
	v_dual_mov_b32 v73, v1 :: v_dual_mov_b32 v74, v26
	v_dual_mov_b32 v77, v101 :: v_dual_mov_b32 v78, v102
	v_dual_mov_b32 v79, v103 :: v_dual_mov_b32 v80, v104
	v_dual_mov_b32 v81, v105 :: v_dual_mov_b32 v82, v106
	v_dual_mov_b32 v89, v113 :: v_dual_mov_b32 v90, v114
	v_dual_mov_b32 v91, v115 :: v_dual_mov_b32 v92, v116
	v_dual_mov_b32 v93, v117 :: v_dual_mov_b32 v94, v118
	v_dual_mov_b32 v3, v4 :: v_dual_mov_b32 v22, v21
	v_dual_mov_b32 v10, v9 :: v_dual_mov_b32 v83, v107
	v_dual_mov_b32 v84, v108 :: v_dual_mov_b32 v85, v109
	v_dual_mov_b32 v86, v110 :: v_dual_mov_b32 v95, v119
	v_dual_mov_b32 v96, v120 :: v_dual_mov_b32 v97, v121
	v_mov_b32_e32 v98, v122
.LBB143_77:
	s_or_b32 exec_lo, exec_lo, s2
	v_mov_b32_e32 v4, v47
	s_mov_b32 s2, exec_lo
	v_cmpx_lt_f32_e32 v3, v47
	s_cbranch_execz .LBB143_79
; %bb.78:
	v_dual_mov_b32 v84, v24 :: v_dual_mov_b32 v85, v1
	v_dual_mov_b32 v94, v11 :: v_dual_mov_b32 v95, v10
	v_dual_mov_b32 v96, v12 :: v_dual_mov_b32 v97, v2
	v_dual_mov_b32 v82, v23 :: v_dual_mov_b32 v83, v22
	v_mov_b32_e32 v86, v26
	v_mov_b32_e32 v46, v47
	v_dual_mov_b32 v47, v3 :: v_dual_mov_b32 v98, v14
	v_dual_mov_b32 v63, v75 :: v_dual_mov_b32 v72, v84
	;; [unrolled: 1-line block ×3, first 2 shown]
	v_mov_b32_e32 v67, v79
	v_dual_mov_b32 v65, v77 :: v_dual_mov_b32 v66, v78
	v_dual_mov_b32 v69, v81 :: v_dual_mov_b32 v68, v80
	;; [unrolled: 1-line block ×9, first 2 shown]
	v_mov_b32_e32 v62, v98
	v_mov_b32_e32 v4, v3
.LBB143_79:
	s_or_b32 exec_lo, exec_lo, s2
	s_delay_alu instid0(VALU_DEP_1)
	v_cmp_lt_f32_e32 vcc_lo, v4, v48
	v_dual_mov_b32 v3, v41 :: v_dual_mov_b32 v8, v46
	v_dual_mov_b32 v5, v43 :: v_dual_mov_b32 v12, v50
	s_waitcnt vmcnt(0)
	v_cndmask_b32_e32 v37, v72, v71, vcc_lo
	v_dual_cndmask_b32 v71, v71, v72 :: v_dual_cndmask_b32 v38, v60, v59
	v_dual_cndmask_b32 v59, v59, v60 :: v_dual_mov_b32 v2, v40
	v_dual_cndmask_b32 v10, v48, v4 :: v_dual_mov_b32 v1, v39
	v_dual_cndmask_b32 v9, v47, v48 :: v_dual_mov_b32 v6, v44
	v_dual_mov_b32 v4, v42 :: v_dual_mov_b32 v7, v45
	v_mov_b32_e32 v11, v49
	s_mov_b32 s2, exec_lo
	v_cmpx_lt_f32_e32 v39, v40
	s_cbranch_execz .LBB143_81
; %bb.80:
	v_dual_mov_b32 v13, v2 :: v_dual_mov_b32 v14, v1
	v_dual_mov_b32 v15, v3 :: v_dual_mov_b32 v16, v4
	;; [unrolled: 1-line block ×6, first 2 shown]
	v_mov_b32_e32 v25, v63
	v_dual_mov_b32 v26, v51 :: v_dual_mov_b32 v1, v13
	v_swap_b32 v63, v64
	v_swap_b32 v51, v52
	v_dual_mov_b32 v2, v14 :: v_dual_mov_b32 v3, v15
	v_dual_mov_b32 v4, v16 :: v_dual_mov_b32 v5, v17
	v_dual_mov_b32 v6, v18 :: v_dual_mov_b32 v7, v19
	v_dual_mov_b32 v8, v20 :: v_dual_mov_b32 v9, v21
	v_dual_mov_b32 v10, v22 :: v_dual_mov_b32 v11, v23
	v_mov_b32_e32 v12, v24
	v_mov_b32_e32 v40, v39
.LBB143_81:
	s_or_b32 exec_lo, exec_lo, s2
	v_mov_b32_e32 v60, v38
	v_dual_mov_b32 v72, v37 :: v_dual_mov_b32 v13, v51
	v_dual_mov_b32 v25, v63 :: v_dual_mov_b32 v98, v74
	;; [unrolled: 1-line block ×60, first 2 shown]
	s_mov_b32 s2, exec_lo
	v_dual_mov_b32 v96, v72 :: v_dual_mov_b32 v93, v69
	v_cmpx_lt_f32_e32 v40, v3
	s_cbranch_execz .LBB143_83
; %bb.82:
	v_dual_mov_b32 v134, v62 :: v_dual_mov_b32 v133, v61
	v_dual_mov_b32 v124, v52 :: v_dual_mov_b32 v123, v51
	v_mov_b32_e32 v124, v53
	v_dual_mov_b32 v128, v56 :: v_dual_mov_b32 v127, v55
	v_dual_mov_b32 v132, v60 :: v_dual_mov_b32 v131, v59
	v_dual_mov_b32 v126, v54 :: v_dual_mov_b32 v125, v53
	v_dual_mov_b32 v146, v74 :: v_dual_mov_b32 v145, v73
	v_dual_mov_b32 v125, v52 :: v_dual_mov_b32 v138, v66
	v_dual_mov_b32 v137, v65 :: v_dual_mov_b32 v136, v64
	v_dual_mov_b32 v135, v63 :: v_dual_mov_b32 v130, v58
	v_dual_mov_b32 v129, v57 :: v_dual_mov_b32 v140, v68
	v_dual_mov_b32 v139, v67 :: v_dual_mov_b32 v170, v134
	v_dual_mov_b32 v169, v133 :: v_dual_mov_b32 v144, v72
	v_dual_mov_b32 v143, v71 :: v_dual_mov_b32 v142, v70
	v_mov_b32_e32 v141, v69
	v_dual_mov_b32 v136, v65 :: v_dual_mov_b32 v137, v64
	v_dual_mov_b32 v160, v124 :: v_dual_mov_b32 v159, v123
	;; [unrolled: 1-line block ×40, first 2 shown]
	v_mov_b32_e32 v22, v84
	v_dual_mov_b32 v22, v38 :: v_dual_mov_b32 v25, v87
	v_dual_mov_b32 v16, v78 :: v_dual_mov_b32 v19, v81
	;; [unrolled: 1-line block ×16, first 2 shown]
	v_mov_b32_e32 v35, v73
	v_dual_mov_b32 v34, v37 :: v_dual_mov_b32 v39, v40
	v_dual_mov_b32 v36, v74 :: v_dual_mov_b32 v65, v64
	v_mov_b32_e32 v53, v52
.LBB143_83:
	s_or_b32 exec_lo, exec_lo, s2
	v_mov_b32_e32 v40, v4
	s_mov_b32 s2, exec_lo
	v_cmpx_lt_f32_e32 v39, v4
	s_cbranch_execz .LBB143_85
; %bb.84:
	v_mov_b32_e32 v137, v66
	v_mov_b32_e32 v125, v54
	;; [unrolled: 1-line block ×4, first 2 shown]
	v_dual_mov_b32 v170, v134 :: v_dual_mov_b32 v169, v133
	v_dual_mov_b32 v168, v132 :: v_dual_mov_b32 v159, v123
	;; [unrolled: 1-line block ×9, first 2 shown]
	v_mov_b32_e32 v157, v145
	v_dual_mov_b32 v155, v143 :: v_dual_mov_b32 v152, v140
	v_mov_b32_e32 v162, v53
	v_mov_b32_e32 v149, v137
	v_dual_mov_b32 v150, v65 :: v_dual_mov_b32 v111, v159
	v_dual_mov_b32 v112, v160 :: v_dual_mov_b32 v99, v147
	;; [unrolled: 1-line block ×13, first 2 shown]
	v_mov_b32_e32 v115, v55
	v_dual_mov_b32 v87, v99 :: v_dual_mov_b32 v88, v100
	v_dual_mov_b32 v75, v111 :: v_dual_mov_b32 v78, v114
	v_dual_mov_b32 v76, v112 :: v_dual_mov_b32 v77, v113
	s_delay_alu instid0(VALU_DEP_4)
	v_dual_mov_b32 v80, v116 :: v_dual_mov_b32 v79, v115
	v_dual_mov_b32 v82, v118 :: v_dual_mov_b32 v81, v117
	;; [unrolled: 1-line block ×6, first 2 shown]
	v_mov_b32_e32 v96, v108
	v_dual_mov_b32 v92, v104 :: v_dual_mov_b32 v93, v105
	v_dual_mov_b32 v98, v110 :: v_dual_mov_b32 v95, v107
	;; [unrolled: 1-line block ×21, first 2 shown]
	v_mov_b32_e32 v34, v37
	v_dual_mov_b32 v35, v73 :: v_dual_mov_b32 v36, v74
	v_mov_b32_e32 v40, v39
	v_mov_b32_e32 v66, v65
	;; [unrolled: 1-line block ×3, first 2 shown]
.LBB143_85:
	s_or_b32 exec_lo, exec_lo, s2
	v_mov_b32_e32 v39, v5
	s_mov_b32 s2, exec_lo
	v_cmpx_lt_f32_e32 v40, v5
	s_cbranch_execz .LBB143_87
; %bb.86:
	v_mov_b32_e32 v126, v55
	v_mov_b32_e32 v111, v123
	;; [unrolled: 1-line block ×3, first 2 shown]
	v_dual_mov_b32 v115, v54 :: v_dual_mov_b32 v116, v128
	v_dual_mov_b32 v138, v67 :: v_dual_mov_b32 v113, v125
	v_mov_b32_e32 v112, v124
	v_dual_mov_b32 v118, v130 :: v_dual_mov_b32 v119, v131
	v_dual_mov_b32 v120, v132 :: v_dual_mov_b32 v121, v133
	;; [unrolled: 1-line block ×24, first 2 shown]
	v_mov_b32_e32 v22, v84
	v_dual_mov_b32 v22, v38 :: v_dual_mov_b32 v25, v87
	v_dual_mov_b32 v16, v78 :: v_dual_mov_b32 v19, v81
	;; [unrolled: 1-line block ×18, first 2 shown]
	v_mov_b32_e32 v35, v73
	v_dual_mov_b32 v34, v37 :: v_dual_mov_b32 v155, v143
	v_dual_mov_b32 v36, v74 :: v_dual_mov_b32 v157, v145
	;; [unrolled: 1-line block ×12, first 2 shown]
	v_mov_b32_e32 v55, v54
.LBB143_87:
	s_or_b32 exec_lo, exec_lo, s2
	v_mov_b32_e32 v40, v6
	s_mov_b32 s2, exec_lo
	v_cmpx_lt_f32_e32 v39, v6
	s_cbranch_execz .LBB143_89
; %bb.88:
	v_mov_b32_e32 v163, v56
	v_dual_mov_b32 v75, v159 :: v_dual_mov_b32 v80, v164
	v_dual_mov_b32 v80, v55 :: v_dual_mov_b32 v81, v165
	v_dual_mov_b32 v151, v68 :: v_dual_mov_b32 v78, v162
	v_dual_mov_b32 v87, v147 :: v_dual_mov_b32 v90, v150
	v_dual_mov_b32 v77, v161 :: v_dual_mov_b32 v82, v166
	v_dual_mov_b32 v79, v163 :: v_dual_mov_b32 v84, v168
	v_dual_mov_b32 v83, v167 :: v_dual_mov_b32 v86, v170
	v_mov_b32_e32 v85, v169
	v_dual_mov_b32 v89, v149 :: v_dual_mov_b32 v92, v152
	v_dual_mov_b32 v91, v151 :: v_dual_mov_b32 v94, v154
	;; [unrolled: 1-line block ×6, first 2 shown]
	v_mov_b32_e32 v88, v148
	v_mov_b32_e32 v6, v39
	s_delay_alu instid0(VALU_DEP_3) | instskip(NEXT) | instid1(VALU_DEP_3)
	v_dual_mov_b32 v13, v75 :: v_dual_mov_b32 v14, v76
	v_dual_mov_b32 v25, v87 :: v_dual_mov_b32 v26, v88
	;; [unrolled: 1-line block ×30, first 2 shown]
	v_mov_b32_e32 v40, v39
	v_mov_b32_e32 v68, v67
	;; [unrolled: 1-line block ×3, first 2 shown]
.LBB143_89:
	s_or_b32 exec_lo, exec_lo, s2
	v_mov_b32_e32 v39, v7
	s_mov_b32 s2, exec_lo
	v_cmpx_lt_f32_e32 v40, v7
	s_cbranch_execz .LBB143_91
; %bb.90:
	v_mov_b32_e32 v116, v57
	v_dual_mov_b32 v6, v7 :: v_dual_mov_b32 v7, v40
	v_dual_mov_b32 v104, v69 :: v_dual_mov_b32 v13, v111
	v_mov_b32_e32 v22, v120
	v_dual_mov_b32 v22, v38 :: v_dual_mov_b32 v25, v99
	v_mov_b32_e32 v34, v108
	v_dual_mov_b32 v34, v37 :: v_dual_mov_b32 v87, v99
	v_dual_mov_b32 v16, v114 :: v_dual_mov_b32 v19, v117
	;; [unrolled: 1-line block ×12, first 2 shown]
	v_mov_b32_e32 v23, v61
	v_dual_mov_b32 v21, v59 :: v_dual_mov_b32 v24, v62
	v_dual_mov_b32 v27, v101 :: v_dual_mov_b32 v26, v100
	v_dual_mov_b32 v29, v103 :: v_dual_mov_b32 v32, v70
	v_mov_b32_e32 v35, v73
	v_dual_mov_b32 v33, v71 :: v_dual_mov_b32 v36, v74
	v_dual_mov_b32 v89, v101 :: v_dual_mov_b32 v88, v100
	;; [unrolled: 1-line block ×9, first 2 shown]
	v_mov_b32_e32 v39, v40
	v_mov_b32_e32 v69, v68
	v_dual_mov_b32 v57, v56 :: v_dual_mov_b32 v94, v106
	v_dual_mov_b32 v97, v109 :: v_dual_mov_b32 v82, v118
	;; [unrolled: 1-line block ×3, first 2 shown]
.LBB143_91:
	s_or_b32 exec_lo, exec_lo, s2
	v_mov_b32_e32 v40, v8
	s_mov_b32 s2, exec_lo
	v_cmpx_lt_f32_e32 v39, v8
	s_cbranch_execz .LBB143_93
; %bb.92:
	v_dual_mov_b32 v81, v58 :: v_dual_mov_b32 v82, v57
	v_dual_mov_b32 v83, v59 :: v_dual_mov_b32 v84, v38
	;; [unrolled: 1-line block ×19, first 2 shown]
	v_mov_b32_e32 v40, v39
.LBB143_93:
	s_or_b32 exec_lo, exec_lo, s2
	s_delay_alu instid0(VALU_DEP_1)
	v_cmp_lt_f32_e32 vcc_lo, v40, v9
	v_dual_mov_b32 v38, v2 :: v_dual_mov_b32 v41, v5
	v_dual_mov_b32 v42, v6 :: v_dual_mov_b32 v47, v11
	v_dual_cndmask_b32 v145, v33, v32 :: v_dual_cndmask_b32 v32, v32, v33
	v_dual_cndmask_b32 v146, v21, v20 :: v_dual_mov_b32 v39, v3
	v_dual_cndmask_b32 v20, v20, v21 :: v_dual_cndmask_b32 v45, v9, v40
	v_dual_cndmask_b32 v44, v8, v9 :: v_dual_mov_b32 v37, v1
	v_dual_mov_b32 v40, v4 :: v_dual_mov_b32 v43, v7
	v_mov_b32_e32 v46, v10
	v_mov_b32_e32 v48, v12
	s_mov_b32 s2, exec_lo
	v_cmpx_lt_f32_e32 v1, v2
	s_cbranch_execz .LBB143_95
; %bb.94:
	v_dual_mov_b32 v49, v38 :: v_dual_mov_b32 v50, v37
	v_dual_mov_b32 v51, v39 :: v_dual_mov_b32 v52, v40
	;; [unrolled: 1-line block ×6, first 2 shown]
	v_mov_b32_e32 v3, v25
	v_mov_b32_e32 v4, v13
	v_dual_mov_b32 v37, v49 :: v_dual_mov_b32 v40, v52
	v_swap_b32 v25, v26
	v_swap_b32 v13, v14
	v_dual_mov_b32 v38, v50 :: v_dual_mov_b32 v39, v51
	v_dual_mov_b32 v41, v53 :: v_dual_mov_b32 v42, v54
	;; [unrolled: 1-line block ×5, first 2 shown]
	v_mov_b32_e32 v2, v1
.LBB143_95:
	s_or_b32 exec_lo, exec_lo, s2
	v_mov_b32_e32 v21, v146
	v_dual_mov_b32 v33, v145 :: v_dual_mov_b32 v60, v24
	v_dual_mov_b32 v72, v36 :: v_dual_mov_b32 v61, v25
	;; [unrolled: 1-line block ×43, first 2 shown]
	v_mov_b32_e32 v97, v13
	v_mov_b32_e32 v1, v39
	s_mov_b32 s2, exec_lo
	v_dual_mov_b32 v95, v35 :: v_dual_mov_b32 v94, v34
	v_dual_mov_b32 v93, v33 :: v_dual_mov_b32 v92, v32
	;; [unrolled: 1-line block ×5, first 2 shown]
	v_cmpx_lt_f32_e32 v2, v39
	s_cbranch_execz .LBB143_97
; %bb.96:
	v_dual_mov_b32 v108, v24 :: v_dual_mov_b32 v107, v23
	v_dual_mov_b32 v98, v14 :: v_dual_mov_b32 v97, v13
	v_mov_b32_e32 v98, v15
	v_dual_mov_b32 v104, v20 :: v_dual_mov_b32 v103, v19
	v_dual_mov_b32 v100, v16 :: v_dual_mov_b32 v99, v15
	v_dual_mov_b32 v120, v36 :: v_dual_mov_b32 v119, v35
	v_dual_mov_b32 v102, v18 :: v_dual_mov_b32 v101, v17
	v_dual_mov_b32 v99, v14 :: v_dual_mov_b32 v112, v28
	v_dual_mov_b32 v111, v27 :: v_dual_mov_b32 v110, v26
	v_dual_mov_b32 v109, v25 :: v_dual_mov_b32 v106, v22
	v_dual_mov_b32 v105, v21 :: v_dual_mov_b32 v118, v34
	v_dual_mov_b32 v117, v33 :: v_dual_mov_b32 v116, v32
	v_dual_mov_b32 v115, v31 :: v_dual_mov_b32 v114, v30
	v_dual_mov_b32 v113, v29 :: v_dual_mov_b32 v110, v27
	v_dual_mov_b32 v111, v26 :: v_dual_mov_b32 v144, v108
	v_dual_mov_b32 v143, v107 :: v_dual_mov_b32 v134, v98
	v_dual_mov_b32 v133, v97 :: v_dual_mov_b32 v140, v104
	v_dual_mov_b32 v139, v103 :: v_dual_mov_b32 v132, v120
	v_dual_mov_b32 v129, v117 :: v_dual_mov_b32 v138, v102
	v_dual_mov_b32 v137, v101 :: v_dual_mov_b32 v136, v100
	v_dual_mov_b32 v135, v99 :: v_dual_mov_b32 v124, v112
	v_dual_mov_b32 v121, v109 :: v_dual_mov_b32 v142, v106
	v_dual_mov_b32 v141, v105 :: v_dual_mov_b32 v136, v16
	v_dual_mov_b32 v131, v119 :: v_dual_mov_b32 v130, v118
	v_dual_mov_b32 v127, v115 :: v_dual_mov_b32 v128, v116
	v_dual_mov_b32 v125, v113 :: v_dual_mov_b32 v126, v114
	v_dual_mov_b32 v123, v111 :: v_dual_mov_b32 v124, v28
	v_dual_mov_b32 v122, v110 :: v_dual_mov_b32 v73, v133
	v_dual_mov_b32 v80, v140 :: v_dual_mov_b32 v83, v143
	v_mov_b32_e32 v84, v144
	v_dual_mov_b32 v74, v134 :: v_dual_mov_b32 v77, v137
	v_mov_b32_e32 v75, v135
	v_dual_mov_b32 v38, v39 :: v_dual_mov_b32 v85, v121
	v_dual_mov_b32 v76, v136 :: v_dual_mov_b32 v79, v139
	;; [unrolled: 1-line block ×10, first 2 shown]
	v_mov_b32_e32 v39, v2
	v_dual_mov_b32 v49, v73 :: v_dual_mov_b32 v50, v74
	v_dual_mov_b32 v59, v83 :: v_dual_mov_b32 v60, v84
	;; [unrolled: 1-line block ×18, first 2 shown]
	v_mov_b32_e32 v70, v34
	v_dual_mov_b32 v72, v36 :: v_dual_mov_b32 v1, v2
	v_mov_b32_e32 v27, v26
	v_mov_b32_e32 v15, v14
.LBB143_97:
	s_or_b32 exec_lo, exec_lo, s2
	v_mov_b32_e32 v2, v40
	s_mov_b32 s2, exec_lo
	v_cmpx_lt_f32_e32 v1, v40
	s_cbranch_execz .LBB143_99
; %bb.98:
	v_mov_b32_e32 v99, v16
	v_mov_b32_e32 v144, v108
	;; [unrolled: 1-line block ×3, first 2 shown]
	v_dual_mov_b32 v136, v15 :: v_dual_mov_b32 v111, v28
	v_dual_mov_b32 v142, v106 :: v_dual_mov_b32 v133, v97
	;; [unrolled: 1-line block ×4, first 2 shown]
	v_mov_b32_e32 v135, v99
	v_dual_mov_b32 v125, v113 :: v_dual_mov_b32 v124, v112
	v_mov_b32_e32 v143, v107
	v_dual_mov_b32 v141, v105 :: v_dual_mov_b32 v140, v104
	v_dual_mov_b32 v139, v103 :: v_dual_mov_b32 v138, v102
	;; [unrolled: 1-line block ×18, first 2 shown]
	v_mov_b32_e32 v95, v131
	v_dual_mov_b32 v89, v29 :: v_dual_mov_b32 v88, v124
	v_dual_mov_b32 v49, v73 :: v_dual_mov_b32 v54, v78
	v_mov_b32_e32 v50, v74
	v_dual_mov_b32 v52, v76 :: v_dual_mov_b32 v61, v85
	s_delay_alu instid0(VALU_DEP_4)
	v_dual_mov_b32 v64, v88 :: v_dual_mov_b32 v51, v75
	v_dual_mov_b32 v56, v80 :: v_dual_mov_b32 v53, v77
	;; [unrolled: 1-line block ×12, first 2 shown]
	v_mov_b32_e32 v58, v22
	v_dual_mov_b32 v57, v146 :: v_dual_mov_b32 v60, v24
	v_dual_mov_b32 v59, v23 :: v_dual_mov_b32 v62, v86
	;; [unrolled: 1-line block ×5, first 2 shown]
	v_mov_b32_e32 v2, v1
	v_mov_b32_e32 v28, v27
	;; [unrolled: 1-line block ×3, first 2 shown]
.LBB143_99:
	s_or_b32 exec_lo, exec_lo, s2
	v_mov_b32_e32 v1, v41
	s_mov_b32 s2, exec_lo
	v_cmpx_lt_f32_e32 v2, v41
	s_cbranch_execz .LBB143_101
; %bb.100:
	v_mov_b32_e32 v100, v17
	v_mov_b32_e32 v73, v97
	;; [unrolled: 1-line block ×3, first 2 shown]
	v_dual_mov_b32 v77, v16 :: v_dual_mov_b32 v78, v102
	v_dual_mov_b32 v112, v29 :: v_dual_mov_b32 v75, v99
	;; [unrolled: 1-line block ×3, first 2 shown]
	v_mov_b32_e32 v84, v108
	v_dual_mov_b32 v74, v98 :: v_dual_mov_b32 v85, v109
	v_mov_b32_e32 v86, v110
	v_dual_mov_b32 v76, v100 :: v_dual_mov_b32 v79, v103
	v_dual_mov_b32 v80, v104 :: v_dual_mov_b32 v81, v105
	v_dual_mov_b32 v40, v41 :: v_dual_mov_b32 v87, v111
	v_dual_mov_b32 v41, v2 :: v_dual_mov_b32 v88, v112
	v_dual_mov_b32 v89, v113 :: v_dual_mov_b32 v90, v114
	v_dual_mov_b32 v91, v115 :: v_dual_mov_b32 v92, v116
	v_dual_mov_b32 v93, v117 :: v_dual_mov_b32 v94, v118
	v_dual_mov_b32 v95, v119 :: v_dual_mov_b32 v96, v120
	v_mov_b32_e32 v49, v73
	v_dual_mov_b32 v89, v28 :: v_dual_mov_b32 v50, v74
	v_dual_mov_b32 v59, v83 :: v_dual_mov_b32 v60, v84
	;; [unrolled: 1-line block ×32, first 2 shown]
	v_mov_b32_e32 v17, v16
.LBB143_101:
	s_or_b32 exec_lo, exec_lo, s2
	v_mov_b32_e32 v2, v42
	s_mov_b32 s2, exec_lo
	v_cmpx_lt_f32_e32 v1, v42
	s_cbranch_execz .LBB143_103
; %bb.102:
	v_mov_b32_e32 v137, v18
	v_mov_b32_e32 v125, v30
	v_dual_mov_b32 v41, v42 :: v_dual_mov_b32 v42, v1
	v_dual_mov_b32 v49, v133 :: v_dual_mov_b32 v50, v134
	;; [unrolled: 1-line block ×13, first 2 shown]
	v_mov_b32_e32 v66, v29
	v_dual_mov_b32 v85, v121 :: v_dual_mov_b32 v86, v122
	v_dual_mov_b32 v73, v133 :: v_dual_mov_b32 v74, v134
	;; [unrolled: 1-line block ×4, first 2 shown]
	v_mov_b32_e32 v64, v124
	v_dual_mov_b32 v58, v22 :: v_dual_mov_b32 v59, v23
	v_dual_mov_b32 v67, v31 :: v_dual_mov_b32 v68, v32
	;; [unrolled: 1-line block ×8, first 2 shown]
	v_mov_b32_e32 v2, v1
	v_mov_b32_e32 v30, v29
	v_dual_mov_b32 v18, v17 :: v_dual_mov_b32 v91, v127
	v_dual_mov_b32 v92, v128 :: v_dual_mov_b32 v93, v129
	;; [unrolled: 1-line block ×6, first 2 shown]
	v_mov_b32_e32 v84, v144
.LBB143_103:
	s_or_b32 exec_lo, exec_lo, s2
	v_mov_b32_e32 v1, v43
	s_mov_b32 s2, exec_lo
	v_cmpx_lt_f32_e32 v2, v43
	s_cbranch_execz .LBB143_105
; %bb.104:
	v_dual_mov_b32 v94, v34 :: v_dual_mov_b32 v95, v35
	v_dual_mov_b32 v78, v19 :: v_dual_mov_b32 v79, v18
	;; [unrolled: 1-line block ×6, first 2 shown]
	v_mov_b32_e32 v96, v36
	v_dual_mov_b32 v42, v43 :: v_dual_mov_b32 v43, v2
	v_dual_mov_b32 v84, v24 :: v_dual_mov_b32 v61, v85
	;; [unrolled: 1-line block ×14, first 2 shown]
.LBB143_105:
	s_or_b32 exec_lo, exec_lo, s2
	s_delay_alu instid0(VALU_DEP_1)
	v_cmp_lt_f32_e32 vcc_lo, v1, v44
	v_dual_mov_b32 v3, v39 :: v_dual_mov_b32 v10, v46
	v_dual_mov_b32 v5, v41 :: v_dual_mov_b32 v12, v48
	v_dual_cndmask_b32 v121, v68, v67 :: v_dual_mov_b32 v2, v38
	v_dual_cndmask_b32 v67, v67, v68 :: v_dual_cndmask_b32 v122, v56, v55
	v_dual_cndmask_b32 v55, v55, v56 :: v_dual_cndmask_b32 v8, v44, v1
	v_dual_cndmask_b32 v7, v43, v44 :: v_dual_mov_b32 v4, v40
	v_dual_mov_b32 v1, v37 :: v_dual_mov_b32 v6, v42
	v_mov_b32_e32 v9, v45
	v_mov_b32_e32 v11, v47
	s_mov_b32 s2, exec_lo
	v_cmpx_lt_f32_e32 v37, v38
	s_cbranch_execz .LBB143_107
; %bb.106:
	v_dual_mov_b32 v13, v2 :: v_dual_mov_b32 v14, v1
	v_dual_mov_b32 v15, v3 :: v_dual_mov_b32 v16, v4
	;; [unrolled: 1-line block ×6, first 2 shown]
	v_mov_b32_e32 v25, v61
	v_mov_b32_e32 v26, v49
	v_dual_mov_b32 v1, v13 :: v_dual_mov_b32 v4, v16
	v_swap_b32 v61, v62
	v_swap_b32 v49, v50
	v_dual_mov_b32 v2, v14 :: v_dual_mov_b32 v3, v15
	v_dual_mov_b32 v5, v17 :: v_dual_mov_b32 v6, v18
	;; [unrolled: 1-line block ×5, first 2 shown]
	v_mov_b32_e32 v38, v37
.LBB143_107:
	s_or_b32 exec_lo, exec_lo, s2
	v_mov_b32_e32 v56, v122
	v_mov_b32_e32 v68, v121
	;; [unrolled: 1-line block ×3, first 2 shown]
	v_dual_mov_b32 v27, v51 :: v_dual_mov_b32 v84, v72
	v_mov_b32_e32 v81, v69
	v_dual_mov_b32 v83, v71 :: v_dual_mov_b32 v96, v60
	v_dual_mov_b32 v91, v55 :: v_dual_mov_b32 v120, v72
	;; [unrolled: 1-line block ×31, first 2 shown]
	v_mov_b32_e32 v24, v60
	s_mov_b32 s2, exec_lo
	v_dual_mov_b32 v118, v70 :: v_dual_mov_b32 v115, v67
	v_dual_mov_b32 v116, v68 :: v_dual_mov_b32 v113, v65
	;; [unrolled: 1-line block ×3, first 2 shown]
	v_cmpx_lt_f32_e32 v38, v3
	s_cbranch_execz .LBB143_109
; %bb.108:
	v_dual_mov_b32 v13, v49 :: v_dual_mov_b32 v14, v50
	v_dual_mov_b32 v23, v59 :: v_dual_mov_b32 v24, v60
	;; [unrolled: 1-line block ×30, first 2 shown]
	v_mov_b32_e32 v112, v64
	v_dual_mov_b32 v34, v94 :: v_dual_mov_b32 v35, v95
	v_dual_mov_b32 v35, v59 :: v_dual_mov_b32 v34, v58
	;; [unrolled: 1-line block ×15, first 2 shown]
	v_mov_b32_e32 v81, v69
	v_dual_mov_b32 v80, v121 :: v_dual_mov_b32 v83, v71
	v_mov_b32_e32 v82, v70
	v_dual_mov_b32 v84, v72 :: v_dual_mov_b32 v37, v38
	v_mov_b32_e32 v63, v62
	v_mov_b32_e32 v51, v50
.LBB143_109:
	s_or_b32 exec_lo, exec_lo, s2
	v_mov_b32_e32 v38, v4
	s_mov_b32 s2, exec_lo
	v_cmpx_lt_f32_e32 v37, v4
	s_cbranch_execz .LBB143_111
; %bb.110:
	v_mov_b32_e32 v15, v52
	v_mov_b32_e32 v96, v24
	;; [unrolled: 1-line block ×3, first 2 shown]
	v_dual_mov_b32 v88, v51 :: v_dual_mov_b32 v99, v64
	v_dual_mov_b32 v94, v22 :: v_dual_mov_b32 v85, v13
	;; [unrolled: 1-line block ×3, first 2 shown]
	v_mov_b32_e32 v95, v23
	v_dual_mov_b32 v93, v21 :: v_dual_mov_b32 v92, v20
	v_dual_mov_b32 v91, v19 :: v_dual_mov_b32 v90, v18
	v_dual_mov_b32 v89, v17 :: v_dual_mov_b32 v86, v14
	v_dual_mov_b32 v119, v107 :: v_dual_mov_b32 v118, v106
	v_dual_mov_b32 v117, v105 :: v_dual_mov_b32 v116, v104
	v_dual_mov_b32 v115, v103 :: v_dual_mov_b32 v114, v102
	v_dual_mov_b32 v113, v101 :: v_dual_mov_b32 v112, v100
	v_mov_b32_e32 v87, v15
	v_dual_mov_b32 v111, v99 :: v_dual_mov_b32 v110, v98
	v_dual_mov_b32 v112, v63 :: v_dual_mov_b32 v25, v85
	;; [unrolled: 1-line block ×3, first 2 shown]
	s_delay_alu instid0(VALU_DEP_3)
	v_dual_mov_b32 v74, v110 :: v_dual_mov_b32 v29, v89
	v_dual_mov_b32 v30, v90 :: v_dual_mov_b32 v31, v91
	;; [unrolled: 1-line block ×8, first 2 shown]
	v_mov_b32_e32 v84, v120
	v_dual_mov_b32 v3, v4 :: v_dual_mov_b32 v4, v37
	v_dual_mov_b32 v27, v87 :: v_dual_mov_b32 v28, v88
	;; [unrolled: 1-line block ×11, first 2 shown]
	v_mov_b32_e32 v38, v37
	v_mov_b32_e32 v64, v63
	;; [unrolled: 1-line block ×3, first 2 shown]
.LBB143_111:
	s_or_b32 exec_lo, exec_lo, s2
	v_mov_b32_e32 v16, v5
	s_mov_b32 s2, exec_lo
	v_cmpx_lt_f32_e32 v38, v5
	s_cbranch_execz .LBB143_113
; %bb.112:
	v_mov_b32_e32 v100, v65
	v_mov_b32_e32 v16, v53
	v_dual_mov_b32 v4, v5 :: v_dual_mov_b32 v5, v38
	v_dual_mov_b32 v36, v24 :: v_dual_mov_b32 v33, v21
	;; [unrolled: 1-line block ×3, first 2 shown]
	v_mov_b32_e32 v31, v19
	v_dual_mov_b32 v35, v59 :: v_dual_mov_b32 v34, v58
	v_dual_mov_b32 v73, v97 :: v_dual_mov_b32 v32, v20
	;; [unrolled: 1-line block ×8, first 2 shown]
	v_mov_b32_e32 v77, v64
	v_dual_mov_b32 v84, v108 :: v_dual_mov_b32 v79, v67
	v_dual_mov_b32 v120, v108 :: v_dual_mov_b32 v115, v103
	;; [unrolled: 1-line block ×19, first 2 shown]
	v_mov_b32_e32 v88, v16
	v_dual_mov_b32 v86, v14 :: v_dual_mov_b32 v65, v64
	v_dual_mov_b32 v16, v38 :: v_dual_mov_b32 v53, v52
	;; [unrolled: 1-line block ×3, first 2 shown]
.LBB143_113:
	s_or_b32 exec_lo, exec_lo, s2
	v_mov_b32_e32 v13, v6
	s_mov_b32 s2, exec_lo
	v_cmpx_lt_f32_e32 v16, v6
	s_cbranch_execz .LBB143_115
; %bb.114:
	v_dual_mov_b32 v89, v54 :: v_dual_mov_b32 v90, v53
	v_dual_mov_b32 v91, v55 :: v_dual_mov_b32 v92, v122
	;; [unrolled: 1-line block ×21, first 2 shown]
	v_mov_b32_e32 v13, v16
.LBB143_115:
	s_or_b32 exec_lo, exec_lo, s2
	s_delay_alu instid0(VALU_DEP_1)
	v_cmp_lt_f32_e32 vcc_lo, v13, v7
	v_dual_mov_b32 v14, v2 :: v_dual_mov_b32 v17, v5
	v_dual_mov_b32 v16, v4 :: v_dual_mov_b32 v21, v9
	v_dual_cndmask_b32 v37, v79, v78 :: v_dual_cndmask_b32 v78, v78, v79
	v_cndmask_b32_e32 v38, v31, v30, vcc_lo
	v_dual_cndmask_b32 v30, v30, v31 :: v_dual_cndmask_b32 v19, v7, v13
	v_dual_cndmask_b32 v18, v6, v7 :: v_dual_mov_b32 v15, v3
	v_dual_mov_b32 v13, v1 :: v_dual_mov_b32 v20, v8
	v_dual_mov_b32 v23, v11 :: v_dual_mov_b32 v22, v10
	v_mov_b32_e32 v24, v12
	s_mov_b32 s2, exec_lo
	v_cmpx_lt_f32_e32 v1, v2
	s_cbranch_execz .LBB143_117
; %bb.116:
	v_dual_mov_b32 v2, v14 :: v_dual_mov_b32 v3, v13
	v_dual_mov_b32 v12, v23 :: v_dual_mov_b32 v13, v24
	;; [unrolled: 1-line block ×6, first 2 shown]
	v_mov_b32_e32 v24, v13
	v_mov_b32_e32 v31, v73
	v_dual_mov_b32 v39, v25 :: v_dual_mov_b32 v18, v7
	v_swap_b32 v73, v74
	v_swap_b32 v25, v26
	v_dual_mov_b32 v23, v12 :: v_dual_mov_b32 v20, v9
	v_dual_mov_b32 v22, v11 :: v_dual_mov_b32 v21, v10
	v_dual_mov_b32 v16, v5 :: v_dual_mov_b32 v19, v8
	v_dual_mov_b32 v14, v3 :: v_dual_mov_b32 v17, v6
	v_mov_b32_e32 v15, v4
	v_dual_mov_b32 v13, v2 :: v_dual_mov_b32 v2, v1
.LBB143_117:
	s_or_b32 exec_lo, exec_lo, s2
	v_mov_b32_e32 v31, v38
	v_dual_mov_b32 v79, v37 :: v_dual_mov_b32 v50, v36
	v_dual_mov_b32 v51, v73 :: v_dual_mov_b32 v52, v74
	;; [unrolled: 1-line block ×24, first 2 shown]
	v_mov_b32_e32 v85, v25
	v_mov_b32_e32 v1, v15
	s_mov_b32 s2, exec_lo
	v_cmpx_lt_f32_e32 v2, v15
	s_cbranch_execz .LBB143_119
; %bb.118:
	v_dual_mov_b32 v96, v36 :: v_dual_mov_b32 v95, v35
	v_dual_mov_b32 v86, v26 :: v_dual_mov_b32 v85, v25
	;; [unrolled: 1-line block ×8, first 2 shown]
	v_mov_b32_e32 v105, v81
	v_dual_mov_b32 v43, v89 :: v_dual_mov_b32 v44, v90
	v_dual_mov_b32 v100, v76 :: v_dual_mov_b32 v97, v73
	;; [unrolled: 1-line block ×6, first 2 shown]
	v_mov_b32_e32 v98, v74
	v_dual_mov_b32 v98, v75 :: v_dual_mov_b32 v99, v74
	v_dual_mov_b32 v49, v95 :: v_dual_mov_b32 v50, v96
	;; [unrolled: 1-line block ×12, first 2 shown]
	v_mov_b32_e32 v40, v86
	v_dual_mov_b32 v42, v28 :: v_dual_mov_b32 v43, v29
	v_dual_mov_b32 v45, v38 :: v_dual_mov_b32 v46, v32
	;; [unrolled: 1-line block ×9, first 2 shown]
	v_mov_b32_e32 v75, v74
	v_mov_b32_e32 v27, v26
.LBB143_119:
	s_or_b32 exec_lo, exec_lo, s2
	v_mov_b32_e32 v2, v16
	s_mov_b32 s2, exec_lo
	v_cmpx_lt_f32_e32 v1, v16
	s_cbranch_execz .LBB143_121
; %bb.120:
	v_mov_b32_e32 v87, v28
	v_mov_b32_e32 v99, v76
	v_dual_mov_b32 v15, v16 :: v_dual_mov_b32 v16, v1
	v_dual_mov_b32 v39, v85 :: v_dual_mov_b32 v42, v88
	;; [unrolled: 1-line block ×13, first 2 shown]
	v_mov_b32_e32 v56, v78
	v_mov_b32_e32 v40, v86
	v_dual_mov_b32 v42, v27 :: v_dual_mov_b32 v43, v29
	v_dual_mov_b32 v45, v38 :: v_dual_mov_b32 v46, v32
	;; [unrolled: 1-line block ×8, first 2 shown]
	v_mov_b32_e32 v2, v1
	v_mov_b32_e32 v76, v75
	;; [unrolled: 1-line block ×3, first 2 shown]
.LBB143_121:
	s_or_b32 exec_lo, exec_lo, s2
	v_mov_b32_e32 v1, v17
	s_mov_b32 s2, exec_lo
	v_cmpx_lt_f32_e32 v2, v17
	s_cbranch_execz .LBB143_123
; %bb.122:
	v_dual_mov_b32 v106, v82 :: v_dual_mov_b32 v107, v83
	v_dual_mov_b32 v88, v29 :: v_dual_mov_b32 v89, v28
	;; [unrolled: 1-line block ×8, first 2 shown]
	v_mov_b32_e32 v108, v84
	v_dual_mov_b32 v16, v17 :: v_dual_mov_b32 v17, v2
	v_dual_mov_b32 v96, v36 :: v_dual_mov_b32 v51, v97
	;; [unrolled: 1-line block ×14, first 2 shown]
.LBB143_123:
	s_or_b32 exec_lo, exec_lo, s2
	s_delay_alu instid0(VALU_DEP_1)
	v_cmp_lt_f32_e32 vcc_lo, v1, v18
	v_dual_mov_b32 v27, v13 :: v_dual_mov_b32 v34, v20
	v_dual_mov_b32 v29, v15 :: v_dual_mov_b32 v36, v22
	v_dual_cndmask_b32 v63, v56, v55 :: v_dual_cndmask_b32 v32, v18, v1
	v_dual_cndmask_b32 v55, v55, v56 :: v_dual_cndmask_b32 v64, v44, v43
	v_dual_cndmask_b32 v43, v43, v44 :: v_dual_mov_b32 v28, v14
	v_dual_cndmask_b32 v31, v17, v18 :: v_dual_mov_b32 v30, v16
	v_dual_mov_b32 v33, v19 :: v_dual_mov_b32 v38, v24
	v_mov_b32_e32 v35, v21
	v_mov_b32_e32 v37, v23
	s_mov_b32 s2, exec_lo
	v_cmpx_lt_f32_e32 v13, v14
	s_cbranch_execz .LBB143_125
; %bb.124:
	s_delay_alu instid0(VALU_DEP_2)
	v_dual_mov_b32 v11, v37 :: v_dual_mov_b32 v12, v38
	v_dual_mov_b32 v1, v28 :: v_dual_mov_b32 v2, v27
	v_dual_mov_b32 v3, v29 :: v_dual_mov_b32 v4, v30
	v_dual_mov_b32 v5, v31 :: v_dual_mov_b32 v6, v32
	v_dual_mov_b32 v7, v33 :: v_dual_mov_b32 v8, v34
	v_dual_mov_b32 v9, v35 :: v_dual_mov_b32 v10, v36
	v_dual_mov_b32 v15, v51 :: v_dual_mov_b32 v38, v12
	s_delay_alu instid0(VALU_DEP_2)
	v_dual_mov_b32 v16, v39 :: v_dual_mov_b32 v35, v9
	v_swap_b32 v51, v52
	v_swap_b32 v39, v40
	v_dual_mov_b32 v37, v11 :: v_dual_mov_b32 v36, v10
	v_dual_mov_b32 v34, v8 :: v_dual_mov_b32 v33, v7
	;; [unrolled: 1-line block ×5, first 2 shown]
	v_mov_b32_e32 v14, v13
.LBB143_125:
	s_or_b32 exec_lo, exec_lo, s2
	v_mov_b32_e32 v44, v64
	v_mov_b32_e32 v56, v63
	;; [unrolled: 1-line block ×4, first 2 shown]
	v_dual_mov_b32 v15, v51 :: v_dual_mov_b32 v2, v40
	v_dual_mov_b32 v16, v52 :: v_dual_mov_b32 v17, v53
	;; [unrolled: 1-line block ×11, first 2 shown]
	v_mov_b32_e32 v12, v50
	s_mov_b32 s2, exec_lo
	v_cmpx_lt_f32_e32 v14, v29
	s_cbranch_execz .LBB143_127
; %bb.126:
	v_dual_mov_b32 v1, v39 :: v_dual_mov_b32 v2, v40
	v_dual_mov_b32 v11, v49 :: v_dual_mov_b32 v12, v50
	;; [unrolled: 1-line block ×25, first 2 shown]
	v_mov_b32_e32 v41, v40
.LBB143_127:
	s_or_b32 exec_lo, exec_lo, s2
	v_mov_b32_e32 v39, v30
	s_mov_b32 s2, exec_lo
	v_cmpx_lt_f32_e32 v13, v30
	s_cbranch_execz .LBB143_129
; %bb.128:
	v_dual_mov_b32 v29, v30 :: v_dual_mov_b32 v30, v13
	v_dual_mov_b32 v3, v42 :: v_dual_mov_b32 v4, v41
	;; [unrolled: 1-line block ×11, first 2 shown]
	v_mov_b32_e32 v39, v13
.LBB143_129:
	s_or_b32 exec_lo, exec_lo, s2
	s_delay_alu instid0(VALU_DEP_1)
	v_cmp_lt_f32_e32 vcc_lo, v39, v31
	v_dual_mov_b32 v40, v28 :: v_dual_mov_b32 v45, v33
	v_dual_mov_b32 v44, v32 :: v_dual_mov_b32 v47, v35
	v_dual_cndmask_b32 v13, v19, v18 :: v_dual_cndmask_b32 v18, v18, v19
	v_dual_cndmask_b32 v14, v5, v4 :: v_dual_cndmask_b32 v43, v31, v39
	v_dual_cndmask_b32 v4, v4, v5 :: v_dual_mov_b32 v39, v27
	v_dual_cndmask_b32 v42, v30, v31 :: v_dual_mov_b32 v41, v29
	v_dual_mov_b32 v46, v34 :: v_dual_mov_b32 v49, v37
	v_mov_b32_e32 v48, v36
	v_mov_b32_e32 v50, v38
	s_mov_b32 s2, exec_lo
	v_cmpx_lt_f32_e32 v27, v28
	s_cbranch_execz .LBB143_131
; %bb.130:
	v_dual_mov_b32 v28, v40 :: v_dual_mov_b32 v29, v39
	v_dual_mov_b32 v38, v49 :: v_dual_mov_b32 v39, v50
	;; [unrolled: 1-line block ×7, first 2 shown]
	v_mov_b32_e32 v5, v15
	v_swap_b32 v15, v16
	s_delay_alu instid0(VALU_DEP_4)
	v_mov_b32_e32 v48, v37
	v_swap_b32 v1, v2
	v_dual_mov_b32 v49, v38 :: v_dual_mov_b32 v46, v35
	v_dual_mov_b32 v47, v36 :: v_dual_mov_b32 v44, v33
	;; [unrolled: 1-line block ×4, first 2 shown]
	v_mov_b32_e32 v41, v30
	v_dual_mov_b32 v39, v28 :: v_dual_mov_b32 v28, v27
.LBB143_131:
	s_or_b32 exec_lo, exec_lo, s2
	v_mov_b32_e32 v5, v14
	v_mov_b32_e32 v19, v13
	;; [unrolled: 1-line block ×3, first 2 shown]
	s_mov_b32 s2, exec_lo
	v_cmpx_lt_f32_e32 v28, v41
	s_cbranch_execz .LBB143_133
; %bb.132:
	v_dual_mov_b32 v74, v26 :: v_dual_mov_b32 v73, v25
	v_dual_mov_b32 v62, v12 :: v_dual_mov_b32 v61, v11
	;; [unrolled: 1-line block ×22, first 2 shown]
	v_mov_b32_e32 v74, v26
	v_dual_mov_b32 v40, v41 :: v_dual_mov_b32 v41, v28
	v_dual_mov_b32 v62, v12 :: v_dual_mov_b32 v15, v63
	;; [unrolled: 1-line block ×14, first 2 shown]
.LBB143_133:
	s_or_b32 exec_lo, exec_lo, s2
	s_delay_alu instid0(VALU_DEP_1)
	v_cmp_lt_f32_e32 vcc_lo, v27, v42
	v_dual_mov_b32 v29, v24 :: v_dual_mov_b32 v32, v5
	v_dual_mov_b32 v31, v26 :: v_dual_mov_b32 v34, v7
	v_dual_cndmask_b32 v13, v18, v17 :: v_dual_cndmask_b32 v14, v4, v3
	v_cndmask_b32_e32 v51, v17, v18, vcc_lo
	v_dual_cndmask_b32 v59, v3, v4 :: v_dual_cndmask_b32 v60, v41, v42
	v_dual_cndmask_b32 v3, v42, v27 :: v_dual_mov_b32 v18, v21
	v_cmp_lt_f32_e32 vcc_lo, v39, v40
	v_dual_mov_b32 v4, v19 :: v_dual_mov_b32 v17, v20
	v_dual_mov_b32 v28, v23 :: v_dual_mov_b32 v27, v22
	;; [unrolled: 1-line block ×7, first 2 shown]
	v_mov_b32_e32 v58, v50
	v_dual_mov_b32 v52, v44 :: v_dual_mov_b32 v53, v45
	v_dual_mov_b32 v55, v47 :: v_dual_mov_b32 v56, v48
	v_mov_b32_e32 v57, v49
	s_and_saveexec_b32 s2, vcc_lo
	s_cbranch_execz .LBB143_135
; %bb.134:
	v_dual_mov_b32 v42, v40 :: v_dual_mov_b32 v27, v22
	v_dual_mov_b32 v4, v15 :: v_dual_mov_b32 v17, v20
	;; [unrolled: 1-line block ×3, first 2 shown]
	v_swap_b32 v15, v16
	v_swap_b32 v1, v2
	v_dual_mov_b32 v40, v39 :: v_dual_mov_b32 v29, v24
	v_dual_mov_b32 v4, v19 :: v_dual_mov_b32 v31, v26
	;; [unrolled: 1-line block ×10, first 2 shown]
	v_mov_b32_e32 v52, v44
	v_mov_b32_e32 v54, v46
	;; [unrolled: 1-line block ×4, first 2 shown]
.LBB143_135:
	s_or_b32 exec_lo, exec_lo, s2
	s_clause 0x1
	s_load_b32 s8, s[0:1], 0x28
	s_load_b128 s[4:7], s[0:1], 0x10
	v_mov_b32_e32 v6, 0
	s_waitcnt lgkmcnt(0)
	s_cmp_lt_i32 s8, 1
	s_cbranch_scc1 .LBB143_141
; %bb.136:
	v_cmp_lt_f32_e32 vcc_lo, v40, v60
	v_mov_b32_e32 v7, 0
	s_mov_b32 s9, 0x76543210
	s_mov_b32 s10, s8
	v_mov_b32_e32 v6, 0
	v_cndmask_b32_e32 v8, v60, v40, vcc_lo
	v_cndmask_b32_e32 v19, v61, v60, vcc_lo
	v_dual_cndmask_b32 v5, v59, v2 :: v_dual_cndmask_b32 v2, v2, v59
	v_dual_cndmask_b32 v9, v51, v16 :: v_dual_cndmask_b32 v20, v16, v51
	s_delay_alu instid0(VALU_DEP_3) | instskip(NEXT) | instid1(VALU_DEP_1)
	v_cmp_lt_f32_e64 s2, v39, v19
	v_cndmask_b32_e64 v10, v2, v1, s2
	v_cndmask_b32_e64 v11, v1, v2, s2
	v_cndmask_b32_e64 v12, v19, v39, s2
	v_cndmask_b32_e64 v16, v39, v19, s2
	v_cndmask_b32_e64 v19, v20, v15, s2
	v_cndmask_b32_e64 v15, v15, v20, s2
	v_dual_mov_b32 v20, v0 :: v_dual_mov_b32 v1, 0
	v_mov_b32_e32 v2, 0
.LBB143_137:                            ; =>This Inner Loop Header: Depth=1
	v_cmp_eq_u32_e32 vcc_lo, 1, v7
	v_cmp_eq_u32_e64 s2, 2, v7
	v_dual_cndmask_b32 v21, v16, v12 :: v_dual_cndmask_b32 v22, v11, v10
	s_delay_alu instid0(VALU_DEP_1) | instskip(NEXT) | instid1(VALU_DEP_2)
	v_cndmask_b32_e64 v21, v21, v8, s2
	v_cndmask_b32_e64 v22, v22, v5, s2
	v_cndmask_b32_e32 v23, v15, v19, vcc_lo
	v_cmp_eq_u32_e32 vcc_lo, 3, v7
	s_delay_alu instid0(VALU_DEP_3) | instskip(NEXT) | instid1(VALU_DEP_3)
	v_cndmask_b32_e32 v22, v22, v14, vcc_lo
	v_cndmask_b32_e64 v23, v23, v9, s2
	v_cmp_eq_u32_e64 s2, 4, v7
	s_delay_alu instid0(VALU_DEP_2) | instskip(NEXT) | instid1(VALU_DEP_2)
	v_cndmask_b32_e32 v23, v23, v13, vcc_lo
	v_cndmask_b32_e64 v22, v22, v32, s2
	v_cndmask_b32_e32 v21, v21, v3, vcc_lo
	v_cmp_eq_u32_e32 vcc_lo, 5, v7
	s_delay_alu instid0(VALU_DEP_4) | instskip(NEXT) | instid1(VALU_DEP_4)
	v_cndmask_b32_e64 v23, v23, v4, s2
	v_cndmask_b32_e32 v22, v22, v33, vcc_lo
	s_delay_alu instid0(VALU_DEP_4) | instskip(SKIP_1) | instid1(VALU_DEP_4)
	v_cndmask_b32_e64 v21, v21, v42, s2
	v_cmp_eq_u32_e64 s2, 6, v7
	v_cndmask_b32_e32 v23, v23, v17, vcc_lo
	s_delay_alu instid0(VALU_DEP_3) | instskip(SKIP_1) | instid1(VALU_DEP_4)
	v_cndmask_b32_e32 v21, v21, v52, vcc_lo
	v_cmp_eq_u32_e32 vcc_lo, 7, v7
	v_cndmask_b32_e64 v22, v22, v34, s2
	s_delay_alu instid0(VALU_DEP_4) | instskip(NEXT) | instid1(VALU_DEP_4)
	v_cndmask_b32_e64 v23, v23, v18, s2
	v_cndmask_b32_e64 v21, v21, v53, s2
	v_cmp_eq_u32_e64 s2, 8, v7
	s_delay_alu instid0(VALU_DEP_4) | instskip(NEXT) | instid1(VALU_DEP_4)
	v_cndmask_b32_e32 v22, v22, v35, vcc_lo
	v_cndmask_b32_e32 v23, v23, v27, vcc_lo
	s_delay_alu instid0(VALU_DEP_4) | instskip(SKIP_1) | instid1(VALU_DEP_4)
	v_cndmask_b32_e32 v21, v21, v54, vcc_lo
	v_cmp_eq_u32_e32 vcc_lo, 9, v7
	v_cndmask_b32_e64 v22, v22, v36, s2
	s_delay_alu instid0(VALU_DEP_4) | instskip(NEXT) | instid1(VALU_DEP_4)
	v_cndmask_b32_e64 v23, v23, v28, s2
	v_cndmask_b32_e64 v21, v21, v55, s2
	v_cmp_eq_u32_e64 s2, 10, v7
	s_delay_alu instid0(VALU_DEP_4) | instskip(NEXT) | instid1(VALU_DEP_4)
	v_cndmask_b32_e32 v22, v22, v37, vcc_lo
	v_cndmask_b32_e32 v23, v23, v29, vcc_lo
	s_delay_alu instid0(VALU_DEP_4) | instskip(SKIP_1) | instid1(VALU_DEP_4)
	v_cndmask_b32_e32 v21, v21, v56, vcc_lo
	v_cmp_eq_u32_e32 vcc_lo, 11, v7
	v_cndmask_b32_e64 v22, v22, v38, s2
	s_delay_alu instid0(VALU_DEP_4) | instskip(NEXT) | instid1(VALU_DEP_4)
	v_cndmask_b32_e64 v23, v23, v30, s2
	v_cndmask_b32_e64 v21, v21, v57, s2
	v_cmp_gt_u32_e64 s2, 12, v7
	s_delay_alu instid0(VALU_DEP_2) | instskip(NEXT) | instid1(VALU_DEP_1)
	v_dual_cndmask_b32 v22, v22, v41 :: v_dual_cndmask_b32 v21, v21, v58
	v_cndmask_b32_e64 v24, 0, v22, s2
	s_delay_alu instid0(VALU_DEP_2)
	v_cndmask_b32_e64 v21, 0xff800000, v21, s2
	;;#ASMSTART
	v_max_f32 v25, v21, v21 quad_perm:[1,0,3,2] row_mask:0xf bank_mask:0xf bound_ctrl:1
	;;#ASMEND
	;;#ASMSTART
	v_max_f32 v26, v25, v25 quad_perm:[2,3,0,1] row_mask:0xf bank_mask:0xf bound_ctrl:1
	;;#ASMEND
	;;#ASMSTART
	v_max_f32 v25, v26, v26 row_half_mirror row_mask:0xf bank_mask:0xf bound_ctrl:1
	;;#ASMEND
	;;#ASMSTART
	v_max_f32 v26, v25, v25 row_mirror row_mask:0xf bank_mask:0xf bound_ctrl:1
	;;#ASMEND
	v_permlanex16_b32 v25, v26, s9, 0xfedcba98 op_sel:[1,1]
	s_delay_alu instid0(VALU_DEP_1) | instskip(NEXT) | instid1(VALU_DEP_1)
	v_dual_max_f32 v26, v26, v26 :: v_dual_max_f32 v25, v25, v25
	v_max_f32_e32 v25, v26, v25
	s_delay_alu instid0(VALU_DEP_1) | instskip(SKIP_1) | instid1(VALU_DEP_2)
	v_cmp_eq_f32_e64 s3, v21, v25
	v_cndmask_b32_e32 v21, v23, v31, vcc_lo
	s_ctz_i32_b32 s11, s3
	s_cmp_lg_u32 s3, 0
	s_cselect_b32 s3, s11, 0
	s_add_i32 s10, s10, -1
	v_readlane_b32 s3, v24, s3
	s_delay_alu instid0(VALU_DEP_1)
	v_cmp_eq_u32_e32 vcc_lo, s3, v22
	s_and_b32 vcc_lo, s2, vcc_lo
	s_and_b32 s2, s3, 31
	v_cndmask_b32_e32 v21, 0, v21, vcc_lo
	v_add_co_ci_u32_e32 v7, vcc_lo, 0, v7, vcc_lo
	s_cmp_eq_u32 s10, 0
	s_delay_alu instid0(VALU_DEP_2) | instskip(SKIP_2) | instid1(VALU_DEP_3)
	v_readlane_b32 s11, v21, s2
	v_cmp_eq_u32_e64 s2, 0, v20
	v_add_nc_u32_e32 v20, -1, v20
	v_add_f32_e32 v6, s11, v6
	s_delay_alu instid0(VALU_DEP_3)
	v_cndmask_b32_e64 v2, v2, s11, s2
	v_cndmask_b32_e64 v1, v1, s3, s2
	s_cbranch_scc0 .LBB143_137
; %bb.138:
	s_mov_b32 s2, exec_lo
	v_cmpx_gt_i32_e64 s8, v0
	s_cbranch_execz .LBB143_140
.LBB143_139:
	s_load_b32 s2, s[0:1], 0x30
	v_max_f32_e32 v3, v6, v6
	s_load_b64 s[0:1], s[0:1], 0x20
	s_ashr_i32 s3, s15, 31
	s_delay_alu instid0(VALU_DEP_1) | instskip(SKIP_1) | instid1(VALU_DEP_1)
	v_dual_max_f32 v3, 0x1e3ce508, v3 :: v_dual_lshlrev_b32 v0, 2, v0
	s_waitcnt lgkmcnt(0)
	v_div_scale_f32 v4, null, v3, v3, s2
	v_div_scale_f32 v7, vcc_lo, s2, v3, s2
	s_mul_i32 s1, s15, s1
	s_delay_alu instid0(VALU_DEP_2)
	v_rcp_f32_e32 v5, v4
	s_mul_hi_u32 s8, s15, s0
	s_mul_i32 s3, s3, s0
	s_add_i32 s1, s8, s1
	s_mul_i32 s0, s15, s0
	s_add_i32 s1, s1, s3
	s_delay_alu instid0(SALU_CYCLE_1) | instskip(SKIP_2) | instid1(VALU_DEP_1)
	s_lshl_b64 s[0:1], s[0:1], 2
	s_waitcnt_depctr 0xfff
	v_fma_f32 v6, -v4, v5, 1.0
	v_fmac_f32_e32 v5, v6, v5
	s_delay_alu instid0(VALU_DEP_1) | instskip(NEXT) | instid1(VALU_DEP_1)
	v_mul_f32_e32 v6, v7, v5
	v_fma_f32 v8, -v4, v6, v7
	s_delay_alu instid0(VALU_DEP_1) | instskip(NEXT) | instid1(VALU_DEP_1)
	v_fmac_f32_e32 v6, v8, v5
	v_fma_f32 v4, -v4, v6, v7
	s_delay_alu instid0(VALU_DEP_1) | instskip(NEXT) | instid1(VALU_DEP_1)
	v_div_fmas_f32 v4, v4, v5, v6
	v_div_fixup_f32 v3, v4, v3, s2
	s_add_u32 s2, s4, s0
	s_addc_u32 s3, s5, s1
	s_add_u32 s0, s6, s0
	s_addc_u32 s1, s7, s1
	v_mul_f32_e32 v2, v2, v3
	s_clause 0x1
	global_store_b32 v0, v2, s[2:3]
	global_store_b32 v0, v1, s[0:1]
.LBB143_140:
	s_endpgm
.LBB143_141:
	v_dual_mov_b32 v1, 0 :: v_dual_mov_b32 v2, 0
	s_mov_b32 s2, exec_lo
	v_cmpx_gt_i32_e64 s8, v0
	s_cbranch_execnz .LBB143_139
	s_branch .LBB143_140
	.section	.rodata,"a",@progbits
	.p2align	6, 0x0
	.amdhsa_kernel _ZN5aiter24topk_softplus_kernel_optI6__halfS1_Li384ELb1ELi1EEEvPKT_PKT0_PfPimiif
		.amdhsa_group_segment_fixed_size 0
		.amdhsa_private_segment_fixed_size 196
		.amdhsa_kernarg_size 52
		.amdhsa_user_sgpr_count 15
		.amdhsa_user_sgpr_dispatch_ptr 0
		.amdhsa_user_sgpr_queue_ptr 0
		.amdhsa_user_sgpr_kernarg_segment_ptr 1
		.amdhsa_user_sgpr_dispatch_id 0
		.amdhsa_user_sgpr_private_segment_size 0
		.amdhsa_wavefront_size32 1
		.amdhsa_uses_dynamic_stack 0
		.amdhsa_enable_private_segment 1
		.amdhsa_system_sgpr_workgroup_id_x 1
		.amdhsa_system_sgpr_workgroup_id_y 0
		.amdhsa_system_sgpr_workgroup_id_z 0
		.amdhsa_system_sgpr_workgroup_info 0
		.amdhsa_system_vgpr_workitem_id 0
		.amdhsa_next_free_vgpr 183
		.amdhsa_next_free_sgpr 16
		.amdhsa_reserve_vcc 1
		.amdhsa_float_round_mode_32 0
		.amdhsa_float_round_mode_16_64 0
		.amdhsa_float_denorm_mode_32 3
		.amdhsa_float_denorm_mode_16_64 3
		.amdhsa_dx10_clamp 1
		.amdhsa_ieee_mode 1
		.amdhsa_fp16_overflow 0
		.amdhsa_workgroup_processor_mode 1
		.amdhsa_memory_ordered 1
		.amdhsa_forward_progress 0
		.amdhsa_shared_vgpr_count 0
		.amdhsa_exception_fp_ieee_invalid_op 0
		.amdhsa_exception_fp_denorm_src 0
		.amdhsa_exception_fp_ieee_div_zero 0
		.amdhsa_exception_fp_ieee_overflow 0
		.amdhsa_exception_fp_ieee_underflow 0
		.amdhsa_exception_fp_ieee_inexact 0
		.amdhsa_exception_int_div_zero 0
	.end_amdhsa_kernel
	.section	.text._ZN5aiter24topk_softplus_kernel_optI6__halfS1_Li384ELb1ELi1EEEvPKT_PKT0_PfPimiif,"axG",@progbits,_ZN5aiter24topk_softplus_kernel_optI6__halfS1_Li384ELb1ELi1EEEvPKT_PKT0_PfPimiif,comdat
.Lfunc_end143:
	.size	_ZN5aiter24topk_softplus_kernel_optI6__halfS1_Li384ELb1ELi1EEEvPKT_PKT0_PfPimiif, .Lfunc_end143-_ZN5aiter24topk_softplus_kernel_optI6__halfS1_Li384ELb1ELi1EEEvPKT_PKT0_PfPimiif
                                        ; -- End function
	.section	.AMDGPU.csdata,"",@progbits
; Kernel info:
; codeLenInByte = 28148
; NumSgprs: 18
; NumVgprs: 183
; ScratchSize: 196
; MemoryBound: 0
; FloatMode: 240
; IeeeMode: 1
; LDSByteSize: 0 bytes/workgroup (compile time only)
; SGPRBlocks: 2
; VGPRBlocks: 22
; NumSGPRsForWavesPerEU: 18
; NumVGPRsForWavesPerEU: 183
; Occupancy: 8
; WaveLimiterHint : 0
; COMPUTE_PGM_RSRC2:SCRATCH_EN: 1
; COMPUTE_PGM_RSRC2:USER_SGPR: 15
; COMPUTE_PGM_RSRC2:TRAP_HANDLER: 0
; COMPUTE_PGM_RSRC2:TGID_X_EN: 1
; COMPUTE_PGM_RSRC2:TGID_Y_EN: 0
; COMPUTE_PGM_RSRC2:TGID_Z_EN: 0
; COMPUTE_PGM_RSRC2:TIDIG_COMP_CNT: 0
	.section	.text._ZN5aiter24topk_softplus_kernel_optI6__halfS1_Li384ELb0ELi1EEEvPKT_PKT0_PfPimiif,"axG",@progbits,_ZN5aiter24topk_softplus_kernel_optI6__halfS1_Li384ELb0ELi1EEEvPKT_PKT0_PfPimiif,comdat
	.protected	_ZN5aiter24topk_softplus_kernel_optI6__halfS1_Li384ELb0ELi1EEEvPKT_PKT0_PfPimiif ; -- Begin function _ZN5aiter24topk_softplus_kernel_optI6__halfS1_Li384ELb0ELi1EEEvPKT_PKT0_PfPimiif
	.globl	_ZN5aiter24topk_softplus_kernel_optI6__halfS1_Li384ELb0ELi1EEEvPKT_PKT0_PfPimiif
	.p2align	8
	.type	_ZN5aiter24topk_softplus_kernel_optI6__halfS1_Li384ELb0ELi1EEEvPKT_PKT0_PfPimiif,@function
_ZN5aiter24topk_softplus_kernel_optI6__halfS1_Li384ELb0ELi1EEEvPKT_PKT0_PfPimiif: ; @_ZN5aiter24topk_softplus_kernel_optI6__halfS1_Li384ELb0ELi1EEEvPKT_PKT0_PfPimiif
; %bb.0:
	s_load_b128 s[4:7], s[0:1], 0x0
	s_mul_i32 s2, s15, 0x180
	v_lshlrev_b32_e32 v3, 1, v0
	s_ashr_i32 s3, s2, 31
	s_delay_alu instid0(SALU_CYCLE_1)
	s_lshl_b64 s[2:3], s[2:3], 1
	s_waitcnt lgkmcnt(0)
	s_add_u32 s4, s4, s2
	s_addc_u32 s5, s5, s3
	s_mov_b32 s3, 0xbfb8aa3b
	global_load_u16 v1, v3, s[4:5]
	s_cmp_lg_u64 s[6:7], 0
	s_cselect_b32 s2, -1, 0
	s_waitcnt vmcnt(0)
	v_cvt_f32_f16_e32 v2, v1
	s_delay_alu instid0(VALU_DEP_1) | instskip(NEXT) | instid1(VALU_DEP_1)
	v_mul_f32_e32 v2, 0xbfb8aa3b, v2
	v_cmp_gt_f32_e32 vcc_lo, 0xc2fc0000, v2
	v_cndmask_b32_e64 v2, 0, 0x42800000, vcc_lo
	s_delay_alu instid0(VALU_DEP_1) | instskip(SKIP_2) | instid1(VALU_DEP_2)
	v_fma_mix_f32 v1, v1, s3, v2 op_sel_hi:[1,0,0]
	v_cndmask_b32_e64 v2, 1.0, 0x1f800000, vcc_lo
	s_and_b32 vcc_lo, exec_lo, s2
	v_exp_f32_e32 v1, v1
	s_waitcnt_depctr 0xfff
	v_fma_f32 v1, v1, v2, 1.0
	s_delay_alu instid0(VALU_DEP_1) | instskip(SKIP_1) | instid1(VALU_DEP_1)
	v_rcp_f32_e32 v37, v1
	v_add_co_u32 v1, s4, s4, v3
	v_add_co_ci_u32_e64 v2, null, s5, 0, s4
	s_waitcnt_depctr 0xfff
	v_mov_b32_e32 v48, v37
	s_cbranch_vccz .LBB144_2
; %bb.1:
	global_load_u16 v4, v3, s[6:7]
	s_waitcnt vmcnt(0)
	v_cvt_f32_f16_e32 v4, v4
	s_delay_alu instid0(VALU_DEP_1)
	v_add_f32_e32 v48, v37, v4
.LBB144_2:
	global_load_u16 v4, v[1:2], off offset:64
	s_waitcnt vmcnt(0)
	v_cvt_f32_f16_e32 v5, v4
	s_delay_alu instid0(VALU_DEP_1) | instskip(NEXT) | instid1(VALU_DEP_1)
	v_mul_f32_e32 v5, 0xbfb8aa3b, v5
	v_cmp_gt_f32_e32 vcc_lo, 0xc2fc0000, v5
	v_cndmask_b32_e64 v6, 0, 0x42800000, vcc_lo
	v_cndmask_b32_e64 v5, 1.0, 0x1f800000, vcc_lo
	s_and_not1_b32 vcc_lo, exec_lo, s2
	s_delay_alu instid0(VALU_DEP_2) | instskip(NEXT) | instid1(VALU_DEP_1)
	v_fma_mix_f32 v4, v4, s3, v6 op_sel_hi:[1,0,0]
	v_exp_f32_e32 v4, v4
	s_waitcnt_depctr 0xfff
	v_fma_f32 v4, v4, v5, 1.0
	s_delay_alu instid0(VALU_DEP_1)
	v_rcp_f32_e32 v14, v4
	v_cndmask_b32_e64 v4, 0, 1, s2
	s_waitcnt_depctr 0xfff
	v_mov_b32_e32 v49, v14
	s_cbranch_vccnz .LBB144_4
; %bb.3:
	global_load_u16 v5, v3, s[6:7] offset:64
	s_waitcnt vmcnt(0)
	v_cvt_f32_f16_e32 v5, v5
	s_delay_alu instid0(VALU_DEP_1)
	v_add_f32_e32 v49, v14, v5
.LBB144_4:
	global_load_u16 v5, v[1:2], off offset:128
	s_mov_b32 s2, 0xbfb8aa3b
	s_waitcnt vmcnt(0)
	v_cvt_f32_f16_e32 v6, v5
	s_delay_alu instid0(VALU_DEP_1) | instskip(NEXT) | instid1(VALU_DEP_1)
	v_mul_f32_e32 v6, 0xbfb8aa3b, v6
	v_cmp_gt_f32_e32 vcc_lo, 0xc2fc0000, v6
	v_cndmask_b32_e64 v7, 0, 0x42800000, vcc_lo
	v_cndmask_b32_e64 v6, 1.0, 0x1f800000, vcc_lo
	v_cmp_ne_u32_e32 vcc_lo, 1, v4
	s_delay_alu instid0(VALU_DEP_3) | instskip(SKIP_1) | instid1(VALU_DEP_1)
	v_fma_mix_f32 v5, v5, s2, v7 op_sel_hi:[1,0,0]
	s_and_b32 vcc_lo, exec_lo, vcc_lo
	v_exp_f32_e32 v5, v5
	s_waitcnt_depctr 0xfff
	v_fma_f32 v5, v5, v6, 1.0
	s_delay_alu instid0(VALU_DEP_1)
	v_rcp_f32_e32 v15, v5
	s_waitcnt_depctr 0xfff
	v_mov_b32_e32 v50, v15
	s_cbranch_vccnz .LBB144_6
; %bb.5:
	global_load_u16 v5, v3, s[6:7] offset:128
	s_waitcnt vmcnt(0)
	v_cvt_f32_f16_e32 v5, v5
	s_delay_alu instid0(VALU_DEP_1)
	v_add_f32_e32 v50, v15, v5
.LBB144_6:
	global_load_u16 v5, v[1:2], off offset:192
	s_waitcnt vmcnt(0)
	v_cvt_f32_f16_e32 v6, v5
	s_delay_alu instid0(VALU_DEP_1) | instskip(NEXT) | instid1(VALU_DEP_1)
	v_mul_f32_e32 v6, 0xbfb8aa3b, v6
	v_cmp_gt_f32_e32 vcc_lo, 0xc2fc0000, v6
	v_cndmask_b32_e64 v7, 0, 0x42800000, vcc_lo
	v_cndmask_b32_e64 v6, 1.0, 0x1f800000, vcc_lo
	v_cmp_ne_u32_e32 vcc_lo, 1, v4
	s_delay_alu instid0(VALU_DEP_3) | instskip(SKIP_1) | instid1(VALU_DEP_1)
	v_fma_mix_f32 v5, v5, s2, v7 op_sel_hi:[1,0,0]
	s_and_b32 vcc_lo, exec_lo, vcc_lo
	v_exp_f32_e32 v5, v5
	s_waitcnt_depctr 0xfff
	v_fma_f32 v5, v5, v6, 1.0
	s_delay_alu instid0(VALU_DEP_1)
	v_rcp_f32_e32 v16, v5
	s_waitcnt_depctr 0xfff
	v_mov_b32_e32 v51, v16
	s_cbranch_vccnz .LBB144_8
; %bb.7:
	global_load_u16 v5, v3, s[6:7] offset:192
	s_waitcnt vmcnt(0)
	v_cvt_f32_f16_e32 v5, v5
	s_delay_alu instid0(VALU_DEP_1)
	v_add_f32_e32 v51, v16, v5
.LBB144_8:
	global_load_u16 v5, v[1:2], off offset:256
	;; [unrolled: 27-line block ×9, first 2 shown]
	s_waitcnt vmcnt(0)
	v_cvt_f32_f16_e32 v2, v1
	s_delay_alu instid0(VALU_DEP_1) | instskip(NEXT) | instid1(VALU_DEP_1)
	v_mul_f32_e32 v2, 0xbfb8aa3b, v2
	v_cmp_gt_f32_e32 vcc_lo, 0xc2fc0000, v2
	v_cndmask_b32_e64 v5, 0, 0x42800000, vcc_lo
	v_cndmask_b32_e64 v2, 1.0, 0x1f800000, vcc_lo
	v_cmp_ne_u32_e32 vcc_lo, 1, v4
	s_delay_alu instid0(VALU_DEP_3) | instskip(NEXT) | instid1(VALU_DEP_1)
	v_fma_mix_f32 v1, v1, s2, v5 op_sel_hi:[1,0,0]
	v_exp_f32_e32 v1, v1
	s_waitcnt_depctr 0xfff
	v_fma_f32 v1, v1, v2, 1.0
	s_delay_alu instid0(VALU_DEP_1)
	v_rcp_f32_e32 v24, v1
	s_cbranch_vccnz .LBB144_24
; %bb.23:
	global_load_u16 v1, v3, s[6:7] offset:704
	s_waitcnt vmcnt(0)
	v_cvt_f32_f16_e32 v1, v1
	s_delay_alu instid0(VALU_DEP_1)
	v_add_f32_e32 v59, v24, v1
	s_branch .LBB144_25
.LBB144_24:
	s_waitcnt_depctr 0xfff
	v_mov_b32_e32 v59, v24
.LBB144_25:
	v_dual_mov_b32 v1, v48 :: v_dual_add_nc_u32 v26, 32, v0
	v_dual_mov_b32 v2, v49 :: v_dual_add_nc_u32 v27, 64, v0
	;; [unrolled: 1-line block ×11, first 2 shown]
	v_dual_mov_b32 v12, v59 :: v_dual_mov_b32 v13, v37
	v_mov_b32_e32 v25, v0
	s_mov_b32 s2, exec_lo
	v_cmpx_lt_f32_e32 v48, v49
	s_xor_b32 s2, exec_lo, s2
; %bb.26:
	v_dual_mov_b32 v1, v49 :: v_dual_mov_b32 v2, v48
	v_dual_mov_b32 v3, v50 :: v_dual_mov_b32 v4, v51
	;; [unrolled: 1-line block ×6, first 2 shown]
	v_mov_b32_e32 v49, v48
	v_dual_mov_b32 v13, v14 :: v_dual_mov_b32 v14, v37
	v_dual_mov_b32 v25, v26 :: v_dual_mov_b32 v26, v0
; %bb.27:
	s_or_b32 exec_lo, exec_lo, s2
	v_dual_mov_b32 v122, v24 :: v_dual_mov_b32 v119, v21
	v_dual_mov_b32 v86, v24 :: v_dual_mov_b32 v85, v23
	;; [unrolled: 1-line block ×37, first 2 shown]
	s_clause 0x8
	scratch_store_b128 off, v[13:16], off
	scratch_store_b128 off, v[17:20], off offset:16
	scratch_store_b128 off, v[21:24], off offset:32
	;; [unrolled: 1-line block ×8, first 2 shown]
	v_dual_mov_b32 v72, v34 :: v_dual_mov_b32 v69, v31
	v_dual_mov_b32 v70, v32 :: v_dual_mov_b32 v67, v29
	;; [unrolled: 1-line block ×29, first 2 shown]
	v_mov_b32_e32 v160, v26
	s_clause 0x2
	scratch_store_b128 off, v[25:28], off offset:144
	scratch_store_b128 off, v[29:32], off offset:160
	;; [unrolled: 1-line block ×3, first 2 shown]
	s_mov_b32 s2, exec_lo
	v_dual_mov_b32 v182, v36 :: v_dual_mov_b32 v179, v33
	v_dual_mov_b32 v181, v35 :: v_dual_mov_b32 v180, v34
	;; [unrolled: 1-line block ×6, first 2 shown]
	v_cmpx_lt_f32_e32 v49, v3
	s_cbranch_execz .LBB144_29
; %bb.28:
	v_dual_mov_b32 v182, v36 :: v_dual_mov_b32 v179, v33
	v_dual_mov_b32 v174, v28 :: v_dual_mov_b32 v171, v25
	;; [unrolled: 1-line block ×3, first 2 shown]
	v_mov_b32_e32 v172, v26
	v_dual_mov_b32 v62, v49 :: v_dual_mov_b32 v181, v35
	v_dual_mov_b32 v180, v34 :: v_dual_mov_b32 v177, v31
	;; [unrolled: 1-line block ×11, first 2 shown]
	v_mov_b32_e32 v125, v14
	v_dual_mov_b32 v162, v174 :: v_dual_mov_b32 v163, v175
	v_dual_mov_b32 v164, v176 :: v_dual_mov_b32 v165, v177
	;; [unrolled: 1-line block ×5, first 2 shown]
	v_mov_b32_e32 v162, v28
	v_dual_mov_b32 v170, v182 :: v_dual_mov_b32 v37, v159
	s_clause 0x2
	scratch_store_b128 off, v[123:126], off offset:96
	scratch_store_b128 off, v[127:130], off offset:112
	;; [unrolled: 1-line block ×3, first 2 shown]
	v_dual_mov_b32 v42, v164 :: v_dual_mov_b32 v47, v169
	v_dual_mov_b32 v126, v16 :: v_dual_mov_b32 v45, v167
	v_dual_mov_b32 v43, v165 :: v_dual_mov_b32 v44, v166
	v_dual_mov_b32 v39, v161 :: v_dual_mov_b32 v46, v168
	v_dual_mov_b32 v163, v29 :: v_dual_mov_b32 v48, v170
	v_mov_b32_e32 v38, v160
	v_mov_b32_e32 v40, v162
	s_clause 0x2
	scratch_store_b128 off, v[37:40], off offset:144
	scratch_store_b128 off, v[41:44], off offset:160
	;; [unrolled: 1-line block ×3, first 2 shown]
	v_dual_mov_b32 v2, v3 :: v_dual_mov_b32 v3, v49
	v_mov_b32_e32 v147, v159
	v_mov_b32_e32 v127, v17
	;; [unrolled: 1-line block ×3, first 2 shown]
	v_dual_mov_b32 v151, v163 :: v_dual_mov_b32 v148, v160
	v_dual_mov_b32 v153, v165 :: v_dual_mov_b32 v152, v164
	;; [unrolled: 1-line block ×3, first 2 shown]
	v_mov_b32_e32 v158, v170
	v_dual_mov_b32 v150, v162 :: v_dual_mov_b32 v155, v167
	v_mov_b32_e32 v156, v168
	v_mov_b32_e32 v152, v30
	;; [unrolled: 1-line block ×3, first 2 shown]
	v_dual_mov_b32 v27, v26 :: v_dual_mov_b32 v42, v128
	v_mov_b32_e32 v37, v123
	v_dual_mov_b32 v43, v129 :: v_dual_mov_b32 v44, v130
	v_mov_b32_e32 v39, v125
	v_dual_mov_b32 v45, v131 :: v_dual_mov_b32 v46, v132
	v_dual_mov_b32 v47, v133 :: v_dual_mov_b32 v48, v134
	v_mov_b32_e32 v38, v124
	v_mov_b32_e32 v40, v126
	s_clause 0x2
	scratch_store_b128 off, v[37:40], off offset:48
	scratch_store_b128 off, v[41:44], off offset:64
	;; [unrolled: 1-line block ×3, first 2 shown]
	v_mov_b32_e32 v37, v123
	v_mov_b32_e32 v39, v125
	v_dual_mov_b32 v41, v127 :: v_dual_mov_b32 v38, v124
	v_mov_b32_e32 v99, v147
	v_mov_b32_e32 v105, v153
	v_dual_mov_b32 v105, v31 :: v_dual_mov_b32 v106, v154
	v_dual_mov_b32 v40, v126 :: v_dual_mov_b32 v101, v149
	;; [unrolled: 1-line block ×3, first 2 shown]
	v_mov_b32_e32 v110, v158
	v_mov_b32_e32 v50, v123
	v_dual_mov_b32 v100, v148 :: v_dual_mov_b32 v107, v155
	v_dual_mov_b32 v102, v150 :: v_dual_mov_b32 v109, v157
	;; [unrolled: 1-line block ×7, first 2 shown]
	v_mov_b32_e32 v58, v131
	v_mov_b32_e32 v56, v19
	s_clause 0x2
	scratch_store_b128 off, v[37:40], off
	scratch_store_b128 off, v[41:44], off offset:16
	scratch_store_b128 off, v[45:48], off offset:32
	v_dual_mov_b32 v60, v133 :: v_dual_mov_b32 v55, v128
	v_mov_b32_e32 v37, v99
	v_mov_b32_e32 v41, v103
	;; [unrolled: 1-line block ×3, first 2 shown]
	v_dual_mov_b32 v43, v105 :: v_dual_mov_b32 v48, v110
	v_dual_mov_b32 v38, v100 :: v_dual_mov_b32 v45, v107
	v_mov_b32_e32 v44, v106
	v_dual_mov_b32 v122, v61 :: v_dual_mov_b32 v113, v52
	v_dual_mov_b32 v40, v102 :: v_dual_mov_b32 v47, v109
	;; [unrolled: 1-line block ×7, first 2 shown]
	v_mov_b32_e32 v114, v53
	v_mov_b32_e32 v116, v55
	;; [unrolled: 1-line block ×4, first 2 shown]
	v_dual_mov_b32 v98, v48 :: v_dual_mov_b32 v95, v45
	v_mov_b32_e32 v95, v33
	v_mov_b32_e32 v93, v43
	;; [unrolled: 1-line block ×4, first 2 shown]
	v_dual_mov_b32 v87, v37 :: v_dual_mov_b32 v146, v122
	v_dual_mov_b32 v137, v113 :: v_dual_mov_b32 v96, v46
	;; [unrolled: 1-line block ×3, first 2 shown]
	v_mov_b32_e32 v135, v111
	v_dual_mov_b32 v97, v47 :: v_dual_mov_b32 v94, v44
	v_dual_mov_b32 v92, v42 :: v_dual_mov_b32 v143, v119
	;; [unrolled: 1-line block ×4, first 2 shown]
	v_mov_b32_e32 v138, v114
	v_dual_mov_b32 v142, v118 :: v_dual_mov_b32 v143, v21
	v_dual_mov_b32 v140, v116 :: v_dual_mov_b32 v63, v87
	;; [unrolled: 1-line block ×8, first 2 shown]
	v_mov_b32_e32 v86, v146
	v_dual_mov_b32 v64, v88 :: v_dual_mov_b32 v69, v93
	v_dual_mov_b32 v66, v90 :: v_dual_mov_b32 v71, v95
	;; [unrolled: 1-line block ×7, first 2 shown]
	v_mov_b32_e32 v82, v142
	v_mov_b32_e32 v84, v22
	;; [unrolled: 1-line block ×3, first 2 shown]
.LBB144_29:
	s_or_b32 exec_lo, exec_lo, s2
	v_mov_b32_e32 v13, v4
	s_mov_b32 s2, exec_lo
	v_cmpx_lt_f32_e32 v62, v4
	s_cbranch_execz .LBB144_31
; %bb.30:
	s_clause 0x2
	scratch_load_b128 v[37:40], off, off offset:96
	scratch_load_b128 v[41:44], off, off offset:112
	;; [unrolled: 1-line block ×3, first 2 shown]
	v_dual_mov_b32 v173, v28 :: v_dual_mov_b32 v28, v27
	v_mov_b32_e32 v3, v4
	s_waitcnt vmcnt(0)
	v_dual_mov_b32 v13, v62 :: v_dual_mov_b32 v134, v48
	v_dual_mov_b32 v133, v47 :: v_dual_mov_b32 v124, v38
	;; [unrolled: 1-line block ×3, first 2 shown]
	v_mov_b32_e32 v125, v16
	v_dual_mov_b32 v159, v171 :: v_dual_mov_b32 v160, v172
	s_delay_alu instid0(VALU_DEP_3) | instskip(NEXT) | instid1(VALU_DEP_3)
	v_dual_mov_b32 v162, v174 :: v_dual_mov_b32 v37, v123
	v_dual_mov_b32 v38, v124 :: v_dual_mov_b32 v39, v125
	;; [unrolled: 1-line block ×5, first 2 shown]
	v_mov_b32_e32 v126, v15
	s_clause 0x2
	scratch_store_b128 off, v[37:40], off offset:96
	scratch_store_b128 off, v[41:44], off offset:112
	;; [unrolled: 1-line block ×3, first 2 shown]
	v_dual_mov_b32 v161, v173 :: v_dual_mov_b32 v164, v176
	v_dual_mov_b32 v167, v179 :: v_dual_mov_b32 v170, v182
	;; [unrolled: 1-line block ×5, first 2 shown]
	s_delay_alu instid0(VALU_DEP_2) | instskip(SKIP_2) | instid1(VALU_DEP_4)
	v_dual_mov_b32 v42, v164 :: v_dual_mov_b32 v43, v165
	v_dual_mov_b32 v48, v170 :: v_dual_mov_b32 v37, v159
	v_dual_mov_b32 v44, v166 :: v_dual_mov_b32 v45, v167
	v_dual_mov_b32 v46, v168 :: v_dual_mov_b32 v47, v169
	v_dual_mov_b32 v38, v160 :: v_dual_mov_b32 v39, v161
	v_dual_mov_b32 v40, v162 :: v_dual_mov_b32 v163, v29
	s_clause 0x2
	scratch_store_b128 off, v[37:40], off offset:144
	scratch_store_b128 off, v[41:44], off offset:160
	;; [unrolled: 1-line block ×3, first 2 shown]
	v_dual_mov_b32 v42, v128 :: v_dual_mov_b32 v43, v129
	v_dual_mov_b32 v48, v134 :: v_dual_mov_b32 v37, v123
	;; [unrolled: 1-line block ×6, first 2 shown]
	s_clause 0x2
	scratch_store_b128 off, v[37:40], off offset:48
	scratch_store_b128 off, v[41:44], off offset:64
	;; [unrolled: 1-line block ×3, first 2 shown]
	v_dual_mov_b32 v147, v159 :: v_dual_mov_b32 v148, v160
	v_dual_mov_b32 v151, v163 :: v_dual_mov_b32 v152, v164
	;; [unrolled: 1-line block ×10, first 2 shown]
	s_delay_alu instid0(VALU_DEP_4)
	v_dual_mov_b32 v106, v154 :: v_dual_mov_b32 v107, v155
	v_mov_b32_e32 v110, v158
	v_dual_mov_b32 v100, v148 :: v_dual_mov_b32 v101, v149
	v_dual_mov_b32 v104, v152 :: v_dual_mov_b32 v105, v153
	;; [unrolled: 1-line block ×5, first 2 shown]
	v_mov_b32_e32 v61, v134
	s_clause 0x2
	scratch_store_b128 off, v[37:40], off
	scratch_store_b128 off, v[41:44], off offset:16
	scratch_store_b128 off, v[45:48], off offset:32
	v_dual_mov_b32 v54, v127 :: v_dual_mov_b32 v55, v128
	v_dual_mov_b32 v56, v129 :: v_dual_mov_b32 v57, v130
	;; [unrolled: 1-line block ×8, first 2 shown]
	v_mov_b32_e32 v48, v110
	v_mov_b32_e32 v44, v32
	v_dual_mov_b32 v42, v104 :: v_dual_mov_b32 v43, v105
	v_dual_mov_b32 v46, v108 :: v_dual_mov_b32 v47, v109
	v_dual_mov_b32 v122, v61 :: v_dual_mov_b32 v117, v56
	v_dual_mov_b32 v118, v57 :: v_dual_mov_b32 v113, v52
	v_dual_mov_b32 v116, v55 :: v_dual_mov_b32 v111, v50
	v_dual_mov_b32 v40, v102 :: v_dual_mov_b32 v41, v103
	v_dual_mov_b32 v4, v62 :: v_dual_mov_b32 v121, v60
	v_dual_mov_b32 v120, v59 :: v_dual_mov_b32 v115, v54
	v_dual_mov_b32 v119, v58 :: v_dual_mov_b32 v118, v20
	v_mov_b32_e32 v114, v53
	v_mov_b32_e32 v112, v51
	v_dual_mov_b32 v98, v48 :: v_dual_mov_b32 v91, v41
	v_dual_mov_b32 v94, v44 :: v_dual_mov_b32 v87, v37
	;; [unrolled: 1-line block ×3, first 2 shown]
	v_mov_b32_e32 v89, v39
	v_mov_b32_e32 v95, v45
	v_dual_mov_b32 v93, v43 :: v_dual_mov_b32 v146, v122
	v_dual_mov_b32 v143, v119 :: v_dual_mov_b32 v140, v116
	;; [unrolled: 1-line block ×15, first 2 shown]
	v_mov_b32_e32 v86, v146
	v_dual_mov_b32 v64, v88 :: v_dual_mov_b32 v65, v89
	v_dual_mov_b32 v66, v90 :: v_dual_mov_b32 v67, v91
	;; [unrolled: 1-line block ×8, first 2 shown]
	v_mov_b32_e32 v84, v22
	v_mov_b32_e32 v86, v24
.LBB144_31:
	s_or_b32 exec_lo, exec_lo, s2
	v_mov_b32_e32 v14, v5
	s_mov_b32 s2, exec_lo
	v_cmpx_lt_f32_e32 v13, v5
	s_cbranch_execz .LBB144_33
; %bb.32:
	s_clause 0x2
	scratch_load_b128 v[37:40], off, off offset:96
	scratch_load_b128 v[41:44], off, off offset:112
	;; [unrolled: 1-line block ×3, first 2 shown]
	v_mov_b32_e32 v174, v29
	v_mov_b32_e32 v14, v13
	;; [unrolled: 1-line block ×3, first 2 shown]
	v_dual_mov_b32 v17, v16 :: v_dual_mov_b32 v4, v5
	v_mov_b32_e32 v29, v28
	s_waitcnt vmcnt(0)
	v_dual_mov_b32 v73, v48 :: v_dual_mov_b32 v64, v39
	v_dual_mov_b32 v70, v45 :: v_dual_mov_b32 v69, v44
	;; [unrolled: 1-line block ×18, first 2 shown]
	v_mov_b32_e32 v127, v16
	v_dual_mov_b32 v147, v159 :: v_dual_mov_b32 v148, v160
	v_dual_mov_b32 v149, v161 :: v_dual_mov_b32 v152, v164
	;; [unrolled: 1-line block ×19, first 2 shown]
	v_mov_b32_e32 v61, v134
	s_clause 0x2
	scratch_store_b128 off, v[37:40], off
	scratch_store_b128 off, v[41:44], off offset:16
	scratch_store_b128 off, v[45:48], off offset:32
	v_dual_mov_b32 v53, v126 :: v_dual_mov_b32 v54, v127
	v_dual_mov_b32 v101, v149 :: v_dual_mov_b32 v102, v150
	;; [unrolled: 1-line block ×10, first 2 shown]
	v_mov_b32_e32 v46, v108
	v_dual_mov_b32 v122, v61 :: v_dual_mov_b32 v121, v60
	v_dual_mov_b32 v43, v105 :: v_dual_mov_b32 v44, v106
	;; [unrolled: 1-line block ×8, first 2 shown]
	v_mov_b32_e32 v112, v51
	v_mov_b32_e32 v118, v20
	v_dual_mov_b32 v98, v48 :: v_dual_mov_b32 v93, v43
	v_dual_mov_b32 v92, v42 :: v_dual_mov_b32 v87, v37
	v_mov_b32_e32 v97, v47
	v_dual_mov_b32 v95, v45 :: v_dual_mov_b32 v146, v122
	v_dual_mov_b32 v143, v119 :: v_dual_mov_b32 v138, v114
	;; [unrolled: 1-line block ×7, first 2 shown]
	v_mov_b32_e32 v89, v39
	s_clause 0x5
	scratch_store_b128 off, v[62:65], off offset:48
	scratch_store_b128 off, v[66:69], off offset:64
	;; [unrolled: 1-line block ×6, first 2 shown]
	v_dual_mov_b32 v142, v118 :: v_dual_mov_b32 v139, v115
	v_dual_mov_b32 v140, v116 :: v_dual_mov_b32 v137, v113
	;; [unrolled: 1-line block ×17, first 2 shown]
	v_mov_b32_e32 v84, v22
	v_mov_b32_e32 v86, v24
.LBB144_33:
	s_or_b32 exec_lo, exec_lo, s2
	v_mov_b32_e32 v13, v6
	s_mov_b32 s2, exec_lo
	v_cmpx_lt_f32_e32 v14, v6
	s_cbranch_execz .LBB144_35
; %bb.34:
	s_clause 0x2
	scratch_load_b128 v[37:40], off, off offset:144
	scratch_load_b128 v[41:44], off, off offset:160
	scratch_load_b128 v[45:48], off, off offset:176
	v_mov_b32_e32 v5, v6
	s_waitcnt vmcnt(0)
	v_dual_mov_b32 v13, v14 :: v_dual_mov_b32 v170, v48
	v_dual_mov_b32 v169, v47 :: v_dual_mov_b32 v162, v40
	;; [unrolled: 1-line block ×6, first 2 shown]
	s_clause 0x2
	scratch_load_b128 v[37:40], off, off offset:48
	scratch_load_b128 v[41:44], off, off offset:64
	;; [unrolled: 1-line block ×3, first 2 shown]
	v_dual_mov_b32 v163, v30 :: v_dual_mov_b32 v30, v29
	s_waitcnt vmcnt(0)
	v_dual_mov_b32 v73, v48 :: v_dual_mov_b32 v72, v47
	v_dual_mov_b32 v65, v40 :: v_dual_mov_b32 v62, v37
	v_mov_b32_e32 v63, v38
	v_dual_mov_b32 v67, v42 :: v_dual_mov_b32 v64, v39
	v_dual_mov_b32 v71, v46 :: v_dual_mov_b32 v70, v45
	;; [unrolled: 1-line block ×4, first 2 shown]
	v_mov_b32_e32 v148, v160
	v_dual_mov_b32 v134, v73 :: v_dual_mov_b32 v133, v72
	v_dual_mov_b32 v124, v63 :: v_dual_mov_b32 v123, v62
	;; [unrolled: 1-line block ×11, first 2 shown]
	v_mov_b32_e32 v128, v17
	v_mov_b32_e32 v152, v29
	v_dual_mov_b32 v50, v123 :: v_dual_mov_b32 v51, v124
	v_mov_b32_e32 v99, v147
	s_delay_alu instid0(VALU_DEP_3)
	v_dual_mov_b32 v53, v126 :: v_dual_mov_b32 v104, v152
	v_dual_mov_b32 v105, v153 :: v_dual_mov_b32 v100, v148
	;; [unrolled: 1-line block ×7, first 2 shown]
	v_mov_b32_e32 v57, v130
	v_dual_mov_b32 v102, v150 :: v_dual_mov_b32 v103, v151
	v_dual_mov_b32 v108, v156 :: v_dual_mov_b32 v109, v157
	;; [unrolled: 1-line block ×3, first 2 shown]
	v_mov_b32_e32 v58, v131
	v_mov_b32_e32 v56, v19
	v_dual_mov_b32 v37, v99 :: v_dual_mov_b32 v38, v100
	v_mov_b32_e32 v39, v101
	v_dual_mov_b32 v43, v105 :: v_dual_mov_b32 v48, v110
	s_delay_alu instid0(VALU_DEP_4)
	v_dual_mov_b32 v122, v61 :: v_dual_mov_b32 v117, v56
	v_dual_mov_b32 v42, v104 :: v_dual_mov_b32 v45, v107
	;; [unrolled: 1-line block ×9, first 2 shown]
	v_mov_b32_e32 v118, v20
	v_mov_b32_e32 v44, v32
	;; [unrolled: 1-line block ×3, first 2 shown]
	v_dual_mov_b32 v98, v48 :: v_dual_mov_b32 v95, v45
	v_dual_mov_b32 v146, v122 :: v_dual_mov_b32 v145, v121
	s_delay_alu instid0(VALU_DEP_4)
	v_dual_mov_b32 v94, v44 :: v_dual_mov_b32 v87, v37
	v_dual_mov_b32 v97, v47 :: v_dual_mov_b32 v144, v120
	;; [unrolled: 1-line block ×5, first 2 shown]
	v_mov_b32_e32 v93, v43
	v_dual_mov_b32 v91, v41 :: v_dual_mov_b32 v90, v40
	v_dual_mov_b32 v141, v117 :: v_dual_mov_b32 v88, v38
	;; [unrolled: 1-line block ×6, first 2 shown]
	s_clause 0x2
	scratch_store_b128 off, v[62:65], off
	scratch_store_b128 off, v[66:69], off offset:16
	scratch_store_b128 off, v[70:73], off offset:32
	v_dual_mov_b32 v63, v87 :: v_dual_mov_b32 v74, v98
	v_dual_mov_b32 v75, v135 :: v_dual_mov_b32 v72, v96
	;; [unrolled: 1-line block ×14, first 2 shown]
	v_mov_b32_e32 v84, v22
	v_mov_b32_e32 v86, v24
	;; [unrolled: 1-line block ×3, first 2 shown]
.LBB144_35:
	s_or_b32 exec_lo, exec_lo, s2
	v_mov_b32_e32 v14, v7
	s_mov_b32 s2, exec_lo
	v_cmpx_lt_f32_e32 v13, v7
	s_cbranch_execz .LBB144_37
; %bb.36:
	s_clause 0x2
	scratch_load_b128 v[37:40], off, off
	scratch_load_b128 v[41:44], off, off offset:16
	scratch_load_b128 v[45:48], off, off offset:32
	v_mov_b32_e32 v164, v31
	v_dual_mov_b32 v14, v13 :: v_dual_mov_b32 v31, v30
	s_waitcnt vmcnt(0)
	v_dual_mov_b32 v134, v48 :: v_dual_mov_b32 v133, v47
	v_dual_mov_b32 v130, v44 :: v_dual_mov_b32 v127, v41
	v_dual_mov_b32 v124, v38 :: v_dual_mov_b32 v123, v37
	v_dual_mov_b32 v131, v45 :: v_dual_mov_b32 v132, v46
	v_dual_mov_b32 v129, v43 :: v_dual_mov_b32 v126, v40
	v_mov_b32_e32 v125, v39
	v_dual_mov_b32 v99, v159 :: v_dual_mov_b32 v100, v160
	v_dual_mov_b32 v128, v19 :: v_dual_mov_b32 v101, v161
	v_mov_b32_e32 v110, v170
	v_dual_mov_b32 v50, v123 :: v_dual_mov_b32 v53, v126
	v_dual_mov_b32 v106, v166 :: v_dual_mov_b32 v107, v167
	;; [unrolled: 1-line block ×19, first 2 shown]
	v_mov_b32_e32 v47, v109
	v_dual_mov_b32 v114, v53 :: v_dual_mov_b32 v111, v50
	v_mov_b32_e32 v118, v20
	v_dual_mov_b32 v120, v59 :: v_dual_mov_b32 v117, v56
	v_dual_mov_b32 v116, v55 :: v_dual_mov_b32 v113, v52
	v_mov_b32_e32 v44, v32
	v_mov_b32_e32 v112, v51
	v_dual_mov_b32 v98, v48 :: v_dual_mov_b32 v95, v45
	v_dual_mov_b32 v146, v122 :: v_dual_mov_b32 v145, v121
	;; [unrolled: 1-line block ×8, first 2 shown]
	v_mov_b32_e32 v89, v39
	v_dual_mov_b32 v93, v43 :: v_dual_mov_b32 v88, v38
	v_dual_mov_b32 v141, v117 :: v_dual_mov_b32 v140, v116
	v_mov_b32_e32 v95, v33
	v_dual_mov_b32 v139, v115 :: v_dual_mov_b32 v138, v114
	v_dual_mov_b32 v143, v21 :: v_dual_mov_b32 v136, v112
	;; [unrolled: 1-line block ×24, first 2 shown]
	v_mov_b32_e32 v158, v170
.LBB144_37:
	s_or_b32 exec_lo, exec_lo, s2
	v_mov_b32_e32 v13, v8
	s_mov_b32 s2, exec_lo
	v_cmpx_lt_f32_e32 v14, v8
	s_cbranch_execz .LBB144_39
; %bb.38:
	v_mov_b32_e32 v129, v20
	v_mov_b32_e32 v153, v32
	v_dual_mov_b32 v111, v123 :: v_dual_mov_b32 v114, v126
	v_dual_mov_b32 v37, v147 :: v_dual_mov_b32 v38, v148
	;; [unrolled: 1-line block ×10, first 2 shown]
	v_mov_b32_e32 v120, v132
	v_dual_mov_b32 v116, v128 :: v_dual_mov_b32 v121, v133
	v_mov_b32_e32 v44, v31
	v_dual_mov_b32 v119, v131 :: v_dual_mov_b32 v98, v48
	v_dual_mov_b32 v118, v19 :: v_dual_mov_b32 v95, v45
	v_dual_mov_b32 v88, v38 :: v_dual_mov_b32 v87, v37
	v_dual_mov_b32 v146, v122 :: v_dual_mov_b32 v145, v121
	v_dual_mov_b32 v136, v112 :: v_dual_mov_b32 v135, v111
	v_dual_mov_b32 v97, v47 :: v_dual_mov_b32 v96, v46
	v_dual_mov_b32 v94, v44 :: v_dual_mov_b32 v93, v43
	v_dual_mov_b32 v92, v42 :: v_dual_mov_b32 v91, v41
	v_dual_mov_b32 v144, v120 :: v_dual_mov_b32 v143, v119
	v_dual_mov_b32 v142, v118 :: v_dual_mov_b32 v141, v117
	v_dual_mov_b32 v140, v116 :: v_dual_mov_b32 v139, v115
	v_dual_mov_b32 v90, v40 :: v_dual_mov_b32 v89, v39
	v_dual_mov_b32 v138, v114 :: v_dual_mov_b32 v137, v113
	v_mov_b32_e32 v95, v33
	v_dual_mov_b32 v7, v8 :: v_dual_mov_b32 v8, v14
	v_mov_b32_e32 v143, v21
	v_dual_mov_b32 v63, v87 :: v_dual_mov_b32 v68, v92
	v_dual_mov_b32 v64, v88 :: v_dual_mov_b32 v75, v135
	v_dual_mov_b32 v80, v140 :: v_dual_mov_b32 v67, v91
	v_dual_mov_b32 v72, v96 :: v_dual_mov_b32 v69, v93
	v_dual_mov_b32 v74, v98 :: v_dual_mov_b32 v73, v97
	v_dual_mov_b32 v78, v138 :: v_dual_mov_b32 v79, v139
	v_dual_mov_b32 v84, v144 :: v_dual_mov_b32 v81, v141
	v_dual_mov_b32 v86, v146 :: v_dual_mov_b32 v85, v145
	v_mov_b32_e32 v74, v36
	v_dual_mov_b32 v50, v123 :: v_dual_mov_b32 v51, v124
	v_dual_mov_b32 v99, v147 :: v_dual_mov_b32 v100, v148
	v_dual_mov_b32 v65, v89 :: v_dual_mov_b32 v70, v94
	v_dual_mov_b32 v66, v90 :: v_dual_mov_b32 v71, v95
	v_dual_mov_b32 v76, v136 :: v_dual_mov_b32 v77, v137
	v_dual_mov_b32 v82, v142 :: v_dual_mov_b32 v83, v143
	v_dual_mov_b32 v72, v34 :: v_dual_mov_b32 v73, v35
	;; [unrolled: 9-line block ×3, first 2 shown]
	v_dual_mov_b32 v105, v153 :: v_dual_mov_b32 v106, v154
	v_dual_mov_b32 v107, v155 :: v_dual_mov_b32 v108, v156
	;; [unrolled: 1-line block ×4, first 2 shown]
	v_mov_b32_e32 v32, v31
.LBB144_39:
	s_or_b32 exec_lo, exec_lo, s2
	v_mov_b32_e32 v14, v9
	s_mov_b32 s2, exec_lo
	v_cmpx_lt_f32_e32 v13, v9
	s_cbranch_execz .LBB144_41
; %bb.40:
	v_mov_b32_e32 v57, v21
	v_mov_b32_e32 v106, v33
	v_dual_mov_b32 v146, v61 :: v_dual_mov_b32 v145, v60
	v_dual_mov_b32 v87, v99 :: v_dual_mov_b32 v90, v102
	v_mov_b32_e32 v88, v100
	v_dual_mov_b32 v136, v51 :: v_dual_mov_b32 v135, v50
	v_dual_mov_b32 v91, v103 :: v_dual_mov_b32 v94, v106
	;; [unrolled: 1-line block ×7, first 2 shown]
	v_mov_b32_e32 v139, v54
	v_dual_mov_b32 v89, v101 :: v_dual_mov_b32 v92, v104
	v_dual_mov_b32 v138, v53 :: v_dual_mov_b32 v137, v52
	;; [unrolled: 1-line block ×3, first 2 shown]
	v_mov_b32_e32 v143, v20
	s_delay_alu instid0(VALU_DEP_4)
	v_dual_mov_b32 v63, v87 :: v_dual_mov_b32 v68, v92
	v_dual_mov_b32 v66, v90 :: v_dual_mov_b32 v75, v135
	;; [unrolled: 1-line block ×8, first 2 shown]
	v_mov_b32_e32 v74, v36
	v_dual_mov_b32 v122, v61 :: v_dual_mov_b32 v121, v60
	v_dual_mov_b32 v37, v99 :: v_dual_mov_b32 v38, v100
	;; [unrolled: 1-line block ×20, first 2 shown]
	v_mov_b32_e32 v33, v32
.LBB144_41:
	s_or_b32 exec_lo, exec_lo, s2
	v_mov_b32_e32 v15, v10
	s_mov_b32 s2, exec_lo
	v_cmpx_lt_f32_e32 v14, v10
	s_cbranch_execz .LBB144_43
; %bb.42:
	v_mov_b32_e32 v45, v34
	v_dual_mov_b32 v9, v10 :: v_dual_mov_b32 v74, v48
	v_mov_b32_e32 v72, v46
	v_mov_b32_e32 v72, v33
	s_delay_alu instid0(VALU_DEP_4) | instskip(SKIP_4) | instid1(VALU_DEP_4)
	v_mov_b32_e32 v71, v45
	v_dual_mov_b32 v119, v22 :: v_dual_mov_b32 v70, v44
	v_dual_mov_b32 v75, v111 :: v_dual_mov_b32 v78, v114
	;; [unrolled: 1-line block ×27, first 2 shown]
	v_mov_b32_e32 v34, v33
.LBB144_43:
	s_or_b32 exec_lo, exec_lo, s2
	v_mov_b32_e32 v13, v11
	s_mov_b32 s2, exec_lo
	v_cmpx_lt_f32_e32 v15, v11
	s_cbranch_execz .LBB144_45
; %bb.44:
	v_dual_mov_b32 v144, v23 :: v_dual_mov_b32 v145, v22
	v_dual_mov_b32 v96, v35 :: v_dual_mov_b32 v97, v34
	v_mov_b32_e32 v146, v24
	v_mov_b32_e32 v10, v11
	v_dual_mov_b32 v11, v15 :: v_dual_mov_b32 v98, v36
	v_dual_mov_b32 v75, v135 :: v_dual_mov_b32 v84, v144
	;; [unrolled: 1-line block ×3, first 2 shown]
	v_mov_b32_e32 v79, v139
	v_dual_mov_b32 v77, v137 :: v_dual_mov_b32 v78, v138
	v_dual_mov_b32 v81, v141 :: v_dual_mov_b32 v80, v140
	;; [unrolled: 1-line block ×10, first 2 shown]
.LBB144_45:
	s_or_b32 exec_lo, exec_lo, s2
	s_delay_alu instid0(VALU_DEP_1)
	v_cmp_lt_f32_e32 vcc_lo, v13, v12
	v_cmp_lt_f32_e64 s2, v1, v2
	v_dual_mov_b32 v40, v76 :: v_dual_mov_b32 v41, v77
	v_dual_mov_b32 v43, v79 :: v_dual_mov_b32 v44, v80
	v_dual_cndmask_b32 v23, v12, v13 :: v_dual_mov_b32 v42, v78
	v_dual_cndmask_b32 v11, v11, v12 :: v_dual_cndmask_b32 v62, v74, v73
	s_delay_alu instid0(VALU_DEP_2) | instskip(SKIP_3) | instid1(VALU_DEP_4)
	v_dual_cndmask_b32 v49, v85, v86 :: v_dual_mov_b32 v12, v23
	v_dual_cndmask_b32 v61, v73, v74 :: v_dual_cndmask_b32 v50, v86, v85
	v_mov_b32_e32 v39, v75
	v_dual_mov_b32 v45, v81 :: v_dual_mov_b32 v48, v84
	v_dual_mov_b32 v38, v12 :: v_dual_mov_b32 v37, v11
	;; [unrolled: 1-line block ×13, first 2 shown]
	s_and_saveexec_b32 s3, s2
	s_delay_alu instid0(SALU_CYCLE_1)
	s_xor_b32 s2, exec_lo, s3
	s_cbranch_execz .LBB144_47
; %bb.46:
	v_dual_mov_b32 v12, v2 :: v_dual_mov_b32 v13, v1
	v_dual_mov_b32 v14, v3 :: v_dual_mov_b32 v15, v4
	v_dual_mov_b32 v16, v5 :: v_dual_mov_b32 v17, v6
	v_dual_mov_b32 v18, v7 :: v_dual_mov_b32 v19, v8
	v_dual_mov_b32 v20, v9 :: v_dual_mov_b32 v21, v10
	v_dual_mov_b32 v22, v11 :: v_dual_mov_b32 v39, v76
	s_delay_alu instid0(VALU_DEP_2) | instskip(NEXT) | instid1(VALU_DEP_2)
	v_dual_mov_b32 v38, v23 :: v_dual_mov_b32 v35, v20
	v_dual_mov_b32 v36, v21 :: v_dual_mov_b32 v37, v22
	;; [unrolled: 1-line block ×15, first 2 shown]
	v_mov_b32_e32 v58, v70
	v_mov_b32_e32 v60, v72
.LBB144_47:
	s_or_b32 exec_lo, exec_lo, s2
	v_dual_mov_b32 v1, v29 :: v_dual_mov_b32 v122, v50
	v_dual_mov_b32 v15, v39 :: v_dual_mov_b32 v16, v40
	;; [unrolled: 1-line block ×30, first 2 shown]
	v_mov_b32_e32 v135, v39
	s_clause 0x2
	scratch_store_b128 off, v[39:42], off offset:48
	scratch_store_b128 off, v[43:46], off offset:64
	;; [unrolled: 1-line block ×3, first 2 shown]
	v_dual_mov_b32 v3, v51 :: v_dual_mov_b32 v6, v54
	v_dual_mov_b32 v13, v61 :: v_dual_mov_b32 v74, v62
	;; [unrolled: 1-line block ×34, first 2 shown]
	v_mov_b32_e32 v159, v51
	s_mov_b32 s2, exec_lo
	v_dual_mov_b32 v73, v61 :: v_dual_mov_b32 v72, v60
	v_mov_b32_e32 v4, v52
	s_clause 0x2
	scratch_store_b128 off, v[51:54], off
	scratch_store_b128 off, v[55:58], off offset:16
	scratch_store_b128 off, v[59:62], off offset:32
	v_dual_mov_b32 v182, v50 :: v_dual_mov_b32 v181, v49
	v_dual_mov_b32 v180, v48 :: v_dual_mov_b32 v179, v47
	;; [unrolled: 1-line block ×6, first 2 shown]
	v_cmpx_lt_f32_e32 v2, v29
	s_cbranch_execz .LBB144_49
; %bb.48:
	v_dual_mov_b32 v170, v62 :: v_dual_mov_b32 v169, v61
	v_dual_mov_b32 v162, v54 :: v_dual_mov_b32 v161, v53
	;; [unrolled: 1-line block ×7, first 2 shown]
	s_clause 0x2
	scratch_store_b128 off, v[159:162], off
	scratch_store_b128 off, v[163:166], off offset:16
	scratch_store_b128 off, v[167:170], off offset:32
	v_dual_mov_b32 v182, v50 :: v_dual_mov_b32 v181, v49
	v_dual_mov_b32 v172, v40 :: v_dual_mov_b32 v171, v39
	;; [unrolled: 1-line block ×8, first 2 shown]
	s_delay_alu instid0(VALU_DEP_3)
	v_dual_mov_b32 v140, v176 :: v_dual_mov_b32 v141, v177
	v_dual_mov_b32 v138, v174 :: v_dual_mov_b32 v139, v175
	;; [unrolled: 1-line block ×3, first 2 shown]
	v_mov_b32_e32 v146, v182
	v_dual_mov_b32 v136, v172 :: v_dual_mov_b32 v137, v173
	v_mov_b32_e32 v138, v42
	v_dual_mov_b32 v142, v178 :: v_dual_mov_b32 v143, v179
	v_mov_b32_e32 v53, v52
	v_mov_b32_e32 v139, v43
	v_mov_b32_e32 v41, v40
	v_dual_mov_b32 v147, v159 :: v_dual_mov_b32 v148, v160
	v_mov_b32_e32 v151, v163
	v_dual_mov_b32 v149, v161 :: v_dual_mov_b32 v150, v162
	v_dual_mov_b32 v153, v165 :: v_dual_mov_b32 v152, v164
	;; [unrolled: 1-line block ×16, first 2 shown]
	v_mov_b32_e32 v122, v146
	v_dual_mov_b32 v114, v138 :: v_dual_mov_b32 v117, v141
	v_dual_mov_b32 v116, v140 :: v_dual_mov_b32 v119, v143
	;; [unrolled: 1-line block ×14, first 2 shown]
	v_mov_b32_e32 v82, v118
	v_dual_mov_b32 v76, v112 :: v_dual_mov_b32 v81, v117
	v_dual_mov_b32 v80, v116 :: v_dual_mov_b32 v85, v121
	;; [unrolled: 1-line block ×6, first 2 shown]
	v_mov_b32_e32 v81, v45
	v_dual_mov_b32 v65, v89 :: v_dual_mov_b32 v72, v96
	v_mov_b32_e32 v29, v2
	s_delay_alu instid0(VALU_DEP_3)
	v_dual_mov_b32 v110, v86 :: v_dual_mov_b32 v105, v81
	v_dual_mov_b32 v70, v94 :: v_dual_mov_b32 v73, v97
	;; [unrolled: 1-line block ×11, first 2 shown]
	v_mov_b32_e32 v106, v46
	s_clause 0x2
	scratch_store_b128 off, v[3:6], off offset:48
	scratch_store_b128 off, v[7:10], off offset:64
	;; [unrolled: 1-line block ×3, first 2 shown]
	v_dual_mov_b32 v100, v76 :: v_dual_mov_b32 v3, v63
	v_dual_mov_b32 v12, v72 :: v_dual_mov_b32 v5, v65
	;; [unrolled: 1-line block ×16, first 2 shown]
	v_mov_b32_e32 v26, v50
.LBB144_49:
	s_or_b32 exec_lo, exec_lo, s2
	v_mov_b32_e32 v2, v30
	s_mov_b32 s2, exec_lo
	v_cmpx_lt_f32_e32 v1, v30
	s_cbranch_execz .LBB144_51
; %bb.50:
	s_clause 0x2
	scratch_load_b128 v[2:5], off, off
	scratch_load_b128 v[6:9], off, off offset:16
	scratch_load_b128 v[10:13], off, off offset:32
	v_dual_mov_b32 v29, v30 :: v_dual_mov_b32 v30, v1
	v_dual_mov_b32 v161, v54 :: v_dual_mov_b32 v54, v53
	s_waitcnt vmcnt(0)
	v_dual_mov_b32 v170, v13 :: v_dual_mov_b32 v169, v12
	v_mov_b32_e32 v160, v3
	v_dual_mov_b32 v162, v5 :: v_dual_mov_b32 v159, v2
	v_dual_mov_b32 v173, v42 :: v_dual_mov_b32 v168, v11
	;; [unrolled: 1-line block ×3, first 2 shown]
	s_delay_alu instid0(VALU_DEP_3)
	v_dual_mov_b32 v165, v8 :: v_dual_mov_b32 v2, v159
	v_dual_mov_b32 v3, v160 :: v_dual_mov_b32 v4, v161
	;; [unrolled: 1-line block ×3, first 2 shown]
	s_clause 0x2
	scratch_store_b128 off, v[2:5], off
	scratch_store_b128 off, v[6:9], off offset:16
	scratch_store_b128 off, v[10:13], off offset:32
	v_dual_mov_b32 v162, v53 :: v_dual_mov_b32 v135, v171
	v_dual_mov_b32 v140, v176 :: v_dual_mov_b32 v141, v177
	;; [unrolled: 1-line block ×14, first 2 shown]
	v_mov_b32_e32 v137, v173
	v_dual_mov_b32 v123, v147 :: v_dual_mov_b32 v126, v150
	v_dual_mov_b32 v124, v148 :: v_dual_mov_b32 v111, v135
	s_delay_alu instid0(VALU_DEP_4)
	v_dual_mov_b32 v112, v136 :: v_dual_mov_b32 v125, v149
	v_dual_mov_b32 v128, v152 :: v_dual_mov_b32 v115, v139
	v_dual_mov_b32 v116, v140 :: v_dual_mov_b32 v121, v145
	v_dual_mov_b32 v122, v146 :: v_dual_mov_b32 v127, v151
	v_dual_mov_b32 v130, v154 :: v_dual_mov_b32 v129, v153
	v_dual_mov_b32 v132, v156 :: v_dual_mov_b32 v131, v155
	v_dual_mov_b32 v134, v158 :: v_dual_mov_b32 v133, v157
	v_mov_b32_e32 v128, v56
	v_dual_mov_b32 v116, v44 :: v_dual_mov_b32 v87, v123
	v_dual_mov_b32 v113, v137 :: v_dual_mov_b32 v114, v138
	;; [unrolled: 1-line block ×21, first 2 shown]
	v_mov_b32_e32 v81, v45
	v_dual_mov_b32 v63, v87 :: v_dual_mov_b32 v66, v90
	v_mov_b32_e32 v64, v88
	v_dual_mov_b32 v110, v86 :: v_dual_mov_b32 v109, v85
	v_dual_mov_b32 v65, v89 :: v_dual_mov_b32 v68, v92
	;; [unrolled: 1-line block ×9, first 2 shown]
	v_mov_b32_e32 v102, v78
	v_dual_mov_b32 v42, v41 :: v_dual_mov_b32 v103, v79
	v_mov_b32_e32 v100, v76
	v_mov_b32_e32 v106, v46
	s_clause 0x2
	scratch_store_b128 off, v[2:5], off offset:48
	scratch_store_b128 off, v[6:9], off offset:64
	;; [unrolled: 1-line block ×3, first 2 shown]
	v_dual_mov_b32 v2, v1 :: v_dual_mov_b32 v107, v83
	v_mov_b32_e32 v3, v63
	v_mov_b32_e32 v5, v65
	v_dual_mov_b32 v7, v67 :: v_dual_mov_b32 v14, v74
	v_dual_mov_b32 v15, v99 :: v_dual_mov_b32 v6, v66
	;; [unrolled: 1-line block ×14, first 2 shown]
	v_mov_b32_e32 v24, v48
	v_mov_b32_e32 v26, v50
.LBB144_51:
	s_or_b32 exec_lo, exec_lo, s2
	v_mov_b32_e32 v1, v31
	s_mov_b32 s2, exec_lo
	v_cmpx_lt_f32_e32 v2, v31
	s_cbranch_execz .LBB144_53
; %bb.52:
	s_clause 0x2
	scratch_load_b128 v[3:6], off, off
	scratch_load_b128 v[7:10], off, off offset:16
	scratch_load_b128 v[11:14], off, off offset:32
	v_dual_mov_b32 v30, v31 :: v_dual_mov_b32 v31, v2
	v_mov_b32_e32 v1, v2
	s_waitcnt vmcnt(0)
	v_dual_mov_b32 v170, v14 :: v_dual_mov_b32 v169, v13
	v_dual_mov_b32 v161, v5 :: v_dual_mov_b32 v160, v4
	;; [unrolled: 1-line block ×5, first 2 shown]
	v_mov_b32_e32 v174, v43
	v_mov_b32_e32 v159, v3
	;; [unrolled: 1-line block ×3, first 2 shown]
	v_dual_mov_b32 v135, v171 :: v_dual_mov_b32 v136, v172
	v_mov_b32_e32 v137, v173
	s_delay_alu instid0(VALU_DEP_4) | instskip(NEXT) | instid1(VALU_DEP_4)
	v_dual_mov_b32 v147, v159 :: v_dual_mov_b32 v148, v160
	v_dual_mov_b32 v149, v161 :: v_dual_mov_b32 v150, v162
	;; [unrolled: 1-line block ×10, first 2 shown]
	v_mov_b32_e32 v139, v42
	v_mov_b32_e32 v151, v54
	v_dual_mov_b32 v146, v182 :: v_dual_mov_b32 v123, v147
	v_dual_mov_b32 v111, v135 :: v_dual_mov_b32 v112, v136
	;; [unrolled: 1-line block ×3, first 2 shown]
	s_delay_alu instid0(VALU_DEP_4)
	v_dual_mov_b32 v124, v148 :: v_dual_mov_b32 v127, v151
	v_dual_mov_b32 v128, v152 :: v_dual_mov_b32 v131, v155
	;; [unrolled: 1-line block ×9, first 2 shown]
	v_mov_b32_e32 v120, v144
	v_dual_mov_b32 v116, v44 :: v_dual_mov_b32 v87, v123
	v_mov_b32_e32 v114, v138
	v_dual_mov_b32 v98, v134 :: v_dual_mov_b32 v75, v111
	v_dual_mov_b32 v88, v124 :: v_dual_mov_b32 v89, v125
	;; [unrolled: 1-line block ×3, first 2 shown]
	v_mov_b32_e32 v86, v122
	v_dual_mov_b32 v90, v126 :: v_dual_mov_b32 v91, v127
	v_dual_mov_b32 v92, v128 :: v_dual_mov_b32 v93, v129
	;; [unrolled: 1-line block ×8, first 2 shown]
	v_mov_b32_e32 v79, v115
	v_mov_b32_e32 v81, v45
	v_dual_mov_b32 v63, v87 :: v_dual_mov_b32 v66, v90
	v_dual_mov_b32 v64, v88 :: v_dual_mov_b32 v73, v97
	;; [unrolled: 1-line block ×9, first 2 shown]
	v_mov_b32_e32 v108, v84
	v_dual_mov_b32 v106, v46 :: v_dual_mov_b32 v3, v63
	v_dual_mov_b32 v105, v81 :: v_dual_mov_b32 v104, v80
	;; [unrolled: 1-line block ×19, first 2 shown]
	v_mov_b32_e32 v26, v50
	v_mov_b32_e32 v43, v42
	;; [unrolled: 1-line block ×3, first 2 shown]
	s_clause 0x2
	scratch_store_b128 off, v[171:174], off offset:48
	scratch_store_b128 off, v[175:178], off offset:64
	;; [unrolled: 1-line block ×3, first 2 shown]
.LBB144_53:
	s_or_b32 exec_lo, exec_lo, s2
	v_mov_b32_e32 v2, v32
	s_mov_b32 s2, exec_lo
	v_cmpx_lt_f32_e32 v1, v32
	s_cbranch_execz .LBB144_55
; %bb.54:
	s_clause 0x2
	scratch_load_b128 v[2:5], off, off offset:48
	scratch_load_b128 v[6:9], off, off offset:64
	;; [unrolled: 1-line block ×3, first 2 shown]
	v_dual_mov_b32 v163, v56 :: v_dual_mov_b32 v56, v55
	s_waitcnt vmcnt(0)
	v_dual_mov_b32 v31, v32 :: v_dual_mov_b32 v146, v13
	v_dual_mov_b32 v138, v5 :: v_dual_mov_b32 v137, v4
	;; [unrolled: 1-line block ×6, first 2 shown]
	v_mov_b32_e32 v139, v44
	v_dual_mov_b32 v123, v159 :: v_dual_mov_b32 v124, v160
	v_dual_mov_b32 v125, v161 :: v_dual_mov_b32 v128, v164
	;; [unrolled: 1-line block ×12, first 2 shown]
	v_mov_b32_e32 v120, v144
	v_mov_b32_e32 v116, v43
	v_dual_mov_b32 v87, v123 :: v_dual_mov_b32 v88, v124
	v_dual_mov_b32 v89, v125 :: v_dual_mov_b32 v98, v134
	;; [unrolled: 1-line block ×12, first 2 shown]
	v_mov_b32_e32 v79, v115
	v_mov_b32_e32 v81, v45
	v_dual_mov_b32 v63, v87 :: v_dual_mov_b32 v66, v90
	v_dual_mov_b32 v64, v88 :: v_dual_mov_b32 v73, v97
	;; [unrolled: 1-line block ×8, first 2 shown]
	v_mov_b32_e32 v70, v58
	v_dual_mov_b32 v106, v46 :: v_dual_mov_b32 v65, v89
	v_dual_mov_b32 v68, v92 :: v_dual_mov_b32 v105, v81
	;; [unrolled: 1-line block ×4, first 2 shown]
	v_mov_b32_e32 v100, v76
	v_dual_mov_b32 v32, v1 :: v_dual_mov_b32 v3, v63
	v_dual_mov_b32 v14, v74 :: v_dual_mov_b32 v15, v99
	v_mov_b32_e32 v26, v110
	v_dual_mov_b32 v10, v70 :: v_dual_mov_b32 v11, v71
	v_dual_mov_b32 v12, v72 :: v_dual_mov_b32 v13, v73
	;; [unrolled: 1-line block ×20, first 2 shown]
	v_mov_b32_e32 v2, v1
	v_mov_b32_e32 v44, v43
.LBB144_55:
	s_or_b32 exec_lo, exec_lo, s2
	v_mov_b32_e32 v1, v33
	s_mov_b32 s2, exec_lo
	v_cmpx_lt_f32_e32 v2, v33
	s_cbranch_execz .LBB144_57
; %bb.56:
	v_mov_b32_e32 v140, v45
	v_dual_mov_b32 v152, v57 :: v_dual_mov_b32 v75, v135
	v_dual_mov_b32 v87, v147 :: v_dual_mov_b32 v90, v150
	;; [unrolled: 1-line block ×3, first 2 shown]
	s_delay_alu instid0(VALU_DEP_3)
	v_dual_mov_b32 v92, v152 :: v_dual_mov_b32 v93, v153
	v_dual_mov_b32 v76, v136 :: v_dual_mov_b32 v79, v139
	;; [unrolled: 1-line block ×6, first 2 shown]
	v_mov_b32_e32 v93, v56
	v_dual_mov_b32 v84, v144 :: v_dual_mov_b32 v63, v87
	v_dual_mov_b32 v78, v138 :: v_dual_mov_b32 v81, v141
	;; [unrolled: 1-line block ×5, first 2 shown]
	s_delay_alu instid0(VALU_DEP_3) | instskip(SKIP_1) | instid1(VALU_DEP_4)
	v_dual_mov_b32 v110, v86 :: v_dual_mov_b32 v109, v85
	v_dual_mov_b32 v100, v76 :: v_dual_mov_b32 v99, v75
	;; [unrolled: 1-line block ×11, first 2 shown]
	v_mov_b32_e32 v106, v46
	v_dual_mov_b32 v70, v58 :: v_dual_mov_b32 v15, v99
	v_dual_mov_b32 v3, v63 :: v_dual_mov_b32 v24, v108
	;; [unrolled: 1-line block ×3, first 2 shown]
	s_delay_alu instid0(VALU_DEP_3)
	v_dual_mov_b32 v10, v70 :: v_dual_mov_b32 v11, v71
	v_dual_mov_b32 v12, v72 :: v_dual_mov_b32 v13, v73
	;; [unrolled: 1-line block ×26, first 2 shown]
	v_mov_b32_e32 v1, v2
	v_dual_mov_b32 v134, v158 :: v_dual_mov_b32 v45, v44
	v_mov_b32_e32 v57, v56
.LBB144_57:
	s_or_b32 exec_lo, exec_lo, s2
	v_mov_b32_e32 v2, v34
	s_mov_b32 s2, exec_lo
	v_cmpx_lt_f32_e32 v1, v34
	s_cbranch_execz .LBB144_59
; %bb.58:
	v_mov_b32_e32 v129, v58
	v_dual_mov_b32 v63, v123 :: v_dual_mov_b32 v70, v130
	v_dual_mov_b32 v70, v57 :: v_dual_mov_b32 v71, v131
	;; [unrolled: 1-line block ×22, first 2 shown]
	v_mov_b32_e32 v34, v1
	v_dual_mov_b32 v5, v65 :: v_dual_mov_b32 v6, v66
	v_dual_mov_b32 v7, v67 :: v_dual_mov_b32 v8, v68
	;; [unrolled: 1-line block ×20, first 2 shown]
	v_mov_b32_e32 v2, v1
	v_mov_b32_e32 v46, v45
	;; [unrolled: 1-line block ×3, first 2 shown]
.LBB144_59:
	s_or_b32 exec_lo, exec_lo, s2
	v_mov_b32_e32 v1, v35
	s_mov_b32 s2, exec_lo
	v_cmpx_lt_f32_e32 v2, v35
	s_cbranch_execz .LBB144_61
; %bb.60:
	v_mov_b32_e32 v94, v59
	v_dual_mov_b32 v34, v35 :: v_dual_mov_b32 v35, v2
	v_mov_b32_e32 v82, v47
	v_dual_mov_b32 v3, v87 :: v_dual_mov_b32 v4, v88
	v_dual_mov_b32 v12, v96 :: v_dual_mov_b32 v9, v93
	v_dual_mov_b32 v12, v60 :: v_dual_mov_b32 v15, v75
	v_dual_mov_b32 v110, v86 :: v_dual_mov_b32 v105, v81
	v_dual_mov_b32 v8, v92 :: v_dual_mov_b32 v11, v95
	v_dual_mov_b32 v10, v94 :: v_dual_mov_b32 v13, v97
	v_dual_mov_b32 v14, v98 :: v_dual_mov_b32 v13, v61
	v_dual_mov_b32 v20, v80 :: v_dual_mov_b32 v23, v83
	v_dual_mov_b32 v22, v82 :: v_dual_mov_b32 v25, v85
	v_dual_mov_b32 v24, v84 :: v_dual_mov_b32 v23, v46
	v_dual_mov_b32 v26, v86 :: v_dual_mov_b32 v25, v49
	v_dual_mov_b32 v102, v78 :: v_dual_mov_b32 v63, v87
	v_dual_mov_b32 v5, v89 :: v_dual_mov_b32 v6, v90
	v_mov_b32_e32 v7, v91
	v_mov_b32_e32 v11, v58
	v_dual_mov_b32 v14, v62 :: v_dual_mov_b32 v17, v77
	v_dual_mov_b32 v16, v76 :: v_dual_mov_b32 v19, v79
	v_dual_mov_b32 v18, v78 :: v_dual_mov_b32 v21, v81
	v_dual_mov_b32 v24, v48 :: v_dual_mov_b32 v109, v85
	v_dual_mov_b32 v26, v50 :: v_dual_mov_b32 v107, v83
	v_dual_mov_b32 v108, v84 :: v_dual_mov_b32 v103, v79
	v_dual_mov_b32 v106, v82 :: v_dual_mov_b32 v101, v77
	v_dual_mov_b32 v104, v80 :: v_dual_mov_b32 v99, v75
	v_dual_mov_b32 v100, v76 :: v_dual_mov_b32 v65, v89
	v_dual_mov_b32 v64, v88 :: v_dual_mov_b32 v67, v91
	v_dual_mov_b32 v66, v90 :: v_dual_mov_b32 v69, v93
	v_dual_mov_b32 v68, v92 :: v_dual_mov_b32 v71, v95
	v_dual_mov_b32 v70, v94 :: v_dual_mov_b32 v73, v97
	v_dual_mov_b32 v72, v96 :: v_dual_mov_b32 v1, v2
	v_mov_b32_e32 v47, v46
	v_mov_b32_e32 v59, v58
	;; [unrolled: 1-line block ×3, first 2 shown]
.LBB144_61:
	s_or_b32 exec_lo, exec_lo, s2
	v_mov_b32_e32 v39, v36
	s_mov_b32 s2, exec_lo
	v_cmpx_lt_f32_e32 v1, v36
	s_cbranch_execz .LBB144_63
; %bb.62:
	v_dual_mov_b32 v71, v60 :: v_dual_mov_b32 v72, v59
	v_dual_mov_b32 v73, v61 :: v_dual_mov_b32 v108, v47
	;; [unrolled: 1-line block ×17, first 2 shown]
	v_mov_b32_e32 v39, v1
.LBB144_63:
	s_or_b32 exec_lo, exec_lo, s2
	s_delay_alu instid0(VALU_DEP_1)
	v_cmp_lt_f32_e32 vcc_lo, v39, v37
	v_dual_mov_b32 v40, v28 :: v_dual_mov_b32 v43, v31
	v_dual_mov_b32 v42, v30 :: v_dual_mov_b32 v45, v33
	v_dual_cndmask_b32 v1, v25, v24 :: v_dual_cndmask_b32 v24, v24, v25
	v_cndmask_b32_e32 v2, v13, v12, vcc_lo
	v_dual_cndmask_b32 v12, v12, v13 :: v_dual_cndmask_b32 v49, v37, v39
	v_dual_cndmask_b32 v48, v36, v37 :: v_dual_mov_b32 v41, v29
	v_dual_mov_b32 v39, v27 :: v_dual_mov_b32 v44, v32
	v_dual_mov_b32 v47, v35 :: v_dual_mov_b32 v46, v34
	v_mov_b32_e32 v50, v38
	s_mov_b32 s2, exec_lo
	v_cmpx_lt_f32_e32 v27, v28
	s_cbranch_execz .LBB144_65
; %bb.64:
	v_dual_mov_b32 v28, v40 :: v_dual_mov_b32 v29, v39
	v_dual_mov_b32 v38, v49 :: v_dual_mov_b32 v39, v50
	;; [unrolled: 1-line block ×6, first 2 shown]
	v_mov_b32_e32 v50, v39
	v_mov_b32_e32 v13, v15
	v_dual_mov_b32 v25, v3 :: v_dual_mov_b32 v44, v33
	v_swap_b32 v15, v16
	v_swap_b32 v3, v4
	v_dual_mov_b32 v49, v38 :: v_dual_mov_b32 v46, v35
	v_dual_mov_b32 v48, v37 :: v_dual_mov_b32 v47, v36
	v_dual_mov_b32 v42, v31 :: v_dual_mov_b32 v45, v34
	v_dual_mov_b32 v40, v29 :: v_dual_mov_b32 v43, v32
	v_mov_b32_e32 v41, v30
	v_dual_mov_b32 v39, v28 :: v_dual_mov_b32 v28, v27
.LBB144_65:
	s_or_b32 exec_lo, exec_lo, s2
	v_mov_b32_e32 v13, v2
	v_dual_mov_b32 v25, v1 :: v_dual_mov_b32 v62, v14
	v_dual_mov_b32 v74, v26 :: v_dual_mov_b32 v63, v15
	v_mov_b32_e32 v86, v26
	v_dual_mov_b32 v72, v24 :: v_dual_mov_b32 v75, v15
	v_dual_mov_b32 v110, v26 :: v_dual_mov_b32 v53, v5
	;; [unrolled: 1-line block ×61, first 2 shown]
	v_mov_b32_e32 v149, v5
	v_mov_b32_e32 v147, v3
	;; [unrolled: 1-line block ×3, first 2 shown]
	s_mov_b32 s2, exec_lo
	v_dual_mov_b32 v85, v25 :: v_dual_mov_b32 v84, v24
	v_dual_mov_b32 v83, v23 :: v_dual_mov_b32 v82, v22
	s_clause 0x2
	scratch_store_b128 off, v[3:6], off
	scratch_store_b128 off, v[7:10], off offset:16
	scratch_store_b128 off, v[11:14], off offset:32
	v_cmpx_lt_f32_e32 v28, v41
	s_cbranch_execz .LBB144_67
; %bb.66:
	v_dual_mov_b32 v158, v14 :: v_dual_mov_b32 v157, v13
	v_dual_mov_b32 v150, v6 :: v_dual_mov_b32 v149, v5
	;; [unrolled: 1-line block ×7, first 2 shown]
	s_clause 0x2
	scratch_store_b128 off, v[147:150], off
	scratch_store_b128 off, v[151:154], off offset:16
	scratch_store_b128 off, v[155:158], off offset:32
	v_dual_mov_b32 v182, v26 :: v_dual_mov_b32 v181, v25
	v_dual_mov_b32 v172, v16 :: v_dual_mov_b32 v171, v15
	;; [unrolled: 1-line block ×8, first 2 shown]
	s_delay_alu instid0(VALU_DEP_4) | instskip(SKIP_1) | instid1(VALU_DEP_4)
	v_dual_mov_b32 v160, v172 :: v_dual_mov_b32 v161, v173
	v_dual_mov_b32 v162, v174 :: v_dual_mov_b32 v163, v175
	;; [unrolled: 1-line block ×4, first 2 shown]
	v_mov_b32_e32 v170, v182
	v_dual_mov_b32 v166, v178 :: v_dual_mov_b32 v167, v179
	v_mov_b32_e32 v162, v18
	v_dual_mov_b32 v40, v41 :: v_dual_mov_b32 v41, v28
	v_mov_b32_e32 v5, v4
	v_mov_b32_e32 v17, v16
	;; [unrolled: 1-line block ×3, first 2 shown]
	v_dual_mov_b32 v137, v149 :: v_dual_mov_b32 v144, v156
	v_dual_mov_b32 v123, v159 :: v_dual_mov_b32 v136, v148
	;; [unrolled: 1-line block ×12, first 2 shown]
	v_mov_b32_e32 v133, v169
	v_dual_mov_b32 v111, v135 :: v_dual_mov_b32 v112, v136
	v_dual_mov_b32 v99, v123 :: v_dual_mov_b32 v100, v124
	;; [unrolled: 1-line block ×12, first 2 shown]
	v_mov_b32_e32 v104, v20
	v_dual_mov_b32 v116, v8 :: v_dual_mov_b32 v75, v99
	v_mov_b32_e32 v87, v111
	v_dual_mov_b32 v93, v117 :: v_dual_mov_b32 v78, v102
	s_delay_alu instid0(VALU_DEP_3)
	v_dual_mov_b32 v81, v105 :: v_dual_mov_b32 v92, v116
	v_dual_mov_b32 v90, v114 :: v_dual_mov_b32 v91, v115
	;; [unrolled: 1-line block ×11, first 2 shown]
	v_mov_b32_e32 v51, v87
	v_dual_mov_b32 v63, v75 :: v_dual_mov_b32 v66, v78
	v_dual_mov_b32 v55, v91 :: v_dual_mov_b32 v58, v94
	;; [unrolled: 1-line block ×14, first 2 shown]
	v_mov_b32_e32 v72, v24
	v_dual_mov_b32 v62, v14 :: v_dual_mov_b32 v71, v23
	v_dual_mov_b32 v70, v22 :: v_dual_mov_b32 v73, v1
	v_mov_b32_e32 v74, v26
.LBB144_67:
	s_or_b32 exec_lo, exec_lo, s2
	v_mov_b32_e32 v3, v42
	v_cmp_lt_f32_e32 vcc_lo, v13, v42
	s_mov_b32 s2, exec_lo
	s_clause 0x2
	scratch_load_b128 v[27:30], off, off
	scratch_load_b128 v[31:34], off, off offset:16
	scratch_load_b128 v[35:38], off, off offset:32
	s_and_b32 s3, s2, vcc_lo
	s_delay_alu instid0(SALU_CYCLE_1)
	s_mov_b32 exec_lo, s3
	s_cbranch_execz .LBB144_69
; %bb.68:
	v_mov_b32_e32 v173, v18
	s_waitcnt vmcnt(2)
	v_mov_b32_e32 v29, v6
	v_dual_mov_b32 v159, v171 :: v_dual_mov_b32 v160, v172
	s_waitcnt vmcnt(0)
	v_dual_mov_b32 v158, v38 :: v_dual_mov_b32 v157, v37
	v_dual_mov_b32 v156, v36 :: v_dual_mov_b32 v147, v27
	;; [unrolled: 1-line block ×6, first 2 shown]
	v_mov_b32_e32 v168, v180
	v_dual_mov_b32 v164, v176 :: v_dual_mov_b32 v165, v177
	v_dual_mov_b32 v170, v182 :: v_dual_mov_b32 v155, v35
	;; [unrolled: 1-line block ×4, first 2 shown]
	v_mov_b32_e32 v150, v5
	v_mov_b32_e32 v169, v181
	v_dual_mov_b32 v162, v17 :: v_dual_mov_b32 v135, v147
	v_dual_mov_b32 v136, v148 :: v_dual_mov_b32 v123, v159
	;; [unrolled: 1-line block ×13, first 2 shown]
	v_mov_b32_e32 v139, v7
	v_dual_mov_b32 v99, v123 :: v_dual_mov_b32 v100, v124
	v_dual_mov_b32 v111, v135 :: v_dual_mov_b32 v114, v138
	;; [unrolled: 1-line block ×4, first 2 shown]
	v_mov_b32_e32 v120, v144
	v_dual_mov_b32 v104, v128 :: v_dual_mov_b32 v105, v129
	v_dual_mov_b32 v110, v134 :: v_dual_mov_b32 v115, v139
	;; [unrolled: 1-line block ×21, first 2 shown]
	v_mov_b32_e32 v93, v9
	v_dual_mov_b32 v63, v75 :: v_dual_mov_b32 v64, v76
	v_dual_mov_b32 v51, v87 :: v_dual_mov_b32 v54, v90
	;; [unrolled: 1-line block ×3, first 2 shown]
	s_delay_alu instid0(VALU_DEP_4)
	v_dual_mov_b32 v58, v94 :: v_dual_mov_b32 v57, v93
	v_dual_mov_b32 v60, v96 :: v_dual_mov_b32 v59, v95
	;; [unrolled: 1-line block ×9, first 2 shown]
	v_mov_b32_e32 v42, v13
	v_dual_mov_b32 v53, v89 :: v_dual_mov_b32 v56, v92
	v_dual_mov_b32 v68, v80 :: v_dual_mov_b32 v59, v11
	v_mov_b32_e32 v62, v14
	v_dual_mov_b32 v61, v2 :: v_dual_mov_b32 v72, v24
	v_dual_mov_b32 v70, v22 :: v_dual_mov_b32 v71, v23
	;; [unrolled: 1-line block ×3, first 2 shown]
	v_mov_b32_e32 v3, v13
	v_mov_b32_e32 v18, v17
	;; [unrolled: 1-line block ×3, first 2 shown]
.LBB144_69:
	s_or_b32 exec_lo, exec_lo, s2
	v_mov_b32_e32 v4, v43
	s_mov_b32 s2, exec_lo
	v_cmpx_lt_f32_e32 v3, v43
	s_cbranch_execz .LBB144_71
; %bb.70:
	v_mov_b32_e32 v174, v19
	s_waitcnt vmcnt(2)
	v_mov_b32_e32 v30, v7
	v_mov_b32_e32 v123, v171
	s_waitcnt vmcnt(0)
	v_dual_mov_b32 v125, v173 :: v_dual_mov_b32 v146, v38
	s_delay_alu instid0(VALU_DEP_3)
	v_dual_mov_b32 v143, v35 :: v_dual_mov_b32 v138, v30
	v_mov_b32_e32 v135, v27
	v_dual_mov_b32 v145, v37 :: v_dual_mov_b32 v142, v34
	v_dual_mov_b32 v139, v31 :: v_dual_mov_b32 v136, v28
	;; [unrolled: 1-line block ×6, first 2 shown]
	v_mov_b32_e32 v139, v6
	v_dual_mov_b32 v127, v18 :: v_dual_mov_b32 v124, v172
	v_dual_mov_b32 v126, v174 :: v_dual_mov_b32 v129, v177
	;; [unrolled: 1-line block ×15, first 2 shown]
	v_mov_b32_e32 v110, v134
	v_mov_b32_e32 v104, v20
	v_dual_mov_b32 v116, v8 :: v_dual_mov_b32 v75, v99
	v_mov_b32_e32 v87, v111
	v_dual_mov_b32 v93, v117 :: v_dual_mov_b32 v78, v102
	s_delay_alu instid0(VALU_DEP_3)
	v_dual_mov_b32 v81, v105 :: v_dual_mov_b32 v92, v116
	v_dual_mov_b32 v80, v104 :: v_dual_mov_b32 v83, v107
	;; [unrolled: 1-line block ×11, first 2 shown]
	v_mov_b32_e32 v63, v75
	s_delay_alu instid0(VALU_DEP_3)
	v_dual_mov_b32 v51, v87 :: v_dual_mov_b32 v54, v90
	v_dual_mov_b32 v71, v83 :: v_dual_mov_b32 v72, v84
	v_dual_mov_b32 v57, v93 :: v_dual_mov_b32 v58, v94
	v_dual_mov_b32 v59, v95 :: v_dual_mov_b32 v60, v96
	v_dual_mov_b32 v61, v97 :: v_dual_mov_b32 v62, v98
	v_dual_mov_b32 v69, v81 :: v_dual_mov_b32 v70, v82
	v_dual_mov_b32 v73, v85 :: v_dual_mov_b32 v74, v86
	v_dual_mov_b32 v72, v24 :: v_dual_mov_b32 v159, v171
	v_dual_mov_b32 v158, v38 :: v_dual_mov_b32 v153, v33
	v_dual_mov_b32 v42, v43 :: v_dual_mov_b32 v53, v89
	v_dual_mov_b32 v43, v3 :: v_dual_mov_b32 v52, v88
	v_dual_mov_b32 v55, v91 :: v_dual_mov_b32 v56, v92
	v_dual_mov_b32 v64, v76 :: v_dual_mov_b32 v65, v77
	v_dual_mov_b32 v66, v78 :: v_dual_mov_b32 v67, v79
	v_mov_b32_e32 v68, v80
	v_dual_mov_b32 v58, v10 :: v_dual_mov_b32 v59, v11
	v_dual_mov_b32 v60, v12 :: v_dual_mov_b32 v61, v2
	;; [unrolled: 1-line block ×14, first 2 shown]
	v_mov_b32_e32 v150, v30
	v_dual_mov_b32 v148, v28 :: v_dual_mov_b32 v19, v18
	v_dual_mov_b32 v4, v3 :: v_dual_mov_b32 v7, v6
.LBB144_71:
	s_or_b32 exec_lo, exec_lo, s2
	v_mov_b32_e32 v3, v44
	s_mov_b32 s2, exec_lo
	s_delay_alu instid0(VALU_DEP_2)
	v_cmpx_lt_f32_e32 v4, v44
	s_cbranch_execz .LBB144_73
; %bb.72:
	v_mov_b32_e32 v163, v20
	v_mov_b32_e32 v151, v8
	v_dual_mov_b32 v99, v159 :: v_dual_mov_b32 v102, v162
	v_dual_mov_b32 v111, v147 :: v_dual_mov_b32 v112, v148
	;; [unrolled: 1-line block ×10, first 2 shown]
	v_mov_b32_e32 v108, v168
	v_dual_mov_b32 v104, v164 :: v_dual_mov_b32 v109, v169
	v_mov_b32_e32 v116, v7
	v_mov_b32_e32 v107, v167
	;; [unrolled: 1-line block ×3, first 2 shown]
	v_dual_mov_b32 v87, v111 :: v_dual_mov_b32 v90, v114
	v_dual_mov_b32 v88, v112 :: v_dual_mov_b32 v89, v113
	;; [unrolled: 1-line block ×12, first 2 shown]
	v_mov_b32_e32 v93, v9
	v_mov_b32_e32 v43, v44
	v_dual_mov_b32 v44, v4 :: v_dual_mov_b32 v81, v21
	v_dual_mov_b32 v51, v87 :: v_dual_mov_b32 v56, v92
	;; [unrolled: 1-line block ×15, first 2 shown]
	v_mov_b32_e32 v136, v148
	v_dual_mov_b32 v54, v90 :: v_dual_mov_b32 v59, v11
	v_mov_b32_e32 v62, v14
	v_dual_mov_b32 v61, v2 :: v_dual_mov_b32 v72, v24
	v_dual_mov_b32 v70, v22 :: v_dual_mov_b32 v71, v23
	;; [unrolled: 1-line block ×14, first 2 shown]
	v_mov_b32_e32 v8, v7
.LBB144_73:
	s_or_b32 exec_lo, exec_lo, s2
	v_mov_b32_e32 v4, v45
	s_mov_b32 s2, exec_lo
	v_cmpx_lt_f32_e32 v3, v45
	s_cbranch_execz .LBB144_75
; %bb.74:
	v_mov_b32_e32 v140, v9
	v_dual_mov_b32 v128, v21 :: v_dual_mov_b32 v87, v135
	v_mov_b32_e32 v93, v141
	v_dual_mov_b32 v93, v8 :: v_dual_mov_b32 v94, v142
	v_dual_mov_b32 v96, v144 :: v_dual_mov_b32 v97, v145
	v_mov_b32_e32 v98, v146
	v_dual_mov_b32 v44, v45 :: v_dual_mov_b32 v75, v123
	v_dual_mov_b32 v84, v132 :: v_dual_mov_b32 v85, v133
	;; [unrolled: 1-line block ×8, first 2 shown]
	v_mov_b32_e32 v81, v20
	v_dual_mov_b32 v51, v87 :: v_dual_mov_b32 v52, v88
	v_dual_mov_b32 v76, v124 :: v_dual_mov_b32 v77, v125
	;; [unrolled: 1-line block ×30, first 2 shown]
	v_mov_b32_e32 v120, v144
	v_dual_mov_b32 v122, v146 :: v_dual_mov_b32 v21, v20
	v_dual_mov_b32 v4, v3 :: v_dual_mov_b32 v9, v8
.LBB144_75:
	s_or_b32 exec_lo, exec_lo, s2
	v_mov_b32_e32 v3, v46
	s_mov_b32 s2, exec_lo
	s_delay_alu instid0(VALU_DEP_2)
	v_cmpx_lt_f32_e32 v4, v46
	s_cbranch_execz .LBB144_77
; %bb.76:
	v_mov_b32_e32 v117, v10
	v_dual_mov_b32 v45, v46 :: v_dual_mov_b32 v46, v4
	v_mov_b32_e32 v105, v22
	v_dual_mov_b32 v51, v111 :: v_dual_mov_b32 v54, v114
	v_dual_mov_b32 v56, v116 :: v_dual_mov_b32 v63, v99
	;; [unrolled: 1-line block ×6, first 2 shown]
	v_mov_b32_e32 v58, v9
	v_dual_mov_b32 v61, v121 :: v_dual_mov_b32 v60, v12
	v_dual_mov_b32 v67, v103 :: v_dual_mov_b32 v70, v106
	;; [unrolled: 1-line block ×8, first 2 shown]
	v_mov_b32_e32 v62, v14
	v_dual_mov_b32 v61, v2 :: v_dual_mov_b32 v64, v100
	v_dual_mov_b32 v65, v101 :: v_dual_mov_b32 v68, v104
	;; [unrolled: 1-line block ×15, first 2 shown]
	v_mov_b32_e32 v98, v122
.LBB144_77:
	s_or_b32 exec_lo, exec_lo, s2
	v_mov_b32_e32 v4, v47
	s_mov_b32 s2, exec_lo
	v_cmpx_lt_f32_e32 v3, v47
	s_cbranch_execz .LBB144_79
; %bb.78:
	v_dual_mov_b32 v84, v24 :: v_dual_mov_b32 v85, v1
	v_dual_mov_b32 v94, v11 :: v_dual_mov_b32 v95, v10
	;; [unrolled: 1-line block ×4, first 2 shown]
	v_mov_b32_e32 v86, v26
	v_mov_b32_e32 v46, v47
	v_dual_mov_b32 v47, v3 :: v_dual_mov_b32 v98, v14
	v_dual_mov_b32 v63, v75 :: v_dual_mov_b32 v72, v84
	;; [unrolled: 1-line block ×3, first 2 shown]
	v_mov_b32_e32 v67, v79
	v_dual_mov_b32 v65, v77 :: v_dual_mov_b32 v66, v78
	v_dual_mov_b32 v69, v81 :: v_dual_mov_b32 v68, v80
	;; [unrolled: 1-line block ×9, first 2 shown]
	v_mov_b32_e32 v62, v98
	v_mov_b32_e32 v4, v3
.LBB144_79:
	s_or_b32 exec_lo, exec_lo, s2
	s_delay_alu instid0(VALU_DEP_1)
	v_cmp_lt_f32_e32 vcc_lo, v4, v48
	v_dual_mov_b32 v3, v41 :: v_dual_mov_b32 v8, v46
	v_dual_mov_b32 v5, v43 :: v_dual_mov_b32 v12, v50
	s_waitcnt vmcnt(0)
	v_cndmask_b32_e32 v37, v72, v71, vcc_lo
	v_dual_cndmask_b32 v71, v71, v72 :: v_dual_cndmask_b32 v38, v60, v59
	v_dual_cndmask_b32 v59, v59, v60 :: v_dual_mov_b32 v2, v40
	v_dual_cndmask_b32 v10, v48, v4 :: v_dual_mov_b32 v1, v39
	;; [unrolled: 1-line block ×3, first 2 shown]
	v_dual_mov_b32 v4, v42 :: v_dual_mov_b32 v7, v45
	v_mov_b32_e32 v11, v49
	s_mov_b32 s2, exec_lo
	v_cmpx_lt_f32_e32 v39, v40
	s_cbranch_execz .LBB144_81
; %bb.80:
	v_dual_mov_b32 v13, v2 :: v_dual_mov_b32 v14, v1
	v_dual_mov_b32 v15, v3 :: v_dual_mov_b32 v16, v4
	;; [unrolled: 1-line block ×6, first 2 shown]
	v_mov_b32_e32 v25, v63
	v_dual_mov_b32 v26, v51 :: v_dual_mov_b32 v1, v13
	v_swap_b32 v63, v64
	v_swap_b32 v51, v52
	v_dual_mov_b32 v2, v14 :: v_dual_mov_b32 v3, v15
	v_dual_mov_b32 v4, v16 :: v_dual_mov_b32 v5, v17
	;; [unrolled: 1-line block ×5, first 2 shown]
	v_mov_b32_e32 v12, v24
	v_mov_b32_e32 v40, v39
.LBB144_81:
	s_or_b32 exec_lo, exec_lo, s2
	v_mov_b32_e32 v60, v38
	v_dual_mov_b32 v72, v37 :: v_dual_mov_b32 v13, v51
	v_dual_mov_b32 v25, v63 :: v_dual_mov_b32 v98, v74
	v_dual_mov_b32 v95, v71 :: v_dual_mov_b32 v110, v74
	v_dual_mov_b32 v107, v71 :: v_dual_mov_b32 v158, v74
	v_dual_mov_b32 v155, v71 :: v_dual_mov_b32 v146, v74
	v_dual_mov_b32 v143, v71 :: v_dual_mov_b32 v86, v62
	v_dual_mov_b32 v81, v57 :: v_dual_mov_b32 v122, v62
	v_dual_mov_b32 v117, v57 :: v_dual_mov_b32 v170, v62
	v_dual_mov_b32 v165, v57 :: v_dual_mov_b32 v134, v62
	v_dual_mov_b32 v129, v57 :: v_dual_mov_b32 v26, v64
	v_dual_mov_b32 v27, v65 :: v_dual_mov_b32 v28, v66
	v_dual_mov_b32 v29, v67 :: v_dual_mov_b32 v30, v68
	v_dual_mov_b32 v31, v69 :: v_dual_mov_b32 v32, v70
	v_dual_mov_b32 v33, v71 :: v_dual_mov_b32 v34, v72
	v_dual_mov_b32 v35, v73 :: v_dual_mov_b32 v36, v74
	v_dual_mov_b32 v97, v73 :: v_dual_mov_b32 v94, v70
	v_dual_mov_b32 v91, v67 :: v_dual_mov_b32 v92, v68
	v_dual_mov_b32 v89, v65 :: v_dual_mov_b32 v90, v66
	v_dual_mov_b32 v87, v63 :: v_dual_mov_b32 v88, v64
	v_dual_mov_b32 v109, v73 :: v_dual_mov_b32 v108, v72
	v_dual_mov_b32 v105, v69 :: v_dual_mov_b32 v106, v70
	v_dual_mov_b32 v103, v67 :: v_dual_mov_b32 v104, v68
	v_dual_mov_b32 v101, v65 :: v_dual_mov_b32 v102, v66
	v_dual_mov_b32 v99, v63 :: v_dual_mov_b32 v100, v64
	v_dual_mov_b32 v157, v73 :: v_dual_mov_b32 v156, v72
	v_dual_mov_b32 v153, v69 :: v_dual_mov_b32 v154, v70
	v_dual_mov_b32 v151, v67 :: v_dual_mov_b32 v152, v68
	v_dual_mov_b32 v149, v65 :: v_dual_mov_b32 v150, v66
	v_dual_mov_b32 v147, v63 :: v_dual_mov_b32 v148, v64
	v_dual_mov_b32 v145, v73 :: v_dual_mov_b32 v144, v72
	v_dual_mov_b32 v141, v69 :: v_dual_mov_b32 v142, v70
	v_dual_mov_b32 v139, v67 :: v_dual_mov_b32 v140, v68
	v_dual_mov_b32 v137, v65 :: v_dual_mov_b32 v138, v66
	v_dual_mov_b32 v135, v63 :: v_dual_mov_b32 v136, v64
	v_dual_mov_b32 v15, v53 :: v_dual_mov_b32 v14, v52
	v_dual_mov_b32 v17, v55 :: v_dual_mov_b32 v16, v54
	v_dual_mov_b32 v19, v57 :: v_dual_mov_b32 v18, v56
	v_dual_mov_b32 v21, v59 :: v_dual_mov_b32 v20, v58
	v_dual_mov_b32 v23, v61 :: v_dual_mov_b32 v22, v60
	v_dual_mov_b32 v85, v61 :: v_dual_mov_b32 v24, v62
	v_dual_mov_b32 v83, v59 :: v_dual_mov_b32 v84, v60
	v_dual_mov_b32 v79, v55 :: v_dual_mov_b32 v82, v58
	v_dual_mov_b32 v77, v53 :: v_dual_mov_b32 v80, v56
	v_dual_mov_b32 v75, v51 :: v_dual_mov_b32 v78, v54
	v_dual_mov_b32 v121, v61 :: v_dual_mov_b32 v76, v52
	v_dual_mov_b32 v119, v59 :: v_dual_mov_b32 v120, v60
	v_dual_mov_b32 v115, v55 :: v_dual_mov_b32 v118, v58
	v_dual_mov_b32 v113, v53 :: v_dual_mov_b32 v116, v56
	v_dual_mov_b32 v111, v51 :: v_dual_mov_b32 v114, v54
	v_dual_mov_b32 v169, v61 :: v_dual_mov_b32 v112, v52
	v_dual_mov_b32 v167, v59 :: v_dual_mov_b32 v168, v60
	v_dual_mov_b32 v163, v55 :: v_dual_mov_b32 v166, v58
	v_dual_mov_b32 v161, v53 :: v_dual_mov_b32 v164, v56
	v_dual_mov_b32 v159, v51 :: v_dual_mov_b32 v162, v54
	v_dual_mov_b32 v133, v61 :: v_dual_mov_b32 v160, v52
	v_dual_mov_b32 v131, v59 :: v_dual_mov_b32 v132, v60
	v_dual_mov_b32 v127, v55 :: v_dual_mov_b32 v130, v58
	v_dual_mov_b32 v125, v53 :: v_dual_mov_b32 v128, v56
	v_dual_mov_b32 v123, v51 :: v_dual_mov_b32 v126, v54
	v_dual_mov_b32 v39, v3 :: v_dual_mov_b32 v124, v52
	s_mov_b32 s2, exec_lo
	v_dual_mov_b32 v96, v72 :: v_dual_mov_b32 v93, v69
	v_cmpx_lt_f32_e32 v40, v3
	s_cbranch_execz .LBB144_83
; %bb.82:
	v_dual_mov_b32 v134, v62 :: v_dual_mov_b32 v133, v61
	v_dual_mov_b32 v124, v52 :: v_dual_mov_b32 v123, v51
	v_mov_b32_e32 v124, v53
	v_dual_mov_b32 v128, v56 :: v_dual_mov_b32 v127, v55
	v_dual_mov_b32 v132, v60 :: v_dual_mov_b32 v131, v59
	;; [unrolled: 1-line block ×11, first 2 shown]
	v_mov_b32_e32 v141, v69
	v_dual_mov_b32 v136, v65 :: v_dual_mov_b32 v137, v64
	v_dual_mov_b32 v160, v124 :: v_dual_mov_b32 v159, v123
	;; [unrolled: 1-line block ×40, first 2 shown]
	v_mov_b32_e32 v22, v84
	v_dual_mov_b32 v22, v38 :: v_dual_mov_b32 v25, v87
	v_dual_mov_b32 v16, v78 :: v_dual_mov_b32 v19, v81
	;; [unrolled: 1-line block ×16, first 2 shown]
	v_mov_b32_e32 v35, v73
	v_dual_mov_b32 v34, v37 :: v_dual_mov_b32 v39, v40
	v_dual_mov_b32 v36, v74 :: v_dual_mov_b32 v65, v64
	v_mov_b32_e32 v53, v52
.LBB144_83:
	s_or_b32 exec_lo, exec_lo, s2
	v_mov_b32_e32 v40, v4
	s_mov_b32 s2, exec_lo
	v_cmpx_lt_f32_e32 v39, v4
	s_cbranch_execz .LBB144_85
; %bb.84:
	v_mov_b32_e32 v137, v66
	v_mov_b32_e32 v125, v54
	;; [unrolled: 1-line block ×4, first 2 shown]
	v_dual_mov_b32 v170, v134 :: v_dual_mov_b32 v169, v133
	v_dual_mov_b32 v168, v132 :: v_dual_mov_b32 v159, v123
	;; [unrolled: 1-line block ×9, first 2 shown]
	v_mov_b32_e32 v157, v145
	v_dual_mov_b32 v155, v143 :: v_dual_mov_b32 v152, v140
	v_mov_b32_e32 v162, v53
	v_mov_b32_e32 v149, v137
	v_dual_mov_b32 v150, v65 :: v_dual_mov_b32 v111, v159
	v_dual_mov_b32 v112, v160 :: v_dual_mov_b32 v99, v147
	;; [unrolled: 1-line block ×13, first 2 shown]
	v_mov_b32_e32 v115, v55
	v_dual_mov_b32 v87, v99 :: v_dual_mov_b32 v88, v100
	v_dual_mov_b32 v75, v111 :: v_dual_mov_b32 v78, v114
	;; [unrolled: 1-line block ×3, first 2 shown]
	s_delay_alu instid0(VALU_DEP_4)
	v_dual_mov_b32 v80, v116 :: v_dual_mov_b32 v79, v115
	v_dual_mov_b32 v82, v118 :: v_dual_mov_b32 v81, v117
	;; [unrolled: 1-line block ×6, first 2 shown]
	v_mov_b32_e32 v96, v108
	v_dual_mov_b32 v92, v104 :: v_dual_mov_b32 v93, v105
	v_dual_mov_b32 v98, v110 :: v_dual_mov_b32 v95, v107
	;; [unrolled: 1-line block ×21, first 2 shown]
	v_mov_b32_e32 v34, v37
	v_dual_mov_b32 v35, v73 :: v_dual_mov_b32 v36, v74
	v_mov_b32_e32 v40, v39
	v_mov_b32_e32 v66, v65
	;; [unrolled: 1-line block ×3, first 2 shown]
.LBB144_85:
	s_or_b32 exec_lo, exec_lo, s2
	v_mov_b32_e32 v39, v5
	s_mov_b32 s2, exec_lo
	v_cmpx_lt_f32_e32 v40, v5
	s_cbranch_execz .LBB144_87
; %bb.86:
	v_mov_b32_e32 v126, v55
	v_mov_b32_e32 v111, v123
	;; [unrolled: 1-line block ×3, first 2 shown]
	v_dual_mov_b32 v115, v54 :: v_dual_mov_b32 v116, v128
	v_dual_mov_b32 v138, v67 :: v_dual_mov_b32 v113, v125
	v_mov_b32_e32 v112, v124
	v_dual_mov_b32 v118, v130 :: v_dual_mov_b32 v119, v131
	v_dual_mov_b32 v120, v132 :: v_dual_mov_b32 v121, v133
	;; [unrolled: 1-line block ×24, first 2 shown]
	v_mov_b32_e32 v22, v84
	v_dual_mov_b32 v22, v38 :: v_dual_mov_b32 v25, v87
	v_dual_mov_b32 v16, v78 :: v_dual_mov_b32 v19, v81
	;; [unrolled: 1-line block ×18, first 2 shown]
	v_mov_b32_e32 v35, v73
	v_dual_mov_b32 v34, v37 :: v_dual_mov_b32 v155, v143
	v_dual_mov_b32 v36, v74 :: v_dual_mov_b32 v157, v145
	;; [unrolled: 1-line block ×12, first 2 shown]
	v_mov_b32_e32 v55, v54
.LBB144_87:
	s_or_b32 exec_lo, exec_lo, s2
	v_mov_b32_e32 v40, v6
	s_mov_b32 s2, exec_lo
	v_cmpx_lt_f32_e32 v39, v6
	s_cbranch_execz .LBB144_89
; %bb.88:
	v_mov_b32_e32 v163, v56
	v_dual_mov_b32 v75, v159 :: v_dual_mov_b32 v80, v164
	v_dual_mov_b32 v80, v55 :: v_dual_mov_b32 v81, v165
	;; [unrolled: 1-line block ×7, first 2 shown]
	v_mov_b32_e32 v85, v169
	v_dual_mov_b32 v89, v149 :: v_dual_mov_b32 v92, v152
	v_dual_mov_b32 v91, v151 :: v_dual_mov_b32 v94, v154
	;; [unrolled: 1-line block ×6, first 2 shown]
	v_mov_b32_e32 v88, v148
	v_mov_b32_e32 v6, v39
	s_delay_alu instid0(VALU_DEP_3) | instskip(NEXT) | instid1(VALU_DEP_3)
	v_dual_mov_b32 v13, v75 :: v_dual_mov_b32 v14, v76
	v_dual_mov_b32 v25, v87 :: v_dual_mov_b32 v26, v88
	;; [unrolled: 1-line block ×30, first 2 shown]
	v_mov_b32_e32 v40, v39
	v_mov_b32_e32 v68, v67
	;; [unrolled: 1-line block ×3, first 2 shown]
.LBB144_89:
	s_or_b32 exec_lo, exec_lo, s2
	v_mov_b32_e32 v39, v7
	s_mov_b32 s2, exec_lo
	v_cmpx_lt_f32_e32 v40, v7
	s_cbranch_execz .LBB144_91
; %bb.90:
	v_mov_b32_e32 v116, v57
	v_dual_mov_b32 v6, v7 :: v_dual_mov_b32 v7, v40
	v_dual_mov_b32 v104, v69 :: v_dual_mov_b32 v13, v111
	v_mov_b32_e32 v22, v120
	v_dual_mov_b32 v22, v38 :: v_dual_mov_b32 v25, v99
	v_mov_b32_e32 v34, v108
	v_dual_mov_b32 v34, v37 :: v_dual_mov_b32 v87, v99
	v_dual_mov_b32 v16, v114 :: v_dual_mov_b32 v19, v117
	;; [unrolled: 1-line block ×12, first 2 shown]
	v_mov_b32_e32 v23, v61
	v_dual_mov_b32 v21, v59 :: v_dual_mov_b32 v24, v62
	v_dual_mov_b32 v27, v101 :: v_dual_mov_b32 v26, v100
	;; [unrolled: 1-line block ×3, first 2 shown]
	v_mov_b32_e32 v35, v73
	v_dual_mov_b32 v33, v71 :: v_dual_mov_b32 v36, v74
	v_dual_mov_b32 v89, v101 :: v_dual_mov_b32 v88, v100
	;; [unrolled: 1-line block ×9, first 2 shown]
	v_mov_b32_e32 v39, v40
	v_mov_b32_e32 v69, v68
	v_dual_mov_b32 v57, v56 :: v_dual_mov_b32 v94, v106
	v_dual_mov_b32 v97, v109 :: v_dual_mov_b32 v82, v118
	v_dual_mov_b32 v85, v121 :: v_dual_mov_b32 v84, v120
.LBB144_91:
	s_or_b32 exec_lo, exec_lo, s2
	v_mov_b32_e32 v40, v8
	s_mov_b32 s2, exec_lo
	v_cmpx_lt_f32_e32 v39, v8
	s_cbranch_execz .LBB144_93
; %bb.92:
	v_dual_mov_b32 v81, v58 :: v_dual_mov_b32 v82, v57
	v_dual_mov_b32 v83, v59 :: v_dual_mov_b32 v84, v38
	;; [unrolled: 1-line block ×19, first 2 shown]
	v_mov_b32_e32 v40, v39
.LBB144_93:
	s_or_b32 exec_lo, exec_lo, s2
	s_delay_alu instid0(VALU_DEP_1)
	v_cmp_lt_f32_e32 vcc_lo, v40, v9
	v_dual_mov_b32 v38, v2 :: v_dual_mov_b32 v41, v5
	v_dual_mov_b32 v42, v6 :: v_dual_mov_b32 v47, v11
	v_dual_cndmask_b32 v145, v33, v32 :: v_dual_cndmask_b32 v32, v32, v33
	v_dual_cndmask_b32 v146, v21, v20 :: v_dual_mov_b32 v39, v3
	v_dual_cndmask_b32 v20, v20, v21 :: v_dual_cndmask_b32 v45, v9, v40
	v_dual_cndmask_b32 v44, v8, v9 :: v_dual_mov_b32 v37, v1
	v_dual_mov_b32 v40, v4 :: v_dual_mov_b32 v43, v7
	v_mov_b32_e32 v46, v10
	v_mov_b32_e32 v48, v12
	s_mov_b32 s2, exec_lo
	v_cmpx_lt_f32_e32 v1, v2
	s_cbranch_execz .LBB144_95
; %bb.94:
	v_dual_mov_b32 v49, v38 :: v_dual_mov_b32 v50, v37
	v_dual_mov_b32 v51, v39 :: v_dual_mov_b32 v52, v40
	v_dual_mov_b32 v53, v41 :: v_dual_mov_b32 v54, v42
	v_dual_mov_b32 v55, v43 :: v_dual_mov_b32 v56, v44
	v_dual_mov_b32 v57, v45 :: v_dual_mov_b32 v58, v46
	v_dual_mov_b32 v59, v47 :: v_dual_mov_b32 v60, v48
	v_mov_b32_e32 v3, v25
	v_mov_b32_e32 v4, v13
	v_dual_mov_b32 v37, v49 :: v_dual_mov_b32 v40, v52
	v_swap_b32 v25, v26
	v_swap_b32 v13, v14
	v_dual_mov_b32 v38, v50 :: v_dual_mov_b32 v39, v51
	v_dual_mov_b32 v41, v53 :: v_dual_mov_b32 v42, v54
	;; [unrolled: 1-line block ×5, first 2 shown]
	v_mov_b32_e32 v2, v1
.LBB144_95:
	s_or_b32 exec_lo, exec_lo, s2
	v_mov_b32_e32 v21, v146
	v_dual_mov_b32 v33, v145 :: v_dual_mov_b32 v60, v24
	v_dual_mov_b32 v72, v36 :: v_dual_mov_b32 v61, v25
	;; [unrolled: 1-line block ×43, first 2 shown]
	v_mov_b32_e32 v97, v13
	v_mov_b32_e32 v1, v39
	s_mov_b32 s2, exec_lo
	v_dual_mov_b32 v95, v35 :: v_dual_mov_b32 v94, v34
	v_dual_mov_b32 v93, v33 :: v_dual_mov_b32 v92, v32
	;; [unrolled: 1-line block ×5, first 2 shown]
	v_cmpx_lt_f32_e32 v2, v39
	s_cbranch_execz .LBB144_97
; %bb.96:
	v_dual_mov_b32 v108, v24 :: v_dual_mov_b32 v107, v23
	v_dual_mov_b32 v98, v14 :: v_dual_mov_b32 v97, v13
	v_mov_b32_e32 v98, v15
	v_dual_mov_b32 v104, v20 :: v_dual_mov_b32 v103, v19
	v_dual_mov_b32 v100, v16 :: v_dual_mov_b32 v99, v15
	;; [unrolled: 1-line block ×26, first 2 shown]
	v_mov_b32_e32 v84, v144
	v_dual_mov_b32 v74, v134 :: v_dual_mov_b32 v77, v137
	v_mov_b32_e32 v75, v135
	v_dual_mov_b32 v38, v39 :: v_dual_mov_b32 v85, v121
	v_dual_mov_b32 v76, v136 :: v_dual_mov_b32 v79, v139
	;; [unrolled: 1-line block ×10, first 2 shown]
	v_mov_b32_e32 v39, v2
	v_dual_mov_b32 v49, v73 :: v_dual_mov_b32 v50, v74
	v_dual_mov_b32 v59, v83 :: v_dual_mov_b32 v60, v84
	;; [unrolled: 1-line block ×18, first 2 shown]
	v_mov_b32_e32 v70, v34
	v_dual_mov_b32 v72, v36 :: v_dual_mov_b32 v1, v2
	v_mov_b32_e32 v27, v26
	v_mov_b32_e32 v15, v14
.LBB144_97:
	s_or_b32 exec_lo, exec_lo, s2
	v_mov_b32_e32 v2, v40
	s_mov_b32 s2, exec_lo
	v_cmpx_lt_f32_e32 v1, v40
	s_cbranch_execz .LBB144_99
; %bb.98:
	v_mov_b32_e32 v99, v16
	v_mov_b32_e32 v144, v108
	;; [unrolled: 1-line block ×3, first 2 shown]
	v_dual_mov_b32 v136, v15 :: v_dual_mov_b32 v111, v28
	v_dual_mov_b32 v142, v106 :: v_dual_mov_b32 v133, v97
	;; [unrolled: 1-line block ×4, first 2 shown]
	v_mov_b32_e32 v135, v99
	v_dual_mov_b32 v125, v113 :: v_dual_mov_b32 v124, v112
	v_mov_b32_e32 v143, v107
	v_dual_mov_b32 v141, v105 :: v_dual_mov_b32 v140, v104
	v_dual_mov_b32 v139, v103 :: v_dual_mov_b32 v138, v102
	v_dual_mov_b32 v131, v119 :: v_dual_mov_b32 v130, v118
	v_dual_mov_b32 v129, v117 :: v_dual_mov_b32 v128, v116
	v_dual_mov_b32 v127, v115 :: v_dual_mov_b32 v126, v114
	v_dual_mov_b32 v123, v111 :: v_dual_mov_b32 v122, v110
	v_dual_mov_b32 v124, v27 :: v_dual_mov_b32 v73, v133
	v_dual_mov_b32 v74, v134 :: v_dual_mov_b32 v85, v121
	v_dual_mov_b32 v75, v135 :: v_dual_mov_b32 v76, v136
	v_dual_mov_b32 v77, v137 :: v_dual_mov_b32 v78, v138
	v_dual_mov_b32 v89, v125 :: v_dual_mov_b32 v92, v128
	v_dual_mov_b32 v79, v139 :: v_dual_mov_b32 v80, v140
	v_dual_mov_b32 v81, v141 :: v_dual_mov_b32 v82, v142
	v_dual_mov_b32 v83, v143 :: v_dual_mov_b32 v84, v144
	v_dual_mov_b32 v77, v17 :: v_dual_mov_b32 v86, v122
	v_dual_mov_b32 v87, v123 :: v_dual_mov_b32 v90, v126
	v_dual_mov_b32 v91, v127 :: v_dual_mov_b32 v94, v130
	v_dual_mov_b32 v93, v129 :: v_dual_mov_b32 v96, v132
	v_mov_b32_e32 v95, v131
	v_dual_mov_b32 v89, v29 :: v_dual_mov_b32 v88, v124
	v_dual_mov_b32 v49, v73 :: v_dual_mov_b32 v54, v78
	v_mov_b32_e32 v50, v74
	v_dual_mov_b32 v52, v76 :: v_dual_mov_b32 v61, v85
	s_delay_alu instid0(VALU_DEP_4)
	v_dual_mov_b32 v64, v88 :: v_dual_mov_b32 v51, v75
	v_dual_mov_b32 v56, v80 :: v_dual_mov_b32 v53, v77
	;; [unrolled: 1-line block ×12, first 2 shown]
	v_mov_b32_e32 v58, v22
	v_dual_mov_b32 v57, v146 :: v_dual_mov_b32 v60, v24
	v_dual_mov_b32 v59, v23 :: v_dual_mov_b32 v62, v86
	;; [unrolled: 1-line block ×5, first 2 shown]
	v_mov_b32_e32 v2, v1
	v_mov_b32_e32 v28, v27
	;; [unrolled: 1-line block ×3, first 2 shown]
.LBB144_99:
	s_or_b32 exec_lo, exec_lo, s2
	v_mov_b32_e32 v1, v41
	s_mov_b32 s2, exec_lo
	v_cmpx_lt_f32_e32 v2, v41
	s_cbranch_execz .LBB144_101
; %bb.100:
	v_mov_b32_e32 v100, v17
	v_mov_b32_e32 v73, v97
	;; [unrolled: 1-line block ×3, first 2 shown]
	v_dual_mov_b32 v77, v16 :: v_dual_mov_b32 v78, v102
	v_dual_mov_b32 v112, v29 :: v_dual_mov_b32 v75, v99
	;; [unrolled: 1-line block ×3, first 2 shown]
	v_mov_b32_e32 v84, v108
	v_dual_mov_b32 v74, v98 :: v_dual_mov_b32 v85, v109
	v_mov_b32_e32 v86, v110
	v_dual_mov_b32 v76, v100 :: v_dual_mov_b32 v79, v103
	v_dual_mov_b32 v80, v104 :: v_dual_mov_b32 v81, v105
	;; [unrolled: 1-line block ×8, first 2 shown]
	v_mov_b32_e32 v49, v73
	v_dual_mov_b32 v89, v28 :: v_dual_mov_b32 v50, v74
	v_dual_mov_b32 v59, v83 :: v_dual_mov_b32 v60, v84
	;; [unrolled: 1-line block ×32, first 2 shown]
	v_mov_b32_e32 v17, v16
.LBB144_101:
	s_or_b32 exec_lo, exec_lo, s2
	v_mov_b32_e32 v2, v42
	s_mov_b32 s2, exec_lo
	v_cmpx_lt_f32_e32 v1, v42
	s_cbranch_execz .LBB144_103
; %bb.102:
	v_mov_b32_e32 v137, v18
	v_mov_b32_e32 v125, v30
	v_dual_mov_b32 v41, v42 :: v_dual_mov_b32 v42, v1
	v_dual_mov_b32 v49, v133 :: v_dual_mov_b32 v50, v134
	;; [unrolled: 1-line block ×13, first 2 shown]
	v_mov_b32_e32 v66, v29
	v_dual_mov_b32 v85, v121 :: v_dual_mov_b32 v86, v122
	v_dual_mov_b32 v73, v133 :: v_dual_mov_b32 v74, v134
	;; [unrolled: 1-line block ×4, first 2 shown]
	v_mov_b32_e32 v64, v124
	v_dual_mov_b32 v58, v22 :: v_dual_mov_b32 v59, v23
	v_dual_mov_b32 v67, v31 :: v_dual_mov_b32 v68, v32
	;; [unrolled: 1-line block ×8, first 2 shown]
	v_mov_b32_e32 v2, v1
	v_mov_b32_e32 v30, v29
	v_dual_mov_b32 v18, v17 :: v_dual_mov_b32 v91, v127
	v_dual_mov_b32 v92, v128 :: v_dual_mov_b32 v93, v129
	v_dual_mov_b32 v94, v130 :: v_dual_mov_b32 v95, v131
	v_dual_mov_b32 v96, v132 :: v_dual_mov_b32 v79, v139
	v_dual_mov_b32 v80, v140 :: v_dual_mov_b32 v81, v141
	v_dual_mov_b32 v82, v142 :: v_dual_mov_b32 v83, v143
	v_mov_b32_e32 v84, v144
.LBB144_103:
	s_or_b32 exec_lo, exec_lo, s2
	v_mov_b32_e32 v1, v43
	s_mov_b32 s2, exec_lo
	v_cmpx_lt_f32_e32 v2, v43
	s_cbranch_execz .LBB144_105
; %bb.104:
	v_dual_mov_b32 v94, v34 :: v_dual_mov_b32 v95, v35
	v_dual_mov_b32 v78, v19 :: v_dual_mov_b32 v79, v18
	;; [unrolled: 1-line block ×6, first 2 shown]
	v_mov_b32_e32 v96, v36
	v_dual_mov_b32 v42, v43 :: v_dual_mov_b32 v43, v2
	v_dual_mov_b32 v84, v24 :: v_dual_mov_b32 v61, v85
	;; [unrolled: 1-line block ×14, first 2 shown]
.LBB144_105:
	s_or_b32 exec_lo, exec_lo, s2
	s_delay_alu instid0(VALU_DEP_1)
	v_cmp_lt_f32_e32 vcc_lo, v1, v44
	v_dual_mov_b32 v3, v39 :: v_dual_mov_b32 v10, v46
	v_dual_mov_b32 v5, v41 :: v_dual_mov_b32 v12, v48
	v_dual_cndmask_b32 v121, v68, v67 :: v_dual_mov_b32 v2, v38
	v_dual_cndmask_b32 v67, v67, v68 :: v_dual_cndmask_b32 v122, v56, v55
	v_dual_cndmask_b32 v55, v55, v56 :: v_dual_cndmask_b32 v8, v44, v1
	v_dual_cndmask_b32 v7, v43, v44 :: v_dual_mov_b32 v4, v40
	v_dual_mov_b32 v1, v37 :: v_dual_mov_b32 v6, v42
	v_mov_b32_e32 v9, v45
	v_mov_b32_e32 v11, v47
	s_mov_b32 s2, exec_lo
	v_cmpx_lt_f32_e32 v37, v38
	s_cbranch_execz .LBB144_107
; %bb.106:
	v_dual_mov_b32 v13, v2 :: v_dual_mov_b32 v14, v1
	v_dual_mov_b32 v15, v3 :: v_dual_mov_b32 v16, v4
	;; [unrolled: 1-line block ×6, first 2 shown]
	v_mov_b32_e32 v25, v61
	v_mov_b32_e32 v26, v49
	v_dual_mov_b32 v1, v13 :: v_dual_mov_b32 v4, v16
	v_swap_b32 v61, v62
	v_swap_b32 v49, v50
	v_dual_mov_b32 v2, v14 :: v_dual_mov_b32 v3, v15
	v_dual_mov_b32 v5, v17 :: v_dual_mov_b32 v6, v18
	;; [unrolled: 1-line block ×5, first 2 shown]
	v_mov_b32_e32 v38, v37
.LBB144_107:
	s_or_b32 exec_lo, exec_lo, s2
	v_mov_b32_e32 v56, v122
	v_mov_b32_e32 v68, v121
	;; [unrolled: 1-line block ×3, first 2 shown]
	v_dual_mov_b32 v27, v51 :: v_dual_mov_b32 v84, v72
	v_mov_b32_e32 v81, v69
	v_dual_mov_b32 v83, v71 :: v_dual_mov_b32 v96, v60
	v_dual_mov_b32 v91, v55 :: v_dual_mov_b32 v120, v72
	;; [unrolled: 1-line block ×31, first 2 shown]
	v_mov_b32_e32 v24, v60
	s_mov_b32 s2, exec_lo
	v_dual_mov_b32 v118, v70 :: v_dual_mov_b32 v115, v67
	v_dual_mov_b32 v116, v68 :: v_dual_mov_b32 v113, v65
	;; [unrolled: 1-line block ×3, first 2 shown]
	v_cmpx_lt_f32_e32 v38, v3
	s_cbranch_execz .LBB144_109
; %bb.108:
	v_dual_mov_b32 v13, v49 :: v_dual_mov_b32 v14, v50
	v_dual_mov_b32 v23, v59 :: v_dual_mov_b32 v24, v60
	;; [unrolled: 1-line block ×30, first 2 shown]
	v_mov_b32_e32 v112, v64
	v_dual_mov_b32 v34, v94 :: v_dual_mov_b32 v35, v95
	v_dual_mov_b32 v35, v59 :: v_dual_mov_b32 v34, v58
	;; [unrolled: 1-line block ×15, first 2 shown]
	v_mov_b32_e32 v81, v69
	v_dual_mov_b32 v80, v121 :: v_dual_mov_b32 v83, v71
	v_mov_b32_e32 v82, v70
	v_dual_mov_b32 v84, v72 :: v_dual_mov_b32 v37, v38
	v_mov_b32_e32 v63, v62
	v_mov_b32_e32 v51, v50
.LBB144_109:
	s_or_b32 exec_lo, exec_lo, s2
	v_mov_b32_e32 v38, v4
	s_mov_b32 s2, exec_lo
	v_cmpx_lt_f32_e32 v37, v4
	s_cbranch_execz .LBB144_111
; %bb.110:
	v_mov_b32_e32 v15, v52
	v_mov_b32_e32 v96, v24
	;; [unrolled: 1-line block ×3, first 2 shown]
	v_dual_mov_b32 v88, v51 :: v_dual_mov_b32 v99, v64
	v_dual_mov_b32 v94, v22 :: v_dual_mov_b32 v85, v13
	;; [unrolled: 1-line block ×3, first 2 shown]
	v_mov_b32_e32 v95, v23
	v_dual_mov_b32 v93, v21 :: v_dual_mov_b32 v92, v20
	v_dual_mov_b32 v91, v19 :: v_dual_mov_b32 v90, v18
	v_dual_mov_b32 v89, v17 :: v_dual_mov_b32 v86, v14
	v_dual_mov_b32 v119, v107 :: v_dual_mov_b32 v118, v106
	v_dual_mov_b32 v117, v105 :: v_dual_mov_b32 v116, v104
	v_dual_mov_b32 v115, v103 :: v_dual_mov_b32 v114, v102
	v_dual_mov_b32 v113, v101 :: v_dual_mov_b32 v112, v100
	v_mov_b32_e32 v87, v15
	v_dual_mov_b32 v111, v99 :: v_dual_mov_b32 v110, v98
	v_dual_mov_b32 v112, v63 :: v_dual_mov_b32 v25, v85
	;; [unrolled: 1-line block ×3, first 2 shown]
	s_delay_alu instid0(VALU_DEP_3)
	v_dual_mov_b32 v74, v110 :: v_dual_mov_b32 v29, v89
	v_dual_mov_b32 v30, v90 :: v_dual_mov_b32 v31, v91
	;; [unrolled: 1-line block ×8, first 2 shown]
	v_mov_b32_e32 v84, v120
	v_dual_mov_b32 v3, v4 :: v_dual_mov_b32 v4, v37
	v_dual_mov_b32 v27, v87 :: v_dual_mov_b32 v28, v88
	;; [unrolled: 1-line block ×11, first 2 shown]
	v_mov_b32_e32 v38, v37
	v_mov_b32_e32 v64, v63
	;; [unrolled: 1-line block ×3, first 2 shown]
.LBB144_111:
	s_or_b32 exec_lo, exec_lo, s2
	v_mov_b32_e32 v16, v5
	s_mov_b32 s2, exec_lo
	v_cmpx_lt_f32_e32 v38, v5
	s_cbranch_execz .LBB144_113
; %bb.112:
	v_mov_b32_e32 v100, v65
	v_mov_b32_e32 v16, v53
	v_dual_mov_b32 v4, v5 :: v_dual_mov_b32 v5, v38
	v_dual_mov_b32 v36, v24 :: v_dual_mov_b32 v33, v21
	;; [unrolled: 1-line block ×3, first 2 shown]
	v_mov_b32_e32 v31, v19
	v_dual_mov_b32 v35, v59 :: v_dual_mov_b32 v34, v58
	v_dual_mov_b32 v73, v97 :: v_dual_mov_b32 v32, v20
	v_dual_mov_b32 v29, v17 :: v_dual_mov_b32 v30, v18
	v_dual_mov_b32 v27, v15 :: v_dual_mov_b32 v74, v98
	v_dual_mov_b32 v77, v101 :: v_dual_mov_b32 v76, v100
	v_dual_mov_b32 v79, v103 :: v_dual_mov_b32 v78, v102
	v_dual_mov_b32 v81, v105 :: v_dual_mov_b32 v80, v104
	v_dual_mov_b32 v83, v107 :: v_dual_mov_b32 v82, v106
	v_mov_b32_e32 v77, v64
	v_dual_mov_b32 v84, v108 :: v_dual_mov_b32 v79, v67
	v_dual_mov_b32 v120, v108 :: v_dual_mov_b32 v115, v103
	;; [unrolled: 1-line block ×19, first 2 shown]
	v_mov_b32_e32 v88, v16
	v_dual_mov_b32 v86, v14 :: v_dual_mov_b32 v65, v64
	v_dual_mov_b32 v16, v38 :: v_dual_mov_b32 v53, v52
	;; [unrolled: 1-line block ×3, first 2 shown]
.LBB144_113:
	s_or_b32 exec_lo, exec_lo, s2
	v_mov_b32_e32 v13, v6
	s_mov_b32 s2, exec_lo
	v_cmpx_lt_f32_e32 v16, v6
	s_cbranch_execz .LBB144_115
; %bb.114:
	v_dual_mov_b32 v89, v54 :: v_dual_mov_b32 v90, v53
	v_dual_mov_b32 v91, v55 :: v_dual_mov_b32 v92, v122
	;; [unrolled: 1-line block ×21, first 2 shown]
	v_mov_b32_e32 v13, v16
.LBB144_115:
	s_or_b32 exec_lo, exec_lo, s2
	s_delay_alu instid0(VALU_DEP_1)
	v_cmp_lt_f32_e32 vcc_lo, v13, v7
	v_dual_mov_b32 v14, v2 :: v_dual_mov_b32 v17, v5
	v_dual_mov_b32 v16, v4 :: v_dual_mov_b32 v21, v9
	v_dual_cndmask_b32 v37, v79, v78 :: v_dual_cndmask_b32 v78, v78, v79
	v_cndmask_b32_e32 v38, v31, v30, vcc_lo
	v_dual_cndmask_b32 v30, v30, v31 :: v_dual_cndmask_b32 v19, v7, v13
	v_dual_cndmask_b32 v18, v6, v7 :: v_dual_mov_b32 v15, v3
	v_dual_mov_b32 v13, v1 :: v_dual_mov_b32 v20, v8
	v_dual_mov_b32 v23, v11 :: v_dual_mov_b32 v22, v10
	v_mov_b32_e32 v24, v12
	s_mov_b32 s2, exec_lo
	v_cmpx_lt_f32_e32 v1, v2
	s_cbranch_execz .LBB144_117
; %bb.116:
	v_dual_mov_b32 v2, v14 :: v_dual_mov_b32 v3, v13
	v_dual_mov_b32 v12, v23 :: v_dual_mov_b32 v13, v24
	;; [unrolled: 1-line block ×6, first 2 shown]
	v_mov_b32_e32 v24, v13
	v_mov_b32_e32 v31, v73
	v_dual_mov_b32 v39, v25 :: v_dual_mov_b32 v18, v7
	v_swap_b32 v73, v74
	v_swap_b32 v25, v26
	v_dual_mov_b32 v23, v12 :: v_dual_mov_b32 v20, v9
	v_dual_mov_b32 v22, v11 :: v_dual_mov_b32 v21, v10
	;; [unrolled: 1-line block ×4, first 2 shown]
	v_mov_b32_e32 v15, v4
	v_dual_mov_b32 v13, v2 :: v_dual_mov_b32 v2, v1
.LBB144_117:
	s_or_b32 exec_lo, exec_lo, s2
	v_mov_b32_e32 v31, v38
	v_dual_mov_b32 v79, v37 :: v_dual_mov_b32 v50, v36
	v_dual_mov_b32 v51, v73 :: v_dual_mov_b32 v52, v74
	;; [unrolled: 1-line block ×24, first 2 shown]
	v_mov_b32_e32 v85, v25
	v_mov_b32_e32 v1, v15
	s_mov_b32 s2, exec_lo
	v_cmpx_lt_f32_e32 v2, v15
	s_cbranch_execz .LBB144_119
; %bb.118:
	v_dual_mov_b32 v96, v36 :: v_dual_mov_b32 v95, v35
	v_dual_mov_b32 v86, v26 :: v_dual_mov_b32 v85, v25
	v_dual_mov_b32 v90, v30 :: v_dual_mov_b32 v89, v29
	v_dual_mov_b32 v88, v28 :: v_dual_mov_b32 v87, v27
	v_dual_mov_b32 v94, v34 :: v_dual_mov_b32 v93, v33
	v_dual_mov_b32 v92, v32 :: v_dual_mov_b32 v91, v31
	v_dual_mov_b32 v86, v27 :: v_dual_mov_b32 v87, v26
	v_dual_mov_b32 v39, v85 :: v_dual_mov_b32 v108, v84
	v_mov_b32_e32 v105, v81
	v_dual_mov_b32 v43, v89 :: v_dual_mov_b32 v44, v90
	v_dual_mov_b32 v100, v76 :: v_dual_mov_b32 v97, v73
	;; [unrolled: 1-line block ×6, first 2 shown]
	v_mov_b32_e32 v98, v74
	v_dual_mov_b32 v98, v75 :: v_dual_mov_b32 v99, v74
	v_dual_mov_b32 v49, v95 :: v_dual_mov_b32 v50, v96
	;; [unrolled: 1-line block ×12, first 2 shown]
	v_mov_b32_e32 v40, v86
	v_dual_mov_b32 v42, v28 :: v_dual_mov_b32 v43, v29
	v_dual_mov_b32 v45, v38 :: v_dual_mov_b32 v46, v32
	;; [unrolled: 1-line block ×9, first 2 shown]
	v_mov_b32_e32 v75, v74
	v_mov_b32_e32 v27, v26
.LBB144_119:
	s_or_b32 exec_lo, exec_lo, s2
	v_mov_b32_e32 v2, v16
	s_mov_b32 s2, exec_lo
	v_cmpx_lt_f32_e32 v1, v16
	s_cbranch_execz .LBB144_121
; %bb.120:
	v_mov_b32_e32 v87, v28
	v_mov_b32_e32 v99, v76
	v_dual_mov_b32 v15, v16 :: v_dual_mov_b32 v16, v1
	v_dual_mov_b32 v39, v85 :: v_dual_mov_b32 v42, v88
	;; [unrolled: 1-line block ×13, first 2 shown]
	v_mov_b32_e32 v56, v78
	v_mov_b32_e32 v40, v86
	v_dual_mov_b32 v42, v27 :: v_dual_mov_b32 v43, v29
	v_dual_mov_b32 v45, v38 :: v_dual_mov_b32 v46, v32
	v_dual_mov_b32 v47, v33 :: v_dual_mov_b32 v50, v36
	v_dual_mov_b32 v49, v35 :: v_dual_mov_b32 v52, v98
	v_dual_mov_b32 v54, v75 :: v_dual_mov_b32 v55, v77
	v_dual_mov_b32 v57, v37 :: v_dual_mov_b32 v58, v80
	v_dual_mov_b32 v59, v81 :: v_dual_mov_b32 v60, v82
	v_dual_mov_b32 v61, v83 :: v_dual_mov_b32 v62, v84
	v_mov_b32_e32 v2, v1
	v_mov_b32_e32 v76, v75
	;; [unrolled: 1-line block ×3, first 2 shown]
.LBB144_121:
	s_or_b32 exec_lo, exec_lo, s2
	v_mov_b32_e32 v1, v17
	s_mov_b32 s2, exec_lo
	v_cmpx_lt_f32_e32 v2, v17
	s_cbranch_execz .LBB144_123
; %bb.122:
	v_dual_mov_b32 v106, v82 :: v_dual_mov_b32 v107, v83
	v_dual_mov_b32 v88, v29 :: v_dual_mov_b32 v89, v28
	;; [unrolled: 1-line block ×8, first 2 shown]
	v_mov_b32_e32 v108, v84
	v_dual_mov_b32 v16, v17 :: v_dual_mov_b32 v17, v2
	v_dual_mov_b32 v96, v36 :: v_dual_mov_b32 v51, v97
	v_dual_mov_b32 v60, v106 :: v_dual_mov_b32 v39, v85
	v_dual_mov_b32 v52, v98 :: v_dual_mov_b32 v55, v101
	v_dual_mov_b32 v53, v99 :: v_dual_mov_b32 v54, v100
	v_dual_mov_b32 v57, v103 :: v_dual_mov_b32 v56, v102
	v_dual_mov_b32 v59, v105 :: v_dual_mov_b32 v58, v104
	v_dual_mov_b32 v61, v107 :: v_dual_mov_b32 v62, v108
	v_dual_mov_b32 v41, v87 :: v_dual_mov_b32 v40, v86
	v_dual_mov_b32 v43, v89 :: v_dual_mov_b32 v42, v88
	v_dual_mov_b32 v45, v91 :: v_dual_mov_b32 v44, v90
	v_dual_mov_b32 v47, v93 :: v_dual_mov_b32 v46, v92
	v_dual_mov_b32 v49, v95 :: v_dual_mov_b32 v48, v94
	v_dual_mov_b32 v50, v96 :: v_dual_mov_b32 v1, v2
.LBB144_123:
	s_or_b32 exec_lo, exec_lo, s2
	s_delay_alu instid0(VALU_DEP_1)
	v_cmp_lt_f32_e32 vcc_lo, v1, v18
	v_dual_mov_b32 v27, v13 :: v_dual_mov_b32 v34, v20
	v_dual_mov_b32 v29, v15 :: v_dual_mov_b32 v36, v22
	v_dual_cndmask_b32 v63, v56, v55 :: v_dual_cndmask_b32 v32, v18, v1
	v_dual_cndmask_b32 v55, v55, v56 :: v_dual_cndmask_b32 v64, v44, v43
	v_dual_cndmask_b32 v43, v43, v44 :: v_dual_mov_b32 v28, v14
	v_dual_cndmask_b32 v31, v17, v18 :: v_dual_mov_b32 v30, v16
	v_dual_mov_b32 v33, v19 :: v_dual_mov_b32 v38, v24
	v_mov_b32_e32 v35, v21
	v_mov_b32_e32 v37, v23
	s_mov_b32 s2, exec_lo
	v_cmpx_lt_f32_e32 v13, v14
	s_cbranch_execz .LBB144_125
; %bb.124:
	s_delay_alu instid0(VALU_DEP_2)
	v_dual_mov_b32 v11, v37 :: v_dual_mov_b32 v12, v38
	v_dual_mov_b32 v1, v28 :: v_dual_mov_b32 v2, v27
	;; [unrolled: 1-line block ×7, first 2 shown]
	s_delay_alu instid0(VALU_DEP_2)
	v_dual_mov_b32 v16, v39 :: v_dual_mov_b32 v35, v9
	v_swap_b32 v51, v52
	v_swap_b32 v39, v40
	v_dual_mov_b32 v37, v11 :: v_dual_mov_b32 v36, v10
	v_dual_mov_b32 v34, v8 :: v_dual_mov_b32 v33, v7
	;; [unrolled: 1-line block ×5, first 2 shown]
	v_mov_b32_e32 v14, v13
.LBB144_125:
	s_or_b32 exec_lo, exec_lo, s2
	v_mov_b32_e32 v44, v64
	v_mov_b32_e32 v56, v63
	v_mov_b32_e32 v1, v39
	v_mov_b32_e32 v3, v41
	v_dual_mov_b32 v15, v51 :: v_dual_mov_b32 v2, v40
	v_dual_mov_b32 v16, v52 :: v_dual_mov_b32 v17, v53
	;; [unrolled: 1-line block ×11, first 2 shown]
	v_mov_b32_e32 v12, v50
	s_mov_b32 s2, exec_lo
	v_cmpx_lt_f32_e32 v14, v29
	s_cbranch_execz .LBB144_127
; %bb.126:
	v_dual_mov_b32 v1, v39 :: v_dual_mov_b32 v2, v40
	v_dual_mov_b32 v11, v49 :: v_dual_mov_b32 v12, v50
	;; [unrolled: 1-line block ×25, first 2 shown]
	v_mov_b32_e32 v41, v40
.LBB144_127:
	s_or_b32 exec_lo, exec_lo, s2
	v_mov_b32_e32 v39, v30
	s_mov_b32 s2, exec_lo
	v_cmpx_lt_f32_e32 v13, v30
	s_cbranch_execz .LBB144_129
; %bb.128:
	v_dual_mov_b32 v29, v30 :: v_dual_mov_b32 v30, v13
	v_dual_mov_b32 v3, v42 :: v_dual_mov_b32 v4, v41
	v_dual_mov_b32 v5, v43 :: v_dual_mov_b32 v6, v64
	v_dual_mov_b32 v7, v45 :: v_dual_mov_b32 v8, v46
	v_dual_mov_b32 v9, v47 :: v_dual_mov_b32 v10, v48
	v_dual_mov_b32 v11, v49 :: v_dual_mov_b32 v12, v50
	v_dual_mov_b32 v17, v54 :: v_dual_mov_b32 v18, v53
	v_dual_mov_b32 v19, v55 :: v_dual_mov_b32 v22, v58
	v_dual_mov_b32 v20, v63 :: v_dual_mov_b32 v21, v57
	v_dual_mov_b32 v23, v59 :: v_dual_mov_b32 v24, v60
	v_dual_mov_b32 v25, v61 :: v_dual_mov_b32 v26, v62
	v_mov_b32_e32 v39, v13
.LBB144_129:
	s_or_b32 exec_lo, exec_lo, s2
	s_delay_alu instid0(VALU_DEP_1)
	v_cmp_lt_f32_e32 vcc_lo, v39, v31
	v_dual_mov_b32 v40, v28 :: v_dual_mov_b32 v45, v33
	v_dual_mov_b32 v44, v32 :: v_dual_mov_b32 v47, v35
	v_dual_cndmask_b32 v13, v19, v18 :: v_dual_cndmask_b32 v18, v18, v19
	v_dual_cndmask_b32 v14, v5, v4 :: v_dual_cndmask_b32 v43, v31, v39
	v_dual_cndmask_b32 v4, v4, v5 :: v_dual_mov_b32 v39, v27
	v_dual_cndmask_b32 v42, v30, v31 :: v_dual_mov_b32 v41, v29
	v_dual_mov_b32 v46, v34 :: v_dual_mov_b32 v49, v37
	v_mov_b32_e32 v48, v36
	v_mov_b32_e32 v50, v38
	s_mov_b32 s2, exec_lo
	v_cmpx_lt_f32_e32 v27, v28
	s_cbranch_execz .LBB144_131
; %bb.130:
	v_dual_mov_b32 v28, v40 :: v_dual_mov_b32 v29, v39
	v_dual_mov_b32 v38, v49 :: v_dual_mov_b32 v39, v50
	;; [unrolled: 1-line block ×7, first 2 shown]
	v_mov_b32_e32 v5, v15
	v_swap_b32 v15, v16
	s_delay_alu instid0(VALU_DEP_4)
	v_mov_b32_e32 v48, v37
	v_swap_b32 v1, v2
	v_dual_mov_b32 v49, v38 :: v_dual_mov_b32 v46, v35
	v_dual_mov_b32 v47, v36 :: v_dual_mov_b32 v44, v33
	;; [unrolled: 1-line block ×4, first 2 shown]
	v_mov_b32_e32 v41, v30
	v_dual_mov_b32 v39, v28 :: v_dual_mov_b32 v28, v27
.LBB144_131:
	s_or_b32 exec_lo, exec_lo, s2
	v_mov_b32_e32 v5, v14
	v_mov_b32_e32 v19, v13
	;; [unrolled: 1-line block ×3, first 2 shown]
	s_mov_b32 s2, exec_lo
	v_cmpx_lt_f32_e32 v28, v41
	s_cbranch_execz .LBB144_133
; %bb.132:
	v_dual_mov_b32 v74, v26 :: v_dual_mov_b32 v73, v25
	v_dual_mov_b32 v62, v12 :: v_dual_mov_b32 v61, v11
	;; [unrolled: 1-line block ×22, first 2 shown]
	v_mov_b32_e32 v74, v26
	v_dual_mov_b32 v40, v41 :: v_dual_mov_b32 v41, v28
	v_dual_mov_b32 v62, v12 :: v_dual_mov_b32 v15, v63
	;; [unrolled: 1-line block ×14, first 2 shown]
.LBB144_133:
	s_or_b32 exec_lo, exec_lo, s2
	s_delay_alu instid0(VALU_DEP_1)
	v_cmp_lt_f32_e32 vcc_lo, v27, v42
	v_dual_mov_b32 v28, v23 :: v_dual_mov_b32 v29, v24
	v_dual_mov_b32 v30, v25 :: v_dual_mov_b32 v31, v26
	v_dual_cndmask_b32 v13, v18, v17 :: v_dual_cndmask_b32 v14, v4, v3
	v_dual_cndmask_b32 v51, v17, v18 :: v_dual_cndmask_b32 v56, v3, v4
	;; [unrolled: 1-line block ×3, first 2 shown]
	v_cmp_lt_f32_e32 vcc_lo, v39, v40
	v_dual_mov_b32 v4, v19 :: v_dual_mov_b32 v17, v20
	v_dual_mov_b32 v18, v21 :: v_dual_mov_b32 v27, v22
	v_dual_mov_b32 v32, v5 :: v_dual_mov_b32 v33, v6
	v_dual_mov_b32 v34, v7 :: v_dual_mov_b32 v35, v8
	v_dual_mov_b32 v36, v9 :: v_dual_mov_b32 v37, v10
	v_dual_mov_b32 v38, v11 :: v_dual_mov_b32 v41, v12
	v_dual_mov_b32 v61, v40 :: v_dual_mov_b32 v42, v43
	v_dual_mov_b32 v52, v44 :: v_dual_mov_b32 v53, v45
	v_dual_mov_b32 v54, v46 :: v_dual_mov_b32 v55, v47
	v_dual_mov_b32 v57, v48 :: v_dual_mov_b32 v58, v49
	v_mov_b32_e32 v59, v50
	s_and_saveexec_b32 s2, vcc_lo
	s_cbranch_execz .LBB144_135
; %bb.134:
	v_dual_mov_b32 v42, v40 :: v_dual_mov_b32 v27, v22
	v_dual_mov_b32 v4, v15 :: v_dual_mov_b32 v17, v20
	;; [unrolled: 1-line block ×3, first 2 shown]
	v_swap_b32 v15, v16
	v_swap_b32 v1, v2
	v_dual_mov_b32 v40, v39 :: v_dual_mov_b32 v29, v24
	v_dual_mov_b32 v4, v19 :: v_dual_mov_b32 v31, v26
	v_dual_mov_b32 v18, v21 :: v_dual_mov_b32 v33, v6
	v_dual_mov_b32 v28, v23 :: v_dual_mov_b32 v35, v8
	v_dual_mov_b32 v30, v25 :: v_dual_mov_b32 v37, v10
	v_dual_mov_b32 v32, v5 :: v_dual_mov_b32 v41, v12
	v_dual_mov_b32 v34, v7 :: v_dual_mov_b32 v39, v42
	v_dual_mov_b32 v36, v9 :: v_dual_mov_b32 v55, v47
	v_dual_mov_b32 v38, v11 :: v_dual_mov_b32 v53, v45
	v_dual_mov_b32 v42, v43 :: v_dual_mov_b32 v57, v48
	v_dual_mov_b32 v52, v44 :: v_dual_mov_b32 v59, v50
	v_mov_b32_e32 v54, v46
	v_mov_b32_e32 v58, v49
.LBB144_135:
	s_or_b32 exec_lo, exec_lo, s2
	s_clause 0x1
	s_load_b32 s8, s[0:1], 0x28
	s_load_b128 s[4:7], s[0:1], 0x10
	s_waitcnt lgkmcnt(0)
	s_cmp_lt_i32 s8, 1
	s_cbranch_scc1 .LBB144_141
; %bb.136:
	v_cmp_lt_f32_e32 vcc_lo, v40, v60
	v_dual_mov_b32 v7, 0 :: v_dual_mov_b32 v6, 0
	s_mov_b32 s9, 0x76543210
	s_mov_b32 s10, s8
	v_dual_cndmask_b32 v5, v56, v2 :: v_dual_cndmask_b32 v12, v61, v60
	v_dual_cndmask_b32 v10, v2, v56 :: v_dual_cndmask_b32 v19, v16, v51
	v_cndmask_b32_e32 v2, v60, v40, vcc_lo
	v_cndmask_b32_e32 v8, v51, v16, vcc_lo
	s_delay_alu instid0(VALU_DEP_4) | instskip(NEXT) | instid1(VALU_DEP_1)
	v_cmp_lt_f32_e64 s2, v39, v12
	v_cndmask_b32_e64 v9, v10, v1, s2
	v_cndmask_b32_e64 v10, v1, v10, s2
	;; [unrolled: 1-line block ×6, first 2 shown]
	v_mov_b32_e32 v19, v0
	v_mov_b32_e32 v1, 0
.LBB144_137:                            ; =>This Inner Loop Header: Depth=1
	v_cmp_eq_u32_e32 vcc_lo, 1, v7
	v_cmp_eq_u32_e64 s2, 2, v7
	v_cmp_gt_u32_e64 s3, 12, v7
	v_dual_cndmask_b32 v20, v12, v11 :: v_dual_cndmask_b32 v21, v10, v9
	s_delay_alu instid0(VALU_DEP_1) | instskip(NEXT) | instid1(VALU_DEP_2)
	v_cndmask_b32_e64 v20, v20, v2, s2
	v_cndmask_b32_e64 v21, v21, v5, s2
	v_cndmask_b32_e32 v22, v15, v16, vcc_lo
	v_cmp_eq_u32_e32 vcc_lo, 3, v7
	s_delay_alu instid0(VALU_DEP_3) | instskip(NEXT) | instid1(VALU_DEP_3)
	v_cndmask_b32_e32 v21, v21, v14, vcc_lo
	v_cndmask_b32_e64 v22, v22, v8, s2
	v_cmp_eq_u32_e64 s2, 4, v7
	s_delay_alu instid0(VALU_DEP_2) | instskip(NEXT) | instid1(VALU_DEP_2)
	v_cndmask_b32_e32 v22, v22, v13, vcc_lo
	v_cndmask_b32_e64 v21, v21, v32, s2
	v_cndmask_b32_e32 v20, v20, v3, vcc_lo
	v_cmp_eq_u32_e32 vcc_lo, 5, v7
	s_delay_alu instid0(VALU_DEP_4) | instskip(NEXT) | instid1(VALU_DEP_4)
	v_cndmask_b32_e64 v22, v22, v4, s2
	v_cndmask_b32_e32 v21, v21, v33, vcc_lo
	s_delay_alu instid0(VALU_DEP_4) | instskip(SKIP_1) | instid1(VALU_DEP_4)
	v_cndmask_b32_e64 v20, v20, v42, s2
	v_cmp_eq_u32_e64 s2, 6, v7
	v_cndmask_b32_e32 v22, v22, v17, vcc_lo
	s_delay_alu instid0(VALU_DEP_3) | instskip(SKIP_1) | instid1(VALU_DEP_4)
	v_cndmask_b32_e32 v20, v20, v52, vcc_lo
	v_cmp_eq_u32_e32 vcc_lo, 7, v7
	v_cndmask_b32_e64 v21, v21, v34, s2
	s_delay_alu instid0(VALU_DEP_4) | instskip(NEXT) | instid1(VALU_DEP_4)
	v_cndmask_b32_e64 v22, v22, v18, s2
	v_cndmask_b32_e64 v20, v20, v53, s2
	v_cmp_eq_u32_e64 s2, 8, v7
	s_delay_alu instid0(VALU_DEP_4) | instskip(NEXT) | instid1(VALU_DEP_4)
	v_cndmask_b32_e32 v21, v21, v35, vcc_lo
	v_cndmask_b32_e32 v22, v22, v27, vcc_lo
	s_delay_alu instid0(VALU_DEP_4) | instskip(SKIP_1) | instid1(VALU_DEP_4)
	v_cndmask_b32_e32 v20, v20, v54, vcc_lo
	v_cmp_eq_u32_e32 vcc_lo, 9, v7
	v_cndmask_b32_e64 v21, v21, v36, s2
	s_delay_alu instid0(VALU_DEP_4) | instskip(NEXT) | instid1(VALU_DEP_4)
	v_cndmask_b32_e64 v22, v22, v28, s2
	v_cndmask_b32_e64 v20, v20, v55, s2
	v_cmp_eq_u32_e64 s2, 10, v7
	s_delay_alu instid0(VALU_DEP_4) | instskip(NEXT) | instid1(VALU_DEP_4)
	v_cndmask_b32_e32 v21, v21, v37, vcc_lo
	v_cndmask_b32_e32 v22, v22, v29, vcc_lo
	s_delay_alu instid0(VALU_DEP_4) | instskip(SKIP_1) | instid1(VALU_DEP_4)
	v_cndmask_b32_e32 v20, v20, v57, vcc_lo
	v_cmp_eq_u32_e32 vcc_lo, 11, v7
	v_cndmask_b32_e64 v21, v21, v38, s2
	s_delay_alu instid0(VALU_DEP_3) | instskip(NEXT) | instid1(VALU_DEP_1)
	v_cndmask_b32_e64 v20, v20, v58, s2
	v_dual_cndmask_b32 v21, v21, v41 :: v_dual_cndmask_b32 v20, v20, v59
	s_delay_alu instid0(VALU_DEP_1)
	v_cndmask_b32_e64 v20, 0xff800000, v20, s3
	;;#ASMSTART
	v_max_f32 v23, v20, v20 quad_perm:[1,0,3,2] row_mask:0xf bank_mask:0xf bound_ctrl:1
	;;#ASMEND
	;;#ASMSTART
	v_max_f32 v24, v23, v23 quad_perm:[2,3,0,1] row_mask:0xf bank_mask:0xf bound_ctrl:1
	;;#ASMEND
	;;#ASMSTART
	v_max_f32 v23, v24, v24 row_half_mirror row_mask:0xf bank_mask:0xf bound_ctrl:1
	;;#ASMEND
	;;#ASMSTART
	v_max_f32 v24, v23, v23 row_mirror row_mask:0xf bank_mask:0xf bound_ctrl:1
	;;#ASMEND
	v_permlanex16_b32 v23, v24, s9, 0xfedcba98 op_sel:[1,1]
	s_delay_alu instid0(VALU_DEP_1) | instskip(NEXT) | instid1(VALU_DEP_1)
	v_dual_max_f32 v24, v24, v24 :: v_dual_max_f32 v23, v23, v23
	v_max_f32_e32 v23, v24, v23
	v_cndmask_b32_e64 v22, v22, v30, s2
	s_delay_alu instid0(VALU_DEP_2) | instskip(SKIP_1) | instid1(VALU_DEP_2)
	v_cmp_eq_f32_e64 s2, v20, v23
	v_cndmask_b32_e64 v20, 0, v21, s3
	s_ctz_i32_b32 s11, s2
	s_cmp_lg_u32 s2, 0
	s_cselect_b32 s2, s11, 0
	s_add_i32 s10, s10, -1
	v_readlane_b32 s11, v20, s2
	v_cndmask_b32_e32 v20, v22, v31, vcc_lo
	s_delay_alu instid0(VALU_DEP_2)
	v_cmp_eq_u32_e32 vcc_lo, s11, v21
	s_and_b32 s2, s11, 31
	s_and_b32 vcc_lo, s3, vcc_lo
	s_cmp_eq_u32 s10, 0
	v_cndmask_b32_e32 v20, 0, v20, vcc_lo
	v_add_co_ci_u32_e32 v7, vcc_lo, 0, v7, vcc_lo
	s_delay_alu instid0(VALU_DEP_2) | instskip(SKIP_2) | instid1(VALU_DEP_2)
	v_readlane_b32 s3, v20, s2
	v_cmp_eq_u32_e64 s2, 0, v19
	v_add_nc_u32_e32 v19, -1, v19
	v_cndmask_b32_e64 v6, v6, s3, s2
	v_cndmask_b32_e64 v1, v1, s11, s2
	s_cbranch_scc0 .LBB144_137
; %bb.138:
	s_mov_b32 s2, exec_lo
	v_cmpx_gt_i32_e64 s8, v0
	s_cbranch_execz .LBB144_140
.LBB144_139:
	s_clause 0x1
	s_load_b64 s[2:3], s[0:1], 0x20
	s_load_b32 s8, s[0:1], 0x30
	s_ashr_i32 s0, s15, 31
	v_lshlrev_b32_e32 v0, 2, v0
	s_waitcnt lgkmcnt(0)
	s_mul_i32 s1, s15, s3
	s_mul_hi_u32 s3, s15, s2
	s_mul_i32 s0, s0, s2
	s_add_i32 s1, s3, s1
	v_mul_f32_e32 v2, s8, v6
	s_add_i32 s1, s1, s0
	s_mul_i32 s0, s15, s2
	s_delay_alu instid0(SALU_CYCLE_1) | instskip(NEXT) | instid1(SALU_CYCLE_1)
	s_lshl_b64 s[0:1], s[0:1], 2
	s_add_u32 s2, s4, s0
	s_addc_u32 s3, s5, s1
	s_add_u32 s0, s6, s0
	s_addc_u32 s1, s7, s1
	s_clause 0x1
	global_store_b32 v0, v2, s[2:3]
	global_store_b32 v0, v1, s[0:1]
.LBB144_140:
	s_endpgm
.LBB144_141:
	v_dual_mov_b32 v1, 0 :: v_dual_mov_b32 v6, 0
	s_mov_b32 s2, exec_lo
	v_cmpx_gt_i32_e64 s8, v0
	s_cbranch_execnz .LBB144_139
	s_branch .LBB144_140
	.section	.rodata,"a",@progbits
	.p2align	6, 0x0
	.amdhsa_kernel _ZN5aiter24topk_softplus_kernel_optI6__halfS1_Li384ELb0ELi1EEEvPKT_PKT0_PfPimiif
		.amdhsa_group_segment_fixed_size 0
		.amdhsa_private_segment_fixed_size 196
		.amdhsa_kernarg_size 52
		.amdhsa_user_sgpr_count 15
		.amdhsa_user_sgpr_dispatch_ptr 0
		.amdhsa_user_sgpr_queue_ptr 0
		.amdhsa_user_sgpr_kernarg_segment_ptr 1
		.amdhsa_user_sgpr_dispatch_id 0
		.amdhsa_user_sgpr_private_segment_size 0
		.amdhsa_wavefront_size32 1
		.amdhsa_uses_dynamic_stack 0
		.amdhsa_enable_private_segment 1
		.amdhsa_system_sgpr_workgroup_id_x 1
		.amdhsa_system_sgpr_workgroup_id_y 0
		.amdhsa_system_sgpr_workgroup_id_z 0
		.amdhsa_system_sgpr_workgroup_info 0
		.amdhsa_system_vgpr_workitem_id 0
		.amdhsa_next_free_vgpr 183
		.amdhsa_next_free_sgpr 16
		.amdhsa_reserve_vcc 1
		.amdhsa_float_round_mode_32 0
		.amdhsa_float_round_mode_16_64 0
		.amdhsa_float_denorm_mode_32 3
		.amdhsa_float_denorm_mode_16_64 3
		.amdhsa_dx10_clamp 1
		.amdhsa_ieee_mode 1
		.amdhsa_fp16_overflow 0
		.amdhsa_workgroup_processor_mode 1
		.amdhsa_memory_ordered 1
		.amdhsa_forward_progress 0
		.amdhsa_shared_vgpr_count 0
		.amdhsa_exception_fp_ieee_invalid_op 0
		.amdhsa_exception_fp_denorm_src 0
		.amdhsa_exception_fp_ieee_div_zero 0
		.amdhsa_exception_fp_ieee_overflow 0
		.amdhsa_exception_fp_ieee_underflow 0
		.amdhsa_exception_fp_ieee_inexact 0
		.amdhsa_exception_int_div_zero 0
	.end_amdhsa_kernel
	.section	.text._ZN5aiter24topk_softplus_kernel_optI6__halfS1_Li384ELb0ELi1EEEvPKT_PKT0_PfPimiif,"axG",@progbits,_ZN5aiter24topk_softplus_kernel_optI6__halfS1_Li384ELb0ELi1EEEvPKT_PKT0_PfPimiif,comdat
.Lfunc_end144:
	.size	_ZN5aiter24topk_softplus_kernel_optI6__halfS1_Li384ELb0ELi1EEEvPKT_PKT0_PfPimiif, .Lfunc_end144-_ZN5aiter24topk_softplus_kernel_optI6__halfS1_Li384ELb0ELi1EEEvPKT_PKT0_PfPimiif
                                        ; -- End function
	.section	.AMDGPU.csdata,"",@progbits
; Kernel info:
; codeLenInByte = 28024
; NumSgprs: 18
; NumVgprs: 183
; ScratchSize: 196
; MemoryBound: 0
; FloatMode: 240
; IeeeMode: 1
; LDSByteSize: 0 bytes/workgroup (compile time only)
; SGPRBlocks: 2
; VGPRBlocks: 22
; NumSGPRsForWavesPerEU: 18
; NumVGPRsForWavesPerEU: 183
; Occupancy: 8
; WaveLimiterHint : 0
; COMPUTE_PGM_RSRC2:SCRATCH_EN: 1
; COMPUTE_PGM_RSRC2:USER_SGPR: 15
; COMPUTE_PGM_RSRC2:TRAP_HANDLER: 0
; COMPUTE_PGM_RSRC2:TGID_X_EN: 1
; COMPUTE_PGM_RSRC2:TGID_Y_EN: 0
; COMPUTE_PGM_RSRC2:TGID_Z_EN: 0
; COMPUTE_PGM_RSRC2:TIDIG_COMP_CNT: 0
	.section	.text._ZN5aiter20topk_softplus_kernelI6__halfS1_Dv4_fLb1ELi1EEEvPKT_PKT0_PfPimiiif,"axG",@progbits,_ZN5aiter20topk_softplus_kernelI6__halfS1_Dv4_fLb1ELi1EEEvPKT_PKT0_PfPimiiif,comdat
	.protected	_ZN5aiter20topk_softplus_kernelI6__halfS1_Dv4_fLb1ELi1EEEvPKT_PKT0_PfPimiiif ; -- Begin function _ZN5aiter20topk_softplus_kernelI6__halfS1_Dv4_fLb1ELi1EEEvPKT_PKT0_PfPimiiif
	.globl	_ZN5aiter20topk_softplus_kernelI6__halfS1_Dv4_fLb1ELi1EEEvPKT_PKT0_PfPimiiif
	.p2align	8
	.type	_ZN5aiter20topk_softplus_kernelI6__halfS1_Dv4_fLb1ELi1EEEvPKT_PKT0_PfPimiiif,@function
_ZN5aiter20topk_softplus_kernelI6__halfS1_Dv4_fLb1ELi1EEEvPKT_PKT0_PfPimiiif: ; @_ZN5aiter20topk_softplus_kernelI6__halfS1_Dv4_fLb1ELi1EEEvPKT_PKT0_PfPimiiif
; %bb.0:
	s_clause 0x1
	s_load_b64 s[12:13], s[0:1], 0x28
	s_load_b256 s[4:11], s[0:1], 0x0
	v_lshlrev_b32_e32 v11, 2, v0
	v_lshl_add_u32 v12, v0, 4, 0
	s_waitcnt lgkmcnt(0)
	s_ashr_i32 s2, s12, 31
	s_mul_i32 s16, s15, s12
	s_lshr_b32 s2, s2, 30
	s_ashr_i32 s17, s16, 31
	s_add_i32 s2, s12, s2
	s_delay_alu instid0(SALU_CYCLE_1) | instskip(NEXT) | instid1(SALU_CYCLE_1)
	s_ashr_i32 s14, s2, 2
	v_cmp_gt_i32_e64 s2, s14, v0
	s_delay_alu instid0(VALU_DEP_1)
	s_and_saveexec_b32 s18, s2
	s_cbranch_execz .LBB145_11
; %bb.1:
	s_load_b32 s3, s[0:1], 0x44
	s_cmp_lg_u64 s[6:7], 0
	v_dual_mov_b32 v6, 0 :: v_dual_lshlrev_b32 v1, 3, v0
	s_cselect_b32 s20, -1, 0
	v_dual_mov_b32 v14, v0 :: v_dual_lshlrev_b32 v5, 2, v0
	v_lshl_add_u32 v13, v0, 4, 0
	s_mov_b32 s19, 0
	s_mov_b32 s31, 0xbfb8aa3b
	s_waitcnt lgkmcnt(0)
	s_and_b32 s21, s3, 0xffff
	s_add_u32 s22, s6, 2
	s_addc_u32 s23, s7, 0
	s_add_u32 s24, s6, 4
	s_addc_u32 s25, s7, 0
	;; [unrolled: 2-line block ×3, first 2 shown]
	s_lshl_b64 s[28:29], s[16:17], 1
	s_delay_alu instid0(SALU_CYCLE_1) | instskip(SKIP_2) | instid1(VALU_DEP_1)
	s_add_u32 s3, s4, s28
	s_addc_u32 s29, s5, s29
	v_add_co_u32 v7, s3, s3, v1
	v_add_co_ci_u32_e64 v8, null, s29, 0, s3
	s_lshl_b32 s28, s21, 3
	s_lshl_b32 s29, s21, 2
	;; [unrolled: 1-line block ×3, first 2 shown]
	s_branch .LBB145_3
.LBB145_2:                              ;   in Loop: Header=BB145_3 Depth=1
	v_add_nc_u32_e32 v14, s21, v14
	v_add_co_u32 v7, s3, v7, s28
	ds_store_b128 v13, v[1:4]
	v_add_co_ci_u32_e64 v8, s3, 0, v8, s3
	v_cmp_le_i32_e32 vcc_lo, s14, v14
	v_add_nc_u32_e32 v5, s29, v5
	v_add_nc_u32_e32 v13, s30, v13
	s_or_b32 s19, vcc_lo, s19
	s_delay_alu instid0(SALU_CYCLE_1)
	s_and_not1_b32 exec_lo, exec_lo, s19
	s_cbranch_execz .LBB145_11
.LBB145_3:                              ; =>This Inner Loop Header: Depth=1
	global_load_b64 v[3:4], v[7:8], off
	v_lshlrev_b64 v[9:10], 1, v[5:6]
	s_waitcnt vmcnt(0)
	v_cvt_f32_f16_e32 v1, v3
	s_delay_alu instid0(VALU_DEP_1) | instskip(NEXT) | instid1(VALU_DEP_1)
	v_mul_f32_e32 v1, 0xbfb8aa3b, v1
	v_cmp_gt_f32_e32 vcc_lo, 0xc2fc0000, v1
	v_cndmask_b32_e64 v2, 0, 0x42800000, vcc_lo
	v_cndmask_b32_e64 v1, 1.0, 0x1f800000, vcc_lo
	s_and_not1_b32 vcc_lo, exec_lo, s20
	s_delay_alu instid0(VALU_DEP_2) | instskip(NEXT) | instid1(VALU_DEP_1)
	v_fma_mix_f32 v2, v3, s31, v2 op_sel_hi:[1,0,0]
	v_exp_f32_e32 v2, v2
	s_waitcnt_depctr 0xfff
	v_fma_f32 v1, v2, v1, 1.0
	s_delay_alu instid0(VALU_DEP_1)
	v_rcp_f32_e32 v1, v1
	s_cbranch_vccnz .LBB145_5
; %bb.4:                                ;   in Loop: Header=BB145_3 Depth=1
	v_add_co_u32 v15, vcc_lo, s6, v9
	v_add_co_ci_u32_e32 v16, vcc_lo, s7, v10, vcc_lo
	global_load_u16 v2, v[15:16], off
	s_waitcnt vmcnt(0)
	v_cvt_f32_f16_e32 v2, v2
	s_delay_alu instid0(VALU_DEP_1)
	v_add_f32_e32 v1, v1, v2
.LBB145_5:                              ;   in Loop: Header=BB145_3 Depth=1
	v_lshrrev_b32_e32 v2, 16, v3
	s_delay_alu instid0(VALU_DEP_1) | instskip(NEXT) | instid1(VALU_DEP_1)
	v_cvt_f32_f16_e32 v2, v2
	v_mul_f32_e32 v2, 0xbfb8aa3b, v2
	s_delay_alu instid0(VALU_DEP_1) | instskip(SKIP_3) | instid1(VALU_DEP_2)
	v_cmp_gt_f32_e32 vcc_lo, 0xc2fc0000, v2
	v_cndmask_b32_e64 v15, 0, 0x42800000, vcc_lo
	v_cndmask_b32_e64 v2, 1.0, 0x1f800000, vcc_lo
	s_and_not1_b32 vcc_lo, exec_lo, s20
	v_fma_mix_f32 v3, v3, s31, v15 op_sel:[1,0,0] op_sel_hi:[1,0,0]
	s_delay_alu instid0(VALU_DEP_1) | instskip(SKIP_2) | instid1(VALU_DEP_1)
	v_exp_f32_e32 v3, v3
	s_waitcnt_depctr 0xfff
	v_fma_f32 v2, v3, v2, 1.0
	v_rcp_f32_e32 v2, v2
	s_cbranch_vccnz .LBB145_7
; %bb.6:                                ;   in Loop: Header=BB145_3 Depth=1
	v_add_co_u32 v15, vcc_lo, s22, v9
	v_add_co_ci_u32_e32 v16, vcc_lo, s23, v10, vcc_lo
	global_load_u16 v3, v[15:16], off
	s_waitcnt vmcnt(0)
	v_cvt_f32_f16_e32 v3, v3
	s_delay_alu instid0(VALU_DEP_1)
	v_add_f32_e32 v2, v2, v3
.LBB145_7:                              ;   in Loop: Header=BB145_3 Depth=1
	v_cvt_f32_f16_e32 v3, v4
	s_delay_alu instid0(VALU_DEP_1) | instskip(NEXT) | instid1(VALU_DEP_1)
	v_mul_f32_e32 v3, 0xbfb8aa3b, v3
	v_cmp_gt_f32_e32 vcc_lo, 0xc2fc0000, v3
	v_cndmask_b32_e64 v15, 0, 0x42800000, vcc_lo
	v_cndmask_b32_e64 v3, 1.0, 0x1f800000, vcc_lo
	s_and_not1_b32 vcc_lo, exec_lo, s20
	s_delay_alu instid0(VALU_DEP_2) | instskip(NEXT) | instid1(VALU_DEP_1)
	v_fma_mix_f32 v15, v4, s31, v15 op_sel_hi:[1,0,0]
	v_exp_f32_e32 v15, v15
	s_waitcnt_depctr 0xfff
	v_fma_f32 v3, v15, v3, 1.0
	s_delay_alu instid0(VALU_DEP_1)
	v_rcp_f32_e32 v3, v3
	s_cbranch_vccnz .LBB145_9
; %bb.8:                                ;   in Loop: Header=BB145_3 Depth=1
	v_add_co_u32 v15, vcc_lo, s24, v9
	v_add_co_ci_u32_e32 v16, vcc_lo, s25, v10, vcc_lo
	global_load_u16 v15, v[15:16], off
	s_waitcnt vmcnt(0)
	v_cvt_f32_f16_e32 v15, v15
	s_delay_alu instid0(VALU_DEP_1)
	v_add_f32_e32 v3, v3, v15
.LBB145_9:                              ;   in Loop: Header=BB145_3 Depth=1
	v_lshrrev_b32_e32 v15, 16, v4
	s_delay_alu instid0(VALU_DEP_1) | instskip(NEXT) | instid1(VALU_DEP_1)
	v_cvt_f32_f16_e32 v15, v15
	v_mul_f32_e32 v15, 0xbfb8aa3b, v15
	s_delay_alu instid0(VALU_DEP_1) | instskip(SKIP_3) | instid1(VALU_DEP_2)
	v_cmp_gt_f32_e32 vcc_lo, 0xc2fc0000, v15
	v_cndmask_b32_e64 v16, 0, 0x42800000, vcc_lo
	v_cndmask_b32_e64 v15, 1.0, 0x1f800000, vcc_lo
	s_and_not1_b32 vcc_lo, exec_lo, s20
	v_fma_mix_f32 v4, v4, s31, v16 op_sel:[1,0,0] op_sel_hi:[1,0,0]
	s_delay_alu instid0(VALU_DEP_1) | instskip(SKIP_2) | instid1(VALU_DEP_1)
	v_exp_f32_e32 v4, v4
	s_waitcnt_depctr 0xfff
	v_fma_f32 v4, v4, v15, 1.0
	v_rcp_f32_e32 v4, v4
	s_cbranch_vccnz .LBB145_2
; %bb.10:                               ;   in Loop: Header=BB145_3 Depth=1
	v_add_co_u32 v9, vcc_lo, s26, v9
	v_add_co_ci_u32_e32 v10, vcc_lo, s27, v10, vcc_lo
	global_load_u16 v9, v[9:10], off
	s_waitcnt vmcnt(0)
	v_cvt_f32_f16_e32 v9, v9
	s_delay_alu instid0(VALU_DEP_1)
	v_add_f32_e32 v4, v4, v9
	s_branch .LBB145_2
.LBB145_11:
	s_or_b32 exec_lo, exec_lo, s18
	v_lshl_add_u32 v1, s14, 2, v0
	s_mov_b32 s3, exec_lo
	s_delay_alu instid0(VALU_DEP_1)
	v_cmpx_gt_i32_e64 s12, v1
	s_cbranch_execz .LBB145_16
; %bb.12:
	s_load_b32 s18, s[0:1], 0x44
	s_lshl_b64 s[16:17], s[16:17], 1
	v_lshlrev_b32_e32 v2, 2, v0
	s_add_u32 s4, s4, s16
	s_addc_u32 s5, s5, s17
	s_cmp_lg_u64 s[6:7], 0
	s_mov_b32 s20, 0xbfb8aa3b
	s_cselect_b32 s16, -1, 0
	s_lshl_b32 s17, s14, 4
	s_delay_alu instid0(SALU_CYCLE_1)
	v_add3_u32 v4, 0, s17, v2
	s_waitcnt lgkmcnt(0)
	s_and_b32 s17, s18, 0xffff
	s_mov_b32 s18, 0
	s_lshl_b32 s19, s17, 2
	s_set_inst_prefetch_distance 0x1
	s_branch .LBB145_14
	.p2align	6
.LBB145_13:                             ;   in Loop: Header=BB145_14 Depth=1
	v_add_nc_u32_e32 v1, s17, v1
	v_add_nc_u32_e32 v4, s19, v4
	s_delay_alu instid0(VALU_DEP_2) | instskip(SKIP_1) | instid1(SALU_CYCLE_1)
	v_cmp_le_i32_e32 vcc_lo, s12, v1
	s_or_b32 s18, vcc_lo, s18
	s_and_not1_b32 exec_lo, exec_lo, s18
	s_cbranch_execz .LBB145_16
.LBB145_14:                             ; =>This Inner Loop Header: Depth=1
	v_ashrrev_i32_e32 v2, 31, v1
	s_delay_alu instid0(VALU_DEP_1) | instskip(NEXT) | instid1(VALU_DEP_1)
	v_lshlrev_b64 v[2:3], 1, v[1:2]
	v_add_co_u32 v5, vcc_lo, s4, v2
	s_delay_alu instid0(VALU_DEP_2) | instskip(SKIP_3) | instid1(VALU_DEP_1)
	v_add_co_ci_u32_e32 v6, vcc_lo, s5, v3, vcc_lo
	global_load_u16 v5, v[5:6], off
	s_waitcnt vmcnt(0)
	v_cvt_f32_f16_e32 v6, v5
	v_mul_f32_e32 v6, 0xbfb8aa3b, v6
	s_delay_alu instid0(VALU_DEP_1) | instskip(SKIP_1) | instid1(VALU_DEP_1)
	v_cmp_gt_f32_e32 vcc_lo, 0xc2fc0000, v6
	v_cndmask_b32_e64 v6, 0, 0x42800000, vcc_lo
	v_fma_mix_f32 v5, v5, s20, v6 op_sel_hi:[1,0,0]
	v_cndmask_b32_e64 v6, 1.0, 0x1f800000, vcc_lo
	s_and_not1_b32 vcc_lo, exec_lo, s16
	s_delay_alu instid0(VALU_DEP_2) | instskip(SKIP_2) | instid1(VALU_DEP_1)
	v_exp_f32_e32 v5, v5
	s_waitcnt_depctr 0xfff
	v_fma_f32 v5, v5, v6, 1.0
	v_rcp_f32_e32 v5, v5
	ds_store_b32 v4, v5
	s_cbranch_vccnz .LBB145_13
; %bb.15:                               ;   in Loop: Header=BB145_14 Depth=1
	v_add_co_u32 v2, vcc_lo, s6, v2
	v_add_co_ci_u32_e32 v3, vcc_lo, s7, v3, vcc_lo
	global_load_u16 v2, v[2:3], off
	s_waitcnt vmcnt(0)
	v_cvt_f32_f16_e32 v2, v2
	s_delay_alu instid0(VALU_DEP_1)
	v_add_f32_e32 v2, v5, v2
	ds_store_b32 v4, v2
	s_branch .LBB145_13
.LBB145_16:
	s_set_inst_prefetch_distance 0x2
	s_or_b32 exec_lo, exec_lo, s3
	v_mov_b32_e32 v2, 0
	s_cmp_lt_i32 s13, 1
	s_waitcnt lgkmcnt(0)
	s_barrier
	buffer_gl0_inv
	s_cbranch_scc1 .LBB145_25
; %bb.17:
	s_add_u32 s4, s0, 56
	s_addc_u32 s5, s1, 0
	v_dual_mov_b32 v2, 0 :: v_dual_mov_b32 v5, 0xff800000
	v_dual_mov_b32 v4, 0 :: v_dual_mov_b32 v1, 0
	v_mov_b32_e32 v3, 0
	s_cmp_lg_u64 s[6:7], 0
	s_mov_b32 s18, 0
	s_cselect_b32 s12, -1, 0
	s_mov_b32 s19, 0x76543210
	s_branch .LBB145_19
.LBB145_18:                             ;   in Loop: Header=BB145_19 Depth=1
	v_cmp_eq_u32_e32 vcc_lo, s18, v0
	s_delay_alu instid0(VALU_DEP_2)
	s_lshl_b32 s3, s16, 2
	s_add_i32 s18, s18, 1
	s_add_i32 s3, s3, 0
	v_add_f32_e32 v3, v3, v8
	v_cndmask_b32_e64 v1, v1, s16, vcc_lo
	v_mov_b32_e32 v6, s3
	v_cndmask_b32_e32 v2, v2, v8, vcc_lo
	s_cmp_eq_u32 s18, s13
	ds_store_b32 v6, v5
	s_cbranch_scc1 .LBB145_26
.LBB145_19:                             ; =>This Loop Header: Depth=1
                                        ;     Child Loop BB145_21 Depth 2
	v_dual_mov_b32 v6, s18 :: v_dual_mov_b32 v7, 0xff800000
	s_and_saveexec_b32 s16, s2
	s_cbranch_execz .LBB145_23
; %bb.20:                               ;   in Loop: Header=BB145_19 Depth=1
	s_load_b32 s3, s[4:5], 0xc
	v_dual_mov_b32 v6, s18 :: v_dual_mov_b32 v7, 0xff800000
	v_dual_mov_b32 v8, v12 :: v_dual_mov_b32 v9, v11
	v_mov_b32_e32 v10, v0
	s_mov_b32 s21, 0
	s_waitcnt lgkmcnt(0)
	s_and_b32 s17, s3, 0xffff
	s_delay_alu instid0(SALU_CYCLE_1)
	s_lshl_b32 s20, s17, 2
	s_lshl_b32 s22, s17, 4
	.p2align	6
.LBB145_21:                             ;   Parent Loop BB145_19 Depth=1
                                        ; =>  This Inner Loop Header: Depth=2
	ds_load_b128 v[13:16], v8
	v_add_nc_u32_e32 v8, s22, v8
	v_add_nc_u32_e32 v10, s17, v10
	s_delay_alu instid0(VALU_DEP_1) | instskip(NEXT) | instid1(VALU_DEP_1)
	v_cmp_le_i32_e64 s3, s14, v10
	s_or_b32 s21, s3, s21
	s_waitcnt lgkmcnt(0)
	v_cmp_gt_f32_e32 vcc_lo, v13, v7
	v_cndmask_b32_e32 v7, v7, v13, vcc_lo
	v_cndmask_b32_e32 v6, v6, v9, vcc_lo
	s_delay_alu instid0(VALU_DEP_2) | instskip(SKIP_2) | instid1(VALU_DEP_1)
	v_cmp_gt_f32_e32 vcc_lo, v14, v7
	v_dual_cndmask_b32 v7, v7, v14 :: v_dual_add_nc_u32 v14, 2, v9
	v_add_nc_u32_e32 v13, 1, v9
	v_cndmask_b32_e32 v6, v6, v13, vcc_lo
	s_delay_alu instid0(VALU_DEP_3) | instskip(SKIP_2) | instid1(VALU_DEP_4)
	v_cmp_gt_f32_e32 vcc_lo, v15, v7
	v_add_nc_u32_e32 v13, 3, v9
	v_add_nc_u32_e32 v9, s20, v9
	v_dual_cndmask_b32 v7, v7, v15 :: v_dual_cndmask_b32 v6, v6, v14
	s_delay_alu instid0(VALU_DEP_1) | instskip(NEXT) | instid1(VALU_DEP_2)
	v_cmp_gt_f32_e32 vcc_lo, v16, v7
	v_dual_cndmask_b32 v7, v7, v16 :: v_dual_cndmask_b32 v6, v6, v13
	s_and_not1_b32 exec_lo, exec_lo, s21
	s_cbranch_execnz .LBB145_21
; %bb.22:                               ;   in Loop: Header=BB145_19 Depth=1
	s_or_b32 exec_lo, exec_lo, s21
.LBB145_23:                             ;   in Loop: Header=BB145_19 Depth=1
	s_delay_alu instid0(SALU_CYCLE_1)
	s_or_b32 exec_lo, exec_lo, s16
	;;#ASMSTART
	v_max_f32 v8, v7, v7 quad_perm:[1,0,3,2] row_mask:0xf bank_mask:0xf bound_ctrl:1
	;;#ASMEND
	;;#ASMSTART
	v_max_f32 v9, v8, v8 quad_perm:[2,3,0,1] row_mask:0xf bank_mask:0xf bound_ctrl:1
	;;#ASMEND
	;;#ASMSTART
	v_max_f32 v8, v9, v9 row_half_mirror row_mask:0xf bank_mask:0xf bound_ctrl:1
	;;#ASMEND
	;;#ASMSTART
	v_max_f32 v9, v8, v8 row_mirror row_mask:0xf bank_mask:0xf bound_ctrl:1
	;;#ASMEND
	v_permlanex16_b32 v8, v9, s19, 0xfedcba98 op_sel:[1,1]
	s_delay_alu instid0(VALU_DEP_1) | instskip(NEXT) | instid1(VALU_DEP_1)
	v_dual_max_f32 v9, v9, v9 :: v_dual_max_f32 v8, v8, v8
	v_max_f32_e32 v8, v9, v8
	s_delay_alu instid0(VALU_DEP_1)
	v_cmp_eq_f32_e32 vcc_lo, v7, v8
	s_ctz_i32_b32 s3, vcc_lo
	s_cmp_lg_u32 vcc_lo, 0
	s_cselect_b32 s3, s3, 0
	s_and_b32 vcc_lo, exec_lo, s12
	v_readlane_b32 s16, v6, s3
	s_cbranch_vccz .LBB145_18
; %bb.24:                               ;   in Loop: Header=BB145_19 Depth=1
	s_delay_alu instid0(VALU_DEP_1) | instskip(NEXT) | instid1(SALU_CYCLE_1)
	s_ashr_i32 s17, s16, 31
	s_lshl_b64 s[20:21], s[16:17], 1
	s_delay_alu instid0(SALU_CYCLE_1) | instskip(SKIP_4) | instid1(VALU_DEP_1)
	s_add_u32 s20, s6, s20
	s_addc_u32 s21, s7, s21
	global_load_u16 v6, v4, s[20:21]
	s_waitcnt vmcnt(0)
	v_cvt_f32_f16_e32 v6, v6
	v_sub_f32_e32 v8, v8, v6
	s_branch .LBB145_18
.LBB145_25:
	v_mov_b32_e32 v1, 0
	v_mov_b32_e32 v3, 0
.LBB145_26:
	s_mov_b32 s2, exec_lo
	v_cmpx_gt_i32_e64 s13, v0
	s_cbranch_execz .LBB145_29
; %bb.27:
	s_clause 0x1
	s_load_b32 s2, s[0:1], 0x34
	s_load_b32 s3, s[0:1], 0x44
	v_max_f32_e32 v3, v3, v3
	s_load_b64 s[0:1], s[0:1], 0x20
	s_ashr_i32 s4, s15, 31
	s_delay_alu instid0(VALU_DEP_1) | instskip(SKIP_1) | instid1(VALU_DEP_1)
	v_max_f32_e32 v3, 0x1e3ce508, v3
	s_waitcnt lgkmcnt(0)
	v_div_scale_f32 v4, null, v3, v3, s2
	v_div_scale_f32 v7, vcc_lo, s2, v3, s2
	s_mul_i32 s1, s15, s1
	s_delay_alu instid0(VALU_DEP_2) | instskip(SKIP_4) | instid1(VALU_DEP_1)
	v_rcp_f32_e32 v5, v4
	s_mul_i32 s4, s4, s0
	s_and_b32 s3, s3, 0xffff
	s_waitcnt_depctr 0xfff
	v_fma_f32 v6, -v4, v5, 1.0
	v_fmac_f32_e32 v5, v6, v5
	s_delay_alu instid0(VALU_DEP_1) | instskip(NEXT) | instid1(VALU_DEP_1)
	v_mul_f32_e32 v6, v7, v5
	v_fma_f32 v8, -v4, v6, v7
	s_delay_alu instid0(VALU_DEP_1) | instskip(NEXT) | instid1(VALU_DEP_1)
	v_fmac_f32_e32 v6, v8, v5
	v_fma_f32 v4, -v4, v6, v7
	s_delay_alu instid0(VALU_DEP_1) | instskip(NEXT) | instid1(VALU_DEP_1)
	v_div_fmas_f32 v4, v4, v5, v6
	v_div_fixup_f32 v3, v4, v3, s2
	s_mul_hi_u32 s2, s15, s0
	s_delay_alu instid0(SALU_CYCLE_1) | instskip(SKIP_1) | instid1(VALU_DEP_1)
	s_add_i32 s1, s2, s1
	s_mul_i32 s2, s15, s0
	v_mul_f32_e32 v2, v2, v3
	s_add_i32 s1, s1, s4
	s_mov_b32 s4, 0
	.p2align	6
.LBB145_28:                             ; =>This Inner Loop Header: Depth=1
	v_ashrrev_i32_e32 v4, 31, v0
	v_add_co_u32 v3, vcc_lo, s2, v0
	v_add_nc_u32_e32 v0, s3, v0
	s_delay_alu instid0(VALU_DEP_3) | instskip(NEXT) | instid1(VALU_DEP_2)
	v_add_co_ci_u32_e32 v4, vcc_lo, s1, v4, vcc_lo
	v_cmp_le_i32_e32 vcc_lo, s13, v0
	s_delay_alu instid0(VALU_DEP_2) | instskip(SKIP_1) | instid1(VALU_DEP_1)
	v_lshlrev_b64 v[3:4], 2, v[3:4]
	s_or_b32 s4, vcc_lo, s4
	v_add_co_u32 v5, s0, s8, v3
	s_delay_alu instid0(VALU_DEP_1) | instskip(SKIP_1) | instid1(VALU_DEP_1)
	v_add_co_ci_u32_e64 v6, s0, s9, v4, s0
	v_add_co_u32 v3, s0, s10, v3
	v_add_co_ci_u32_e64 v4, s0, s11, v4, s0
	global_store_b32 v[5:6], v2, off
	global_store_b32 v[3:4], v1, off
	s_and_not1_b32 exec_lo, exec_lo, s4
	s_cbranch_execnz .LBB145_28
.LBB145_29:
	s_nop 0
	s_sendmsg sendmsg(MSG_DEALLOC_VGPRS)
	s_endpgm
	.section	.rodata,"a",@progbits
	.p2align	6, 0x0
	.amdhsa_kernel _ZN5aiter20topk_softplus_kernelI6__halfS1_Dv4_fLb1ELi1EEEvPKT_PKT0_PfPimiiif
		.amdhsa_group_segment_fixed_size 0
		.amdhsa_private_segment_fixed_size 0
		.amdhsa_kernarg_size 312
		.amdhsa_user_sgpr_count 15
		.amdhsa_user_sgpr_dispatch_ptr 0
		.amdhsa_user_sgpr_queue_ptr 0
		.amdhsa_user_sgpr_kernarg_segment_ptr 1
		.amdhsa_user_sgpr_dispatch_id 0
		.amdhsa_user_sgpr_private_segment_size 0
		.amdhsa_wavefront_size32 1
		.amdhsa_uses_dynamic_stack 0
		.amdhsa_enable_private_segment 0
		.amdhsa_system_sgpr_workgroup_id_x 1
		.amdhsa_system_sgpr_workgroup_id_y 0
		.amdhsa_system_sgpr_workgroup_id_z 0
		.amdhsa_system_sgpr_workgroup_info 0
		.amdhsa_system_vgpr_workitem_id 0
		.amdhsa_next_free_vgpr 17
		.amdhsa_next_free_sgpr 32
		.amdhsa_reserve_vcc 1
		.amdhsa_float_round_mode_32 0
		.amdhsa_float_round_mode_16_64 0
		.amdhsa_float_denorm_mode_32 3
		.amdhsa_float_denorm_mode_16_64 3
		.amdhsa_dx10_clamp 1
		.amdhsa_ieee_mode 1
		.amdhsa_fp16_overflow 0
		.amdhsa_workgroup_processor_mode 1
		.amdhsa_memory_ordered 1
		.amdhsa_forward_progress 0
		.amdhsa_shared_vgpr_count 0
		.amdhsa_exception_fp_ieee_invalid_op 0
		.amdhsa_exception_fp_denorm_src 0
		.amdhsa_exception_fp_ieee_div_zero 0
		.amdhsa_exception_fp_ieee_overflow 0
		.amdhsa_exception_fp_ieee_underflow 0
		.amdhsa_exception_fp_ieee_inexact 0
		.amdhsa_exception_int_div_zero 0
	.end_amdhsa_kernel
	.section	.text._ZN5aiter20topk_softplus_kernelI6__halfS1_Dv4_fLb1ELi1EEEvPKT_PKT0_PfPimiiif,"axG",@progbits,_ZN5aiter20topk_softplus_kernelI6__halfS1_Dv4_fLb1ELi1EEEvPKT_PKT0_PfPimiiif,comdat
.Lfunc_end145:
	.size	_ZN5aiter20topk_softplus_kernelI6__halfS1_Dv4_fLb1ELi1EEEvPKT_PKT0_PfPimiiif, .Lfunc_end145-_ZN5aiter20topk_softplus_kernelI6__halfS1_Dv4_fLb1ELi1EEEvPKT_PKT0_PfPimiiif
                                        ; -- End function
	.section	.AMDGPU.csdata,"",@progbits
; Kernel info:
; codeLenInByte = 2032
; NumSgprs: 34
; NumVgprs: 17
; ScratchSize: 0
; MemoryBound: 0
; FloatMode: 240
; IeeeMode: 1
; LDSByteSize: 0 bytes/workgroup (compile time only)
; SGPRBlocks: 4
; VGPRBlocks: 2
; NumSGPRsForWavesPerEU: 34
; NumVGPRsForWavesPerEU: 17
; Occupancy: 16
; WaveLimiterHint : 0
; COMPUTE_PGM_RSRC2:SCRATCH_EN: 0
; COMPUTE_PGM_RSRC2:USER_SGPR: 15
; COMPUTE_PGM_RSRC2:TRAP_HANDLER: 0
; COMPUTE_PGM_RSRC2:TGID_X_EN: 1
; COMPUTE_PGM_RSRC2:TGID_Y_EN: 0
; COMPUTE_PGM_RSRC2:TGID_Z_EN: 0
; COMPUTE_PGM_RSRC2:TIDIG_COMP_CNT: 0
	.section	.text._ZN5aiter20topk_softplus_kernelI6__halfS1_Dv4_fLb0ELi1EEEvPKT_PKT0_PfPimiiif,"axG",@progbits,_ZN5aiter20topk_softplus_kernelI6__halfS1_Dv4_fLb0ELi1EEEvPKT_PKT0_PfPimiiif,comdat
	.protected	_ZN5aiter20topk_softplus_kernelI6__halfS1_Dv4_fLb0ELi1EEEvPKT_PKT0_PfPimiiif ; -- Begin function _ZN5aiter20topk_softplus_kernelI6__halfS1_Dv4_fLb0ELi1EEEvPKT_PKT0_PfPimiiif
	.globl	_ZN5aiter20topk_softplus_kernelI6__halfS1_Dv4_fLb0ELi1EEEvPKT_PKT0_PfPimiiif
	.p2align	8
	.type	_ZN5aiter20topk_softplus_kernelI6__halfS1_Dv4_fLb0ELi1EEEvPKT_PKT0_PfPimiiif,@function
_ZN5aiter20topk_softplus_kernelI6__halfS1_Dv4_fLb0ELi1EEEvPKT_PKT0_PfPimiiif: ; @_ZN5aiter20topk_softplus_kernelI6__halfS1_Dv4_fLb0ELi1EEEvPKT_PKT0_PfPimiiif
; %bb.0:
	s_clause 0x1
	s_load_b64 s[12:13], s[0:1], 0x28
	s_load_b256 s[4:11], s[0:1], 0x0
	v_lshlrev_b32_e32 v11, 2, v0
	v_lshl_add_u32 v12, v0, 4, 0
	s_waitcnt lgkmcnt(0)
	s_ashr_i32 s2, s12, 31
	s_mul_i32 s16, s15, s12
	s_lshr_b32 s2, s2, 30
	s_ashr_i32 s17, s16, 31
	s_add_i32 s2, s12, s2
	s_delay_alu instid0(SALU_CYCLE_1) | instskip(NEXT) | instid1(SALU_CYCLE_1)
	s_ashr_i32 s14, s2, 2
	v_cmp_gt_i32_e64 s2, s14, v0
	s_delay_alu instid0(VALU_DEP_1)
	s_and_saveexec_b32 s18, s2
	s_cbranch_execz .LBB146_11
; %bb.1:
	s_load_b32 s3, s[0:1], 0x44
	s_cmp_lg_u64 s[6:7], 0
	v_dual_mov_b32 v6, 0 :: v_dual_lshlrev_b32 v1, 3, v0
	s_cselect_b32 s20, -1, 0
	v_dual_mov_b32 v14, v0 :: v_dual_lshlrev_b32 v5, 2, v0
	v_lshl_add_u32 v13, v0, 4, 0
	s_mov_b32 s19, 0
	s_mov_b32 s31, 0xbfb8aa3b
	s_waitcnt lgkmcnt(0)
	s_and_b32 s21, s3, 0xffff
	s_add_u32 s22, s6, 2
	s_addc_u32 s23, s7, 0
	s_add_u32 s24, s6, 4
	s_addc_u32 s25, s7, 0
	;; [unrolled: 2-line block ×3, first 2 shown]
	s_lshl_b64 s[28:29], s[16:17], 1
	s_delay_alu instid0(SALU_CYCLE_1) | instskip(SKIP_2) | instid1(VALU_DEP_1)
	s_add_u32 s3, s4, s28
	s_addc_u32 s29, s5, s29
	v_add_co_u32 v7, s3, s3, v1
	v_add_co_ci_u32_e64 v8, null, s29, 0, s3
	s_lshl_b32 s28, s21, 3
	s_lshl_b32 s29, s21, 2
	;; [unrolled: 1-line block ×3, first 2 shown]
	s_branch .LBB146_3
.LBB146_2:                              ;   in Loop: Header=BB146_3 Depth=1
	v_add_nc_u32_e32 v14, s21, v14
	v_add_co_u32 v7, s3, v7, s28
	ds_store_b128 v13, v[1:4]
	v_add_co_ci_u32_e64 v8, s3, 0, v8, s3
	v_cmp_le_i32_e32 vcc_lo, s14, v14
	v_add_nc_u32_e32 v5, s29, v5
	v_add_nc_u32_e32 v13, s30, v13
	s_or_b32 s19, vcc_lo, s19
	s_delay_alu instid0(SALU_CYCLE_1)
	s_and_not1_b32 exec_lo, exec_lo, s19
	s_cbranch_execz .LBB146_11
.LBB146_3:                              ; =>This Inner Loop Header: Depth=1
	global_load_b64 v[3:4], v[7:8], off
	v_lshlrev_b64 v[9:10], 1, v[5:6]
	s_waitcnt vmcnt(0)
	v_cvt_f32_f16_e32 v1, v3
	s_delay_alu instid0(VALU_DEP_1) | instskip(NEXT) | instid1(VALU_DEP_1)
	v_mul_f32_e32 v1, 0xbfb8aa3b, v1
	v_cmp_gt_f32_e32 vcc_lo, 0xc2fc0000, v1
	v_cndmask_b32_e64 v2, 0, 0x42800000, vcc_lo
	v_cndmask_b32_e64 v1, 1.0, 0x1f800000, vcc_lo
	s_and_not1_b32 vcc_lo, exec_lo, s20
	s_delay_alu instid0(VALU_DEP_2) | instskip(NEXT) | instid1(VALU_DEP_1)
	v_fma_mix_f32 v2, v3, s31, v2 op_sel_hi:[1,0,0]
	v_exp_f32_e32 v2, v2
	s_waitcnt_depctr 0xfff
	v_fma_f32 v1, v2, v1, 1.0
	s_delay_alu instid0(VALU_DEP_1)
	v_rcp_f32_e32 v1, v1
	s_cbranch_vccnz .LBB146_5
; %bb.4:                                ;   in Loop: Header=BB146_3 Depth=1
	v_add_co_u32 v15, vcc_lo, s6, v9
	v_add_co_ci_u32_e32 v16, vcc_lo, s7, v10, vcc_lo
	global_load_u16 v2, v[15:16], off
	s_waitcnt vmcnt(0)
	v_cvt_f32_f16_e32 v2, v2
	s_delay_alu instid0(VALU_DEP_1)
	v_add_f32_e32 v1, v1, v2
.LBB146_5:                              ;   in Loop: Header=BB146_3 Depth=1
	v_lshrrev_b32_e32 v2, 16, v3
	s_delay_alu instid0(VALU_DEP_1) | instskip(NEXT) | instid1(VALU_DEP_1)
	v_cvt_f32_f16_e32 v2, v2
	v_mul_f32_e32 v2, 0xbfb8aa3b, v2
	s_delay_alu instid0(VALU_DEP_1) | instskip(SKIP_3) | instid1(VALU_DEP_2)
	v_cmp_gt_f32_e32 vcc_lo, 0xc2fc0000, v2
	v_cndmask_b32_e64 v15, 0, 0x42800000, vcc_lo
	v_cndmask_b32_e64 v2, 1.0, 0x1f800000, vcc_lo
	s_and_not1_b32 vcc_lo, exec_lo, s20
	v_fma_mix_f32 v3, v3, s31, v15 op_sel:[1,0,0] op_sel_hi:[1,0,0]
	s_delay_alu instid0(VALU_DEP_1) | instskip(SKIP_2) | instid1(VALU_DEP_1)
	v_exp_f32_e32 v3, v3
	s_waitcnt_depctr 0xfff
	v_fma_f32 v2, v3, v2, 1.0
	v_rcp_f32_e32 v2, v2
	s_cbranch_vccnz .LBB146_7
; %bb.6:                                ;   in Loop: Header=BB146_3 Depth=1
	v_add_co_u32 v15, vcc_lo, s22, v9
	v_add_co_ci_u32_e32 v16, vcc_lo, s23, v10, vcc_lo
	global_load_u16 v3, v[15:16], off
	s_waitcnt vmcnt(0)
	v_cvt_f32_f16_e32 v3, v3
	s_delay_alu instid0(VALU_DEP_1)
	v_add_f32_e32 v2, v2, v3
.LBB146_7:                              ;   in Loop: Header=BB146_3 Depth=1
	v_cvt_f32_f16_e32 v3, v4
	s_delay_alu instid0(VALU_DEP_1) | instskip(NEXT) | instid1(VALU_DEP_1)
	v_mul_f32_e32 v3, 0xbfb8aa3b, v3
	v_cmp_gt_f32_e32 vcc_lo, 0xc2fc0000, v3
	v_cndmask_b32_e64 v15, 0, 0x42800000, vcc_lo
	v_cndmask_b32_e64 v3, 1.0, 0x1f800000, vcc_lo
	s_and_not1_b32 vcc_lo, exec_lo, s20
	s_delay_alu instid0(VALU_DEP_2) | instskip(NEXT) | instid1(VALU_DEP_1)
	v_fma_mix_f32 v15, v4, s31, v15 op_sel_hi:[1,0,0]
	v_exp_f32_e32 v15, v15
	s_waitcnt_depctr 0xfff
	v_fma_f32 v3, v15, v3, 1.0
	s_delay_alu instid0(VALU_DEP_1)
	v_rcp_f32_e32 v3, v3
	s_cbranch_vccnz .LBB146_9
; %bb.8:                                ;   in Loop: Header=BB146_3 Depth=1
	v_add_co_u32 v15, vcc_lo, s24, v9
	v_add_co_ci_u32_e32 v16, vcc_lo, s25, v10, vcc_lo
	global_load_u16 v15, v[15:16], off
	s_waitcnt vmcnt(0)
	v_cvt_f32_f16_e32 v15, v15
	s_delay_alu instid0(VALU_DEP_1)
	v_add_f32_e32 v3, v3, v15
.LBB146_9:                              ;   in Loop: Header=BB146_3 Depth=1
	v_lshrrev_b32_e32 v15, 16, v4
	s_delay_alu instid0(VALU_DEP_1) | instskip(NEXT) | instid1(VALU_DEP_1)
	v_cvt_f32_f16_e32 v15, v15
	v_mul_f32_e32 v15, 0xbfb8aa3b, v15
	s_delay_alu instid0(VALU_DEP_1) | instskip(SKIP_3) | instid1(VALU_DEP_2)
	v_cmp_gt_f32_e32 vcc_lo, 0xc2fc0000, v15
	v_cndmask_b32_e64 v16, 0, 0x42800000, vcc_lo
	v_cndmask_b32_e64 v15, 1.0, 0x1f800000, vcc_lo
	s_and_not1_b32 vcc_lo, exec_lo, s20
	v_fma_mix_f32 v4, v4, s31, v16 op_sel:[1,0,0] op_sel_hi:[1,0,0]
	s_delay_alu instid0(VALU_DEP_1) | instskip(SKIP_2) | instid1(VALU_DEP_1)
	v_exp_f32_e32 v4, v4
	s_waitcnt_depctr 0xfff
	v_fma_f32 v4, v4, v15, 1.0
	v_rcp_f32_e32 v4, v4
	s_cbranch_vccnz .LBB146_2
; %bb.10:                               ;   in Loop: Header=BB146_3 Depth=1
	v_add_co_u32 v9, vcc_lo, s26, v9
	v_add_co_ci_u32_e32 v10, vcc_lo, s27, v10, vcc_lo
	global_load_u16 v9, v[9:10], off
	s_waitcnt vmcnt(0)
	v_cvt_f32_f16_e32 v9, v9
	s_delay_alu instid0(VALU_DEP_1)
	v_add_f32_e32 v4, v4, v9
	s_branch .LBB146_2
.LBB146_11:
	s_or_b32 exec_lo, exec_lo, s18
	v_lshl_add_u32 v1, s14, 2, v0
	s_mov_b32 s3, exec_lo
	s_delay_alu instid0(VALU_DEP_1)
	v_cmpx_gt_i32_e64 s12, v1
	s_cbranch_execz .LBB146_16
; %bb.12:
	s_load_b32 s18, s[0:1], 0x44
	s_lshl_b64 s[16:17], s[16:17], 1
	v_lshlrev_b32_e32 v2, 2, v0
	s_add_u32 s4, s4, s16
	s_addc_u32 s5, s5, s17
	s_cmp_lg_u64 s[6:7], 0
	s_mov_b32 s20, 0xbfb8aa3b
	s_cselect_b32 s16, -1, 0
	s_lshl_b32 s17, s14, 4
	s_delay_alu instid0(SALU_CYCLE_1)
	v_add3_u32 v4, 0, s17, v2
	s_waitcnt lgkmcnt(0)
	s_and_b32 s17, s18, 0xffff
	s_mov_b32 s18, 0
	s_lshl_b32 s19, s17, 2
	s_set_inst_prefetch_distance 0x1
	s_branch .LBB146_14
	.p2align	6
.LBB146_13:                             ;   in Loop: Header=BB146_14 Depth=1
	v_add_nc_u32_e32 v1, s17, v1
	v_add_nc_u32_e32 v4, s19, v4
	s_delay_alu instid0(VALU_DEP_2) | instskip(SKIP_1) | instid1(SALU_CYCLE_1)
	v_cmp_le_i32_e32 vcc_lo, s12, v1
	s_or_b32 s18, vcc_lo, s18
	s_and_not1_b32 exec_lo, exec_lo, s18
	s_cbranch_execz .LBB146_16
.LBB146_14:                             ; =>This Inner Loop Header: Depth=1
	v_ashrrev_i32_e32 v2, 31, v1
	s_delay_alu instid0(VALU_DEP_1) | instskip(NEXT) | instid1(VALU_DEP_1)
	v_lshlrev_b64 v[2:3], 1, v[1:2]
	v_add_co_u32 v5, vcc_lo, s4, v2
	s_delay_alu instid0(VALU_DEP_2) | instskip(SKIP_3) | instid1(VALU_DEP_1)
	v_add_co_ci_u32_e32 v6, vcc_lo, s5, v3, vcc_lo
	global_load_u16 v5, v[5:6], off
	s_waitcnt vmcnt(0)
	v_cvt_f32_f16_e32 v6, v5
	v_mul_f32_e32 v6, 0xbfb8aa3b, v6
	s_delay_alu instid0(VALU_DEP_1) | instskip(SKIP_1) | instid1(VALU_DEP_1)
	v_cmp_gt_f32_e32 vcc_lo, 0xc2fc0000, v6
	v_cndmask_b32_e64 v6, 0, 0x42800000, vcc_lo
	v_fma_mix_f32 v5, v5, s20, v6 op_sel_hi:[1,0,0]
	v_cndmask_b32_e64 v6, 1.0, 0x1f800000, vcc_lo
	s_and_not1_b32 vcc_lo, exec_lo, s16
	s_delay_alu instid0(VALU_DEP_2) | instskip(SKIP_2) | instid1(VALU_DEP_1)
	v_exp_f32_e32 v5, v5
	s_waitcnt_depctr 0xfff
	v_fma_f32 v5, v5, v6, 1.0
	v_rcp_f32_e32 v5, v5
	ds_store_b32 v4, v5
	s_cbranch_vccnz .LBB146_13
; %bb.15:                               ;   in Loop: Header=BB146_14 Depth=1
	v_add_co_u32 v2, vcc_lo, s6, v2
	v_add_co_ci_u32_e32 v3, vcc_lo, s7, v3, vcc_lo
	global_load_u16 v2, v[2:3], off
	s_waitcnt vmcnt(0)
	v_cvt_f32_f16_e32 v2, v2
	s_delay_alu instid0(VALU_DEP_1)
	v_add_f32_e32 v2, v5, v2
	ds_store_b32 v4, v2
	s_branch .LBB146_13
.LBB146_16:
	s_set_inst_prefetch_distance 0x2
	s_or_b32 exec_lo, exec_lo, s3
	s_cmp_lt_i32 s13, 1
	s_waitcnt lgkmcnt(0)
	s_barrier
	buffer_gl0_inv
	s_cbranch_scc1 .LBB146_25
; %bb.17:
	s_add_u32 s4, s0, 56
	s_addc_u32 s5, s1, 0
	v_dual_mov_b32 v3, 0 :: v_dual_mov_b32 v4, 0xff800000
	v_dual_mov_b32 v1, 0 :: v_dual_mov_b32 v2, 0
	s_cmp_lg_u64 s[6:7], 0
	s_mov_b32 s18, 0
	s_cselect_b32 s12, -1, 0
	s_mov_b32 s19, 0x76543210
	s_branch .LBB146_19
.LBB146_18:                             ;   in Loop: Header=BB146_19 Depth=1
	v_cmp_eq_u32_e32 vcc_lo, s18, v0
	s_delay_alu instid0(VALU_DEP_2)
	s_lshl_b32 s3, s16, 2
	s_add_i32 s18, s18, 1
	s_add_i32 s3, s3, 0
	s_cmp_eq_u32 s18, s13
	v_cndmask_b32_e64 v1, v1, s16, vcc_lo
	v_dual_mov_b32 v5, s3 :: v_dual_cndmask_b32 v2, v2, v7
	ds_store_b32 v5, v4
	s_cbranch_scc1 .LBB146_26
.LBB146_19:                             ; =>This Loop Header: Depth=1
                                        ;     Child Loop BB146_21 Depth 2
	v_dual_mov_b32 v5, s18 :: v_dual_mov_b32 v6, 0xff800000
	s_and_saveexec_b32 s16, s2
	s_cbranch_execz .LBB146_23
; %bb.20:                               ;   in Loop: Header=BB146_19 Depth=1
	s_load_b32 s3, s[4:5], 0xc
	v_dual_mov_b32 v5, s18 :: v_dual_mov_b32 v6, 0xff800000
	v_dual_mov_b32 v7, v12 :: v_dual_mov_b32 v8, v11
	v_mov_b32_e32 v9, v0
	s_mov_b32 s21, 0
	s_waitcnt lgkmcnt(0)
	s_and_b32 s17, s3, 0xffff
	s_delay_alu instid0(SALU_CYCLE_1)
	s_lshl_b32 s20, s17, 2
	s_lshl_b32 s22, s17, 4
	.p2align	6
.LBB146_21:                             ;   Parent Loop BB146_19 Depth=1
                                        ; =>  This Inner Loop Header: Depth=2
	ds_load_b128 v[13:16], v7
	v_add_nc_u32_e32 v7, s22, v7
	s_waitcnt lgkmcnt(0)
	v_cmp_gt_f32_e32 vcc_lo, v13, v6
	v_dual_cndmask_b32 v6, v6, v13 :: v_dual_cndmask_b32 v5, v5, v8
	v_add_nc_u32_e32 v13, 2, v8
	v_add_nc_u32_e32 v10, 1, v8
	s_delay_alu instid0(VALU_DEP_3) | instskip(SKIP_1) | instid1(VALU_DEP_3)
	v_cmp_gt_f32_e32 vcc_lo, v14, v6
	v_cndmask_b32_e32 v6, v6, v14, vcc_lo
	v_dual_cndmask_b32 v5, v5, v10 :: v_dual_add_nc_u32 v10, 3, v8
	s_delay_alu instid0(VALU_DEP_2) | instskip(NEXT) | instid1(VALU_DEP_2)
	v_cmp_gt_f32_e32 vcc_lo, v15, v6
	v_dual_cndmask_b32 v6, v6, v15 :: v_dual_cndmask_b32 v5, v5, v13
	s_delay_alu instid0(VALU_DEP_1) | instskip(SKIP_1) | instid1(VALU_DEP_3)
	v_cmp_gt_f32_e32 vcc_lo, v16, v6
	v_add_nc_u32_e32 v9, s17, v9
	v_dual_cndmask_b32 v5, v5, v10 :: v_dual_add_nc_u32 v8, s20, v8
	v_cndmask_b32_e32 v6, v6, v16, vcc_lo
	s_delay_alu instid0(VALU_DEP_3) | instskip(NEXT) | instid1(VALU_DEP_1)
	v_cmp_le_i32_e64 s3, s14, v9
	s_or_b32 s21, s3, s21
	s_delay_alu instid0(SALU_CYCLE_1)
	s_and_not1_b32 exec_lo, exec_lo, s21
	s_cbranch_execnz .LBB146_21
; %bb.22:                               ;   in Loop: Header=BB146_19 Depth=1
	s_or_b32 exec_lo, exec_lo, s21
.LBB146_23:                             ;   in Loop: Header=BB146_19 Depth=1
	s_delay_alu instid0(SALU_CYCLE_1)
	s_or_b32 exec_lo, exec_lo, s16
	;;#ASMSTART
	v_max_f32 v7, v6, v6 quad_perm:[1,0,3,2] row_mask:0xf bank_mask:0xf bound_ctrl:1
	;;#ASMEND
	;;#ASMSTART
	v_max_f32 v8, v7, v7 quad_perm:[2,3,0,1] row_mask:0xf bank_mask:0xf bound_ctrl:1
	;;#ASMEND
	;;#ASMSTART
	v_max_f32 v7, v8, v8 row_half_mirror row_mask:0xf bank_mask:0xf bound_ctrl:1
	;;#ASMEND
	;;#ASMSTART
	v_max_f32 v8, v7, v7 row_mirror row_mask:0xf bank_mask:0xf bound_ctrl:1
	;;#ASMEND
	v_permlanex16_b32 v7, v8, s19, 0xfedcba98 op_sel:[1,1]
	s_delay_alu instid0(VALU_DEP_1) | instskip(NEXT) | instid1(VALU_DEP_1)
	v_dual_max_f32 v8, v8, v8 :: v_dual_max_f32 v7, v7, v7
	v_max_f32_e32 v7, v8, v7
	s_delay_alu instid0(VALU_DEP_1)
	v_cmp_eq_f32_e32 vcc_lo, v6, v7
	s_ctz_i32_b32 s3, vcc_lo
	s_cmp_lg_u32 vcc_lo, 0
	s_cselect_b32 s3, s3, 0
	s_and_b32 vcc_lo, exec_lo, s12
	v_readlane_b32 s16, v5, s3
	s_cbranch_vccz .LBB146_18
; %bb.24:                               ;   in Loop: Header=BB146_19 Depth=1
	s_delay_alu instid0(VALU_DEP_1) | instskip(NEXT) | instid1(SALU_CYCLE_1)
	s_ashr_i32 s17, s16, 31
	s_lshl_b64 s[20:21], s[16:17], 1
	s_delay_alu instid0(SALU_CYCLE_1) | instskip(SKIP_4) | instid1(VALU_DEP_1)
	s_add_u32 s20, s6, s20
	s_addc_u32 s21, s7, s21
	global_load_u16 v5, v3, s[20:21]
	s_waitcnt vmcnt(0)
	v_cvt_f32_f16_e32 v5, v5
	v_sub_f32_e32 v7, v7, v5
	s_branch .LBB146_18
.LBB146_25:
	v_dual_mov_b32 v2, 0 :: v_dual_mov_b32 v1, 0
.LBB146_26:
	s_mov_b32 s2, exec_lo
	v_cmpx_gt_i32_e64 s13, v0
	s_cbranch_execz .LBB146_29
; %bb.27:
	s_clause 0x2
	s_load_b32 s4, s[0:1], 0x34
	s_load_b64 s[2:3], s[0:1], 0x20
	s_load_b32 s0, s[0:1], 0x44
	s_ashr_i32 s1, s15, 31
	s_waitcnt lgkmcnt(0)
	v_mul_f32_e32 v2, s4, v2
	s_mul_i32 s3, s15, s3
	s_mul_hi_u32 s4, s15, s2
	s_mul_i32 s5, s1, s2
	s_add_i32 s3, s4, s3
	s_mul_i32 s1, s15, s2
	s_and_b32 s2, s0, 0xffff
	s_add_i32 s3, s3, s5
	s_mov_b32 s4, 0
	.p2align	6
.LBB146_28:                             ; =>This Inner Loop Header: Depth=1
	v_ashrrev_i32_e32 v4, 31, v0
	v_add_co_u32 v3, vcc_lo, s1, v0
	v_add_nc_u32_e32 v0, s2, v0
	s_delay_alu instid0(VALU_DEP_3) | instskip(NEXT) | instid1(VALU_DEP_2)
	v_add_co_ci_u32_e32 v4, vcc_lo, s3, v4, vcc_lo
	v_cmp_le_i32_e32 vcc_lo, s13, v0
	s_delay_alu instid0(VALU_DEP_2) | instskip(SKIP_1) | instid1(VALU_DEP_1)
	v_lshlrev_b64 v[3:4], 2, v[3:4]
	s_or_b32 s4, vcc_lo, s4
	v_add_co_u32 v5, s0, s8, v3
	s_delay_alu instid0(VALU_DEP_1) | instskip(SKIP_1) | instid1(VALU_DEP_1)
	v_add_co_ci_u32_e64 v6, s0, s9, v4, s0
	v_add_co_u32 v3, s0, s10, v3
	v_add_co_ci_u32_e64 v4, s0, s11, v4, s0
	global_store_b32 v[5:6], v2, off
	global_store_b32 v[3:4], v1, off
	s_and_not1_b32 exec_lo, exec_lo, s4
	s_cbranch_execnz .LBB146_28
.LBB146_29:
	s_nop 0
	s_sendmsg sendmsg(MSG_DEALLOC_VGPRS)
	s_endpgm
	.section	.rodata,"a",@progbits
	.p2align	6, 0x0
	.amdhsa_kernel _ZN5aiter20topk_softplus_kernelI6__halfS1_Dv4_fLb0ELi1EEEvPKT_PKT0_PfPimiiif
		.amdhsa_group_segment_fixed_size 0
		.amdhsa_private_segment_fixed_size 0
		.amdhsa_kernarg_size 312
		.amdhsa_user_sgpr_count 15
		.amdhsa_user_sgpr_dispatch_ptr 0
		.amdhsa_user_sgpr_queue_ptr 0
		.amdhsa_user_sgpr_kernarg_segment_ptr 1
		.amdhsa_user_sgpr_dispatch_id 0
		.amdhsa_user_sgpr_private_segment_size 0
		.amdhsa_wavefront_size32 1
		.amdhsa_uses_dynamic_stack 0
		.amdhsa_enable_private_segment 0
		.amdhsa_system_sgpr_workgroup_id_x 1
		.amdhsa_system_sgpr_workgroup_id_y 0
		.amdhsa_system_sgpr_workgroup_id_z 0
		.amdhsa_system_sgpr_workgroup_info 0
		.amdhsa_system_vgpr_workitem_id 0
		.amdhsa_next_free_vgpr 17
		.amdhsa_next_free_sgpr 32
		.amdhsa_reserve_vcc 1
		.amdhsa_float_round_mode_32 0
		.amdhsa_float_round_mode_16_64 0
		.amdhsa_float_denorm_mode_32 3
		.amdhsa_float_denorm_mode_16_64 3
		.amdhsa_dx10_clamp 1
		.amdhsa_ieee_mode 1
		.amdhsa_fp16_overflow 0
		.amdhsa_workgroup_processor_mode 1
		.amdhsa_memory_ordered 1
		.amdhsa_forward_progress 0
		.amdhsa_shared_vgpr_count 0
		.amdhsa_exception_fp_ieee_invalid_op 0
		.amdhsa_exception_fp_denorm_src 0
		.amdhsa_exception_fp_ieee_div_zero 0
		.amdhsa_exception_fp_ieee_overflow 0
		.amdhsa_exception_fp_ieee_underflow 0
		.amdhsa_exception_fp_ieee_inexact 0
		.amdhsa_exception_int_div_zero 0
	.end_amdhsa_kernel
	.section	.text._ZN5aiter20topk_softplus_kernelI6__halfS1_Dv4_fLb0ELi1EEEvPKT_PKT0_PfPimiiif,"axG",@progbits,_ZN5aiter20topk_softplus_kernelI6__halfS1_Dv4_fLb0ELi1EEEvPKT_PKT0_PfPimiiif,comdat
.Lfunc_end146:
	.size	_ZN5aiter20topk_softplus_kernelI6__halfS1_Dv4_fLb0ELi1EEEvPKT_PKT0_PfPimiiif, .Lfunc_end146-_ZN5aiter20topk_softplus_kernelI6__halfS1_Dv4_fLb0ELi1EEEvPKT_PKT0_PfPimiiif
                                        ; -- End function
	.section	.AMDGPU.csdata,"",@progbits
; Kernel info:
; codeLenInByte = 1912
; NumSgprs: 34
; NumVgprs: 17
; ScratchSize: 0
; MemoryBound: 0
; FloatMode: 240
; IeeeMode: 1
; LDSByteSize: 0 bytes/workgroup (compile time only)
; SGPRBlocks: 4
; VGPRBlocks: 2
; NumSGPRsForWavesPerEU: 34
; NumVGPRsForWavesPerEU: 17
; Occupancy: 16
; WaveLimiterHint : 0
; COMPUTE_PGM_RSRC2:SCRATCH_EN: 0
; COMPUTE_PGM_RSRC2:USER_SGPR: 15
; COMPUTE_PGM_RSRC2:TRAP_HANDLER: 0
; COMPUTE_PGM_RSRC2:TGID_X_EN: 1
; COMPUTE_PGM_RSRC2:TGID_Y_EN: 0
; COMPUTE_PGM_RSRC2:TGID_Z_EN: 0
; COMPUTE_PGM_RSRC2:TIDIG_COMP_CNT: 0
	.section	.text._ZN5aiter20topk_softplus_kernelI6__halfS1_Dv2_fLb1ELi1EEEvPKT_PKT0_PfPimiiif,"axG",@progbits,_ZN5aiter20topk_softplus_kernelI6__halfS1_Dv2_fLb1ELi1EEEvPKT_PKT0_PfPimiiif,comdat
	.protected	_ZN5aiter20topk_softplus_kernelI6__halfS1_Dv2_fLb1ELi1EEEvPKT_PKT0_PfPimiiif ; -- Begin function _ZN5aiter20topk_softplus_kernelI6__halfS1_Dv2_fLb1ELi1EEEvPKT_PKT0_PfPimiiif
	.globl	_ZN5aiter20topk_softplus_kernelI6__halfS1_Dv2_fLb1ELi1EEEvPKT_PKT0_PfPimiiif
	.p2align	8
	.type	_ZN5aiter20topk_softplus_kernelI6__halfS1_Dv2_fLb1ELi1EEEvPKT_PKT0_PfPimiiif,@function
_ZN5aiter20topk_softplus_kernelI6__halfS1_Dv2_fLb1ELi1EEEvPKT_PKT0_PfPimiiif: ; @_ZN5aiter20topk_softplus_kernelI6__halfS1_Dv2_fLb1ELi1EEEvPKT_PKT0_PfPimiiif
; %bb.0:
	s_clause 0x1
	s_load_b64 s[12:13], s[0:1], 0x28
	s_load_b256 s[4:11], s[0:1], 0x0
	v_lshl_add_u32 v4, v0, 3, 0
	s_waitcnt lgkmcnt(0)
	s_lshr_b32 s3, s12, 31
	s_mul_i32 s2, s15, s12
	s_add_i32 s14, s12, s3
	s_ashr_i32 s3, s2, 31
	s_ashr_i32 s14, s14, 1
	s_lshl_b64 s[16:17], s[2:3], 1
	v_cmp_gt_i32_e64 s2, s14, v0
	s_add_u32 s4, s4, s16
	s_addc_u32 s5, s5, s17
	s_delay_alu instid0(VALU_DEP_1)
	s_and_saveexec_b32 s16, s2
	s_cbranch_execz .LBB147_7
; %bb.1:
	s_load_b32 s3, s[0:1], 0x44
	s_cmp_lg_u64 s[6:7], 0
	v_lshlrev_b32_e32 v3, 2, v0
	v_mov_b32_e32 v5, 0
	v_lshl_add_u32 v6, v0, 3, 0
	v_mov_b32_e32 v7, v0
	s_cselect_b32 s18, -1, 0
	s_mov_b32 s17, 0
	s_mov_b32 s22, 0xbfb8aa3b
	s_waitcnt lgkmcnt(0)
	s_and_b32 s19, s3, 0xffff
	s_delay_alu instid0(SALU_CYCLE_1)
	s_lshl_b32 s20, s19, 2
	s_lshl_b32 s21, s19, 3
	s_branch .LBB147_3
.LBB147_2:                              ;   in Loop: Header=BB147_3 Depth=1
	v_add_nc_u32_e32 v7, s19, v7
	v_add_co_u32 v3, s3, v3, s20
	ds_store_b64 v6, v[1:2]
	v_add_co_ci_u32_e64 v5, s3, 0, v5, s3
	v_cmp_le_i32_e32 vcc_lo, s14, v7
	v_add_nc_u32_e32 v6, s21, v6
	s_or_b32 s17, vcc_lo, s17
	s_delay_alu instid0(SALU_CYCLE_1)
	s_and_not1_b32 exec_lo, exec_lo, s17
	s_cbranch_execz .LBB147_7
.LBB147_3:                              ; =>This Inner Loop Header: Depth=1
	v_add_co_u32 v1, vcc_lo, s4, v3
	v_add_co_ci_u32_e32 v2, vcc_lo, s5, v5, vcc_lo
	global_load_b32 v2, v[1:2], off
	s_waitcnt vmcnt(0)
	v_cvt_f32_f16_e32 v1, v2
	s_delay_alu instid0(VALU_DEP_1) | instskip(NEXT) | instid1(VALU_DEP_1)
	v_mul_f32_e32 v1, 0xbfb8aa3b, v1
	v_cmp_gt_f32_e32 vcc_lo, 0xc2fc0000, v1
	v_cndmask_b32_e64 v1, 0, 0x42800000, vcc_lo
	v_cndmask_b32_e64 v8, 1.0, 0x1f800000, vcc_lo
	s_and_not1_b32 vcc_lo, exec_lo, s18
	s_delay_alu instid0(VALU_DEP_2) | instskip(NEXT) | instid1(VALU_DEP_1)
	v_fma_mix_f32 v1, v2, s22, v1 op_sel_hi:[1,0,0]
	v_exp_f32_e32 v1, v1
	s_waitcnt_depctr 0xfff
	v_fma_f32 v1, v1, v8, 1.0
	s_delay_alu instid0(VALU_DEP_1)
	v_rcp_f32_e32 v1, v1
	s_cbranch_vccnz .LBB147_5
; %bb.4:                                ;   in Loop: Header=BB147_3 Depth=1
	v_add_co_u32 v8, vcc_lo, s6, v3
	v_add_co_ci_u32_e32 v9, vcc_lo, s7, v5, vcc_lo
	global_load_u16 v8, v[8:9], off
	s_waitcnt vmcnt(0)
	v_cvt_f32_f16_e32 v8, v8
	s_delay_alu instid0(VALU_DEP_1)
	v_add_f32_e32 v1, v1, v8
.LBB147_5:                              ;   in Loop: Header=BB147_3 Depth=1
	v_lshrrev_b32_e32 v8, 16, v2
	s_delay_alu instid0(VALU_DEP_1) | instskip(NEXT) | instid1(VALU_DEP_1)
	v_cvt_f32_f16_e32 v8, v8
	v_mul_f32_e32 v8, 0xbfb8aa3b, v8
	s_delay_alu instid0(VALU_DEP_1) | instskip(SKIP_3) | instid1(VALU_DEP_2)
	v_cmp_gt_f32_e32 vcc_lo, 0xc2fc0000, v8
	v_cndmask_b32_e64 v9, 0, 0x42800000, vcc_lo
	v_cndmask_b32_e64 v8, 1.0, 0x1f800000, vcc_lo
	s_and_not1_b32 vcc_lo, exec_lo, s18
	v_fma_mix_f32 v2, v2, s22, v9 op_sel:[1,0,0] op_sel_hi:[1,0,0]
	s_delay_alu instid0(VALU_DEP_1) | instskip(SKIP_2) | instid1(VALU_DEP_1)
	v_exp_f32_e32 v2, v2
	s_waitcnt_depctr 0xfff
	v_fma_f32 v2, v2, v8, 1.0
	v_rcp_f32_e32 v2, v2
	s_cbranch_vccnz .LBB147_2
; %bb.6:                                ;   in Loop: Header=BB147_3 Depth=1
	v_add_co_u32 v8, vcc_lo, s6, v3
	v_add_co_ci_u32_e32 v9, vcc_lo, s7, v5, vcc_lo
	global_load_u16 v8, v[8:9], off offset:2
	s_waitcnt vmcnt(0)
	v_cvt_f32_f16_e32 v8, v8
	s_delay_alu instid0(VALU_DEP_1)
	v_add_f32_e32 v2, v2, v8
	s_branch .LBB147_2
.LBB147_7:
	s_or_b32 exec_lo, exec_lo, s16
	v_lshl_add_u32 v1, s14, 1, v0
	s_mov_b32 s3, exec_lo
	s_delay_alu instid0(VALU_DEP_1)
	v_cmpx_gt_i32_e64 s12, v1
	s_cbranch_execz .LBB147_12
; %bb.8:
	s_load_b32 s17, s[0:1], 0x44
	v_lshlrev_b32_e32 v2, 2, v0
	s_cmp_lg_u64 s[6:7], 0
	s_mov_b32 s20, 0xbfb8aa3b
	s_cselect_b32 s16, -1, 0
	s_lshl_b32 s18, s14, 3
	s_delay_alu instid0(SALU_CYCLE_1) | instskip(SKIP_3) | instid1(SALU_CYCLE_1)
	v_add3_u32 v5, 0, s18, v2
	s_mov_b32 s18, 0
	s_waitcnt lgkmcnt(0)
	s_and_b32 s17, s17, 0xffff
	s_lshl_b32 s19, s17, 2
	s_set_inst_prefetch_distance 0x1
	s_branch .LBB147_10
	.p2align	6
.LBB147_9:                              ;   in Loop: Header=BB147_10 Depth=1
	v_add_nc_u32_e32 v1, s17, v1
	v_add_nc_u32_e32 v5, s19, v5
	s_delay_alu instid0(VALU_DEP_2) | instskip(SKIP_1) | instid1(SALU_CYCLE_1)
	v_cmp_le_i32_e32 vcc_lo, s12, v1
	s_or_b32 s18, vcc_lo, s18
	s_and_not1_b32 exec_lo, exec_lo, s18
	s_cbranch_execz .LBB147_12
.LBB147_10:                             ; =>This Inner Loop Header: Depth=1
	v_ashrrev_i32_e32 v2, 31, v1
	s_delay_alu instid0(VALU_DEP_1) | instskip(NEXT) | instid1(VALU_DEP_1)
	v_lshlrev_b64 v[2:3], 1, v[1:2]
	v_add_co_u32 v6, vcc_lo, s4, v2
	s_delay_alu instid0(VALU_DEP_2) | instskip(SKIP_3) | instid1(VALU_DEP_1)
	v_add_co_ci_u32_e32 v7, vcc_lo, s5, v3, vcc_lo
	global_load_u16 v6, v[6:7], off
	s_waitcnt vmcnt(0)
	v_cvt_f32_f16_e32 v7, v6
	v_mul_f32_e32 v7, 0xbfb8aa3b, v7
	s_delay_alu instid0(VALU_DEP_1) | instskip(SKIP_1) | instid1(VALU_DEP_1)
	v_cmp_gt_f32_e32 vcc_lo, 0xc2fc0000, v7
	v_cndmask_b32_e64 v7, 0, 0x42800000, vcc_lo
	v_fma_mix_f32 v6, v6, s20, v7 op_sel_hi:[1,0,0]
	v_cndmask_b32_e64 v7, 1.0, 0x1f800000, vcc_lo
	s_and_not1_b32 vcc_lo, exec_lo, s16
	s_delay_alu instid0(VALU_DEP_2) | instskip(SKIP_2) | instid1(VALU_DEP_1)
	v_exp_f32_e32 v6, v6
	s_waitcnt_depctr 0xfff
	v_fma_f32 v6, v6, v7, 1.0
	v_rcp_f32_e32 v6, v6
	ds_store_b32 v5, v6
	s_cbranch_vccnz .LBB147_9
; %bb.11:                               ;   in Loop: Header=BB147_10 Depth=1
	v_add_co_u32 v2, vcc_lo, s6, v2
	v_add_co_ci_u32_e32 v3, vcc_lo, s7, v3, vcc_lo
	global_load_u16 v2, v[2:3], off
	s_waitcnt vmcnt(0)
	v_cvt_f32_f16_e32 v2, v2
	s_delay_alu instid0(VALU_DEP_1)
	v_add_f32_e32 v2, v6, v2
	ds_store_b32 v5, v2
	s_branch .LBB147_9
.LBB147_12:
	s_set_inst_prefetch_distance 0x2
	s_or_b32 exec_lo, exec_lo, s3
	v_mov_b32_e32 v2, 0
	s_cmp_lt_i32 s13, 1
	s_waitcnt lgkmcnt(0)
	s_barrier
	buffer_gl0_inv
	s_cbranch_scc1 .LBB147_21
; %bb.13:
	s_add_u32 s4, s0, 56
	s_addc_u32 s5, s1, 0
	v_dual_mov_b32 v2, 0 :: v_dual_lshlrev_b32 v5, 1, v0
	v_dual_mov_b32 v6, 0 :: v_dual_mov_b32 v7, 0xff800000
	v_mov_b32_e32 v1, 0
	v_mov_b32_e32 v3, 0
	s_cmp_lg_u64 s[6:7], 0
	s_mov_b32 s18, 0
	s_cselect_b32 s12, -1, 0
	s_mov_b32 s19, 0x76543210
	s_branch .LBB147_15
.LBB147_14:                             ;   in Loop: Header=BB147_15 Depth=1
	v_cmp_eq_u32_e32 vcc_lo, s18, v0
	s_delay_alu instid0(VALU_DEP_2)
	s_lshl_b32 s3, s16, 2
	s_add_i32 s18, s18, 1
	s_add_i32 s3, s3, 0
	v_add_f32_e32 v3, v3, v10
	v_cndmask_b32_e64 v1, v1, s16, vcc_lo
	v_mov_b32_e32 v8, s3
	v_cndmask_b32_e32 v2, v2, v10, vcc_lo
	s_cmp_eq_u32 s18, s13
	ds_store_b32 v8, v7
	s_cbranch_scc1 .LBB147_22
.LBB147_15:                             ; =>This Loop Header: Depth=1
                                        ;     Child Loop BB147_17 Depth 2
	v_dual_mov_b32 v8, s18 :: v_dual_mov_b32 v9, 0xff800000
	s_and_saveexec_b32 s16, s2
	s_cbranch_execz .LBB147_19
; %bb.16:                               ;   in Loop: Header=BB147_15 Depth=1
	s_load_b32 s3, s[4:5], 0xc
	v_dual_mov_b32 v8, s18 :: v_dual_mov_b32 v9, 0xff800000
	v_dual_mov_b32 v10, v4 :: v_dual_mov_b32 v11, v5
	v_mov_b32_e32 v12, v0
	s_mov_b32 s21, 0
	s_waitcnt lgkmcnt(0)
	s_and_b32 s17, s3, 0xffff
	s_delay_alu instid0(SALU_CYCLE_1)
	s_lshl_b32 s20, s17, 1
	s_lshl_b32 s22, s17, 3
	.p2align	6
.LBB147_17:                             ;   Parent Loop BB147_15 Depth=1
                                        ; =>  This Inner Loop Header: Depth=2
	ds_load_b64 v[13:14], v10
	v_add_nc_u32_e32 v10, s22, v10
	v_add_nc_u32_e32 v12, s17, v12
	s_delay_alu instid0(VALU_DEP_1) | instskip(NEXT) | instid1(VALU_DEP_1)
	v_cmp_le_i32_e64 s3, s14, v12
	s_or_b32 s21, s3, s21
	s_waitcnt lgkmcnt(0)
	v_cmp_gt_f32_e32 vcc_lo, v13, v9
	v_cndmask_b32_e32 v9, v9, v13, vcc_lo
	v_add_nc_u32_e32 v13, 1, v11
	v_cndmask_b32_e32 v8, v8, v11, vcc_lo
	s_delay_alu instid0(VALU_DEP_3) | instskip(SKIP_1) | instid1(VALU_DEP_3)
	v_cmp_gt_f32_e32 vcc_lo, v14, v9
	v_cndmask_b32_e32 v9, v9, v14, vcc_lo
	v_dual_cndmask_b32 v8, v8, v13 :: v_dual_add_nc_u32 v11, s20, v11
	s_and_not1_b32 exec_lo, exec_lo, s21
	s_cbranch_execnz .LBB147_17
; %bb.18:                               ;   in Loop: Header=BB147_15 Depth=1
	s_or_b32 exec_lo, exec_lo, s21
.LBB147_19:                             ;   in Loop: Header=BB147_15 Depth=1
	s_delay_alu instid0(SALU_CYCLE_1)
	s_or_b32 exec_lo, exec_lo, s16
	;;#ASMSTART
	v_max_f32 v10, v9, v9 quad_perm:[1,0,3,2] row_mask:0xf bank_mask:0xf bound_ctrl:1
	;;#ASMEND
	;;#ASMSTART
	v_max_f32 v11, v10, v10 quad_perm:[2,3,0,1] row_mask:0xf bank_mask:0xf bound_ctrl:1
	;;#ASMEND
	;;#ASMSTART
	v_max_f32 v10, v11, v11 row_half_mirror row_mask:0xf bank_mask:0xf bound_ctrl:1
	;;#ASMEND
	;;#ASMSTART
	v_max_f32 v11, v10, v10 row_mirror row_mask:0xf bank_mask:0xf bound_ctrl:1
	;;#ASMEND
	v_permlanex16_b32 v10, v11, s19, 0xfedcba98 op_sel:[1,1]
	s_delay_alu instid0(VALU_DEP_1) | instskip(NEXT) | instid1(VALU_DEP_1)
	v_dual_max_f32 v11, v11, v11 :: v_dual_max_f32 v10, v10, v10
	v_max_f32_e32 v10, v11, v10
	s_delay_alu instid0(VALU_DEP_1)
	v_cmp_eq_f32_e32 vcc_lo, v9, v10
	s_ctz_i32_b32 s3, vcc_lo
	s_cmp_lg_u32 vcc_lo, 0
	s_cselect_b32 s3, s3, 0
	s_and_b32 vcc_lo, exec_lo, s12
	v_readlane_b32 s16, v8, s3
	s_cbranch_vccz .LBB147_14
; %bb.20:                               ;   in Loop: Header=BB147_15 Depth=1
	s_delay_alu instid0(VALU_DEP_1) | instskip(NEXT) | instid1(SALU_CYCLE_1)
	s_ashr_i32 s17, s16, 31
	s_lshl_b64 s[20:21], s[16:17], 1
	s_delay_alu instid0(SALU_CYCLE_1) | instskip(SKIP_4) | instid1(VALU_DEP_1)
	s_add_u32 s20, s6, s20
	s_addc_u32 s21, s7, s21
	global_load_u16 v8, v6, s[20:21]
	s_waitcnt vmcnt(0)
	v_cvt_f32_f16_e32 v8, v8
	v_sub_f32_e32 v10, v10, v8
	s_branch .LBB147_14
.LBB147_21:
	v_mov_b32_e32 v1, 0
	v_mov_b32_e32 v3, 0
.LBB147_22:
	s_mov_b32 s2, exec_lo
	v_cmpx_gt_i32_e64 s13, v0
	s_cbranch_execz .LBB147_25
; %bb.23:
	s_clause 0x1
	s_load_b32 s2, s[0:1], 0x34
	s_load_b32 s3, s[0:1], 0x44
	v_max_f32_e32 v3, v3, v3
	s_load_b64 s[0:1], s[0:1], 0x20
	s_ashr_i32 s4, s15, 31
	s_delay_alu instid0(VALU_DEP_1) | instskip(SKIP_1) | instid1(VALU_DEP_1)
	v_max_f32_e32 v3, 0x1e3ce508, v3
	s_waitcnt lgkmcnt(0)
	v_div_scale_f32 v4, null, v3, v3, s2
	v_div_scale_f32 v7, vcc_lo, s2, v3, s2
	s_mul_i32 s1, s15, s1
	s_delay_alu instid0(VALU_DEP_2) | instskip(SKIP_4) | instid1(VALU_DEP_1)
	v_rcp_f32_e32 v5, v4
	s_mul_i32 s4, s4, s0
	s_and_b32 s3, s3, 0xffff
	s_waitcnt_depctr 0xfff
	v_fma_f32 v6, -v4, v5, 1.0
	v_fmac_f32_e32 v5, v6, v5
	s_delay_alu instid0(VALU_DEP_1) | instskip(NEXT) | instid1(VALU_DEP_1)
	v_mul_f32_e32 v6, v7, v5
	v_fma_f32 v8, -v4, v6, v7
	s_delay_alu instid0(VALU_DEP_1) | instskip(NEXT) | instid1(VALU_DEP_1)
	v_fmac_f32_e32 v6, v8, v5
	v_fma_f32 v4, -v4, v6, v7
	s_delay_alu instid0(VALU_DEP_1) | instskip(NEXT) | instid1(VALU_DEP_1)
	v_div_fmas_f32 v4, v4, v5, v6
	v_div_fixup_f32 v3, v4, v3, s2
	s_mul_hi_u32 s2, s15, s0
	s_delay_alu instid0(SALU_CYCLE_1) | instskip(SKIP_1) | instid1(VALU_DEP_1)
	s_add_i32 s1, s2, s1
	s_mul_i32 s2, s15, s0
	v_mul_f32_e32 v2, v2, v3
	s_add_i32 s1, s1, s4
	s_mov_b32 s4, 0
	.p2align	6
.LBB147_24:                             ; =>This Inner Loop Header: Depth=1
	v_ashrrev_i32_e32 v4, 31, v0
	v_add_co_u32 v3, vcc_lo, s2, v0
	v_add_nc_u32_e32 v0, s3, v0
	s_delay_alu instid0(VALU_DEP_3) | instskip(NEXT) | instid1(VALU_DEP_2)
	v_add_co_ci_u32_e32 v4, vcc_lo, s1, v4, vcc_lo
	v_cmp_le_i32_e32 vcc_lo, s13, v0
	s_delay_alu instid0(VALU_DEP_2) | instskip(SKIP_1) | instid1(VALU_DEP_1)
	v_lshlrev_b64 v[3:4], 2, v[3:4]
	s_or_b32 s4, vcc_lo, s4
	v_add_co_u32 v5, s0, s8, v3
	s_delay_alu instid0(VALU_DEP_1) | instskip(SKIP_1) | instid1(VALU_DEP_1)
	v_add_co_ci_u32_e64 v6, s0, s9, v4, s0
	v_add_co_u32 v3, s0, s10, v3
	v_add_co_ci_u32_e64 v4, s0, s11, v4, s0
	global_store_b32 v[5:6], v2, off
	global_store_b32 v[3:4], v1, off
	s_and_not1_b32 exec_lo, exec_lo, s4
	s_cbranch_execnz .LBB147_24
.LBB147_25:
	s_nop 0
	s_sendmsg sendmsg(MSG_DEALLOC_VGPRS)
	s_endpgm
	.section	.rodata,"a",@progbits
	.p2align	6, 0x0
	.amdhsa_kernel _ZN5aiter20topk_softplus_kernelI6__halfS1_Dv2_fLb1ELi1EEEvPKT_PKT0_PfPimiiif
		.amdhsa_group_segment_fixed_size 0
		.amdhsa_private_segment_fixed_size 0
		.amdhsa_kernarg_size 312
		.amdhsa_user_sgpr_count 15
		.amdhsa_user_sgpr_dispatch_ptr 0
		.amdhsa_user_sgpr_queue_ptr 0
		.amdhsa_user_sgpr_kernarg_segment_ptr 1
		.amdhsa_user_sgpr_dispatch_id 0
		.amdhsa_user_sgpr_private_segment_size 0
		.amdhsa_wavefront_size32 1
		.amdhsa_uses_dynamic_stack 0
		.amdhsa_enable_private_segment 0
		.amdhsa_system_sgpr_workgroup_id_x 1
		.amdhsa_system_sgpr_workgroup_id_y 0
		.amdhsa_system_sgpr_workgroup_id_z 0
		.amdhsa_system_sgpr_workgroup_info 0
		.amdhsa_system_vgpr_workitem_id 0
		.amdhsa_next_free_vgpr 15
		.amdhsa_next_free_sgpr 23
		.amdhsa_reserve_vcc 1
		.amdhsa_float_round_mode_32 0
		.amdhsa_float_round_mode_16_64 0
		.amdhsa_float_denorm_mode_32 3
		.amdhsa_float_denorm_mode_16_64 3
		.amdhsa_dx10_clamp 1
		.amdhsa_ieee_mode 1
		.amdhsa_fp16_overflow 0
		.amdhsa_workgroup_processor_mode 1
		.amdhsa_memory_ordered 1
		.amdhsa_forward_progress 0
		.amdhsa_shared_vgpr_count 0
		.amdhsa_exception_fp_ieee_invalid_op 0
		.amdhsa_exception_fp_denorm_src 0
		.amdhsa_exception_fp_ieee_div_zero 0
		.amdhsa_exception_fp_ieee_overflow 0
		.amdhsa_exception_fp_ieee_underflow 0
		.amdhsa_exception_fp_ieee_inexact 0
		.amdhsa_exception_int_div_zero 0
	.end_amdhsa_kernel
	.section	.text._ZN5aiter20topk_softplus_kernelI6__halfS1_Dv2_fLb1ELi1EEEvPKT_PKT0_PfPimiiif,"axG",@progbits,_ZN5aiter20topk_softplus_kernelI6__halfS1_Dv2_fLb1ELi1EEEvPKT_PKT0_PfPimiiif,comdat
.Lfunc_end147:
	.size	_ZN5aiter20topk_softplus_kernelI6__halfS1_Dv2_fLb1ELi1EEEvPKT_PKT0_PfPimiiif, .Lfunc_end147-_ZN5aiter20topk_softplus_kernelI6__halfS1_Dv2_fLb1ELi1EEEvPKT_PKT0_PfPimiiif
                                        ; -- End function
	.section	.AMDGPU.csdata,"",@progbits
; Kernel info:
; codeLenInByte = 1664
; NumSgprs: 25
; NumVgprs: 15
; ScratchSize: 0
; MemoryBound: 0
; FloatMode: 240
; IeeeMode: 1
; LDSByteSize: 0 bytes/workgroup (compile time only)
; SGPRBlocks: 3
; VGPRBlocks: 1
; NumSGPRsForWavesPerEU: 25
; NumVGPRsForWavesPerEU: 15
; Occupancy: 16
; WaveLimiterHint : 0
; COMPUTE_PGM_RSRC2:SCRATCH_EN: 0
; COMPUTE_PGM_RSRC2:USER_SGPR: 15
; COMPUTE_PGM_RSRC2:TRAP_HANDLER: 0
; COMPUTE_PGM_RSRC2:TGID_X_EN: 1
; COMPUTE_PGM_RSRC2:TGID_Y_EN: 0
; COMPUTE_PGM_RSRC2:TGID_Z_EN: 0
; COMPUTE_PGM_RSRC2:TIDIG_COMP_CNT: 0
	.section	.text._ZN5aiter20topk_softplus_kernelI6__halfS1_Dv2_fLb0ELi1EEEvPKT_PKT0_PfPimiiif,"axG",@progbits,_ZN5aiter20topk_softplus_kernelI6__halfS1_Dv2_fLb0ELi1EEEvPKT_PKT0_PfPimiiif,comdat
	.protected	_ZN5aiter20topk_softplus_kernelI6__halfS1_Dv2_fLb0ELi1EEEvPKT_PKT0_PfPimiiif ; -- Begin function _ZN5aiter20topk_softplus_kernelI6__halfS1_Dv2_fLb0ELi1EEEvPKT_PKT0_PfPimiiif
	.globl	_ZN5aiter20topk_softplus_kernelI6__halfS1_Dv2_fLb0ELi1EEEvPKT_PKT0_PfPimiiif
	.p2align	8
	.type	_ZN5aiter20topk_softplus_kernelI6__halfS1_Dv2_fLb0ELi1EEEvPKT_PKT0_PfPimiiif,@function
_ZN5aiter20topk_softplus_kernelI6__halfS1_Dv2_fLb0ELi1EEEvPKT_PKT0_PfPimiiif: ; @_ZN5aiter20topk_softplus_kernelI6__halfS1_Dv2_fLb0ELi1EEEvPKT_PKT0_PfPimiiif
; %bb.0:
	s_clause 0x1
	s_load_b64 s[12:13], s[0:1], 0x28
	s_load_b256 s[4:11], s[0:1], 0x0
	v_lshl_add_u32 v4, v0, 3, 0
	s_waitcnt lgkmcnt(0)
	s_lshr_b32 s3, s12, 31
	s_mul_i32 s2, s15, s12
	s_add_i32 s14, s12, s3
	s_ashr_i32 s3, s2, 31
	s_ashr_i32 s14, s14, 1
	s_lshl_b64 s[16:17], s[2:3], 1
	v_cmp_gt_i32_e64 s2, s14, v0
	s_add_u32 s4, s4, s16
	s_addc_u32 s5, s5, s17
	s_delay_alu instid0(VALU_DEP_1)
	s_and_saveexec_b32 s16, s2
	s_cbranch_execz .LBB148_7
; %bb.1:
	s_load_b32 s3, s[0:1], 0x44
	s_cmp_lg_u64 s[6:7], 0
	v_lshlrev_b32_e32 v3, 2, v0
	v_mov_b32_e32 v5, 0
	v_lshl_add_u32 v6, v0, 3, 0
	v_mov_b32_e32 v7, v0
	s_cselect_b32 s18, -1, 0
	s_mov_b32 s17, 0
	s_mov_b32 s22, 0xbfb8aa3b
	s_waitcnt lgkmcnt(0)
	s_and_b32 s19, s3, 0xffff
	s_delay_alu instid0(SALU_CYCLE_1)
	s_lshl_b32 s20, s19, 2
	s_lshl_b32 s21, s19, 3
	s_branch .LBB148_3
.LBB148_2:                              ;   in Loop: Header=BB148_3 Depth=1
	v_add_nc_u32_e32 v7, s19, v7
	v_add_co_u32 v3, s3, v3, s20
	ds_store_b64 v6, v[1:2]
	v_add_co_ci_u32_e64 v5, s3, 0, v5, s3
	v_cmp_le_i32_e32 vcc_lo, s14, v7
	v_add_nc_u32_e32 v6, s21, v6
	s_or_b32 s17, vcc_lo, s17
	s_delay_alu instid0(SALU_CYCLE_1)
	s_and_not1_b32 exec_lo, exec_lo, s17
	s_cbranch_execz .LBB148_7
.LBB148_3:                              ; =>This Inner Loop Header: Depth=1
	v_add_co_u32 v1, vcc_lo, s4, v3
	v_add_co_ci_u32_e32 v2, vcc_lo, s5, v5, vcc_lo
	global_load_b32 v2, v[1:2], off
	s_waitcnt vmcnt(0)
	v_cvt_f32_f16_e32 v1, v2
	s_delay_alu instid0(VALU_DEP_1) | instskip(NEXT) | instid1(VALU_DEP_1)
	v_mul_f32_e32 v1, 0xbfb8aa3b, v1
	v_cmp_gt_f32_e32 vcc_lo, 0xc2fc0000, v1
	v_cndmask_b32_e64 v1, 0, 0x42800000, vcc_lo
	v_cndmask_b32_e64 v8, 1.0, 0x1f800000, vcc_lo
	s_and_not1_b32 vcc_lo, exec_lo, s18
	s_delay_alu instid0(VALU_DEP_2) | instskip(NEXT) | instid1(VALU_DEP_1)
	v_fma_mix_f32 v1, v2, s22, v1 op_sel_hi:[1,0,0]
	v_exp_f32_e32 v1, v1
	s_waitcnt_depctr 0xfff
	v_fma_f32 v1, v1, v8, 1.0
	s_delay_alu instid0(VALU_DEP_1)
	v_rcp_f32_e32 v1, v1
	s_cbranch_vccnz .LBB148_5
; %bb.4:                                ;   in Loop: Header=BB148_3 Depth=1
	v_add_co_u32 v8, vcc_lo, s6, v3
	v_add_co_ci_u32_e32 v9, vcc_lo, s7, v5, vcc_lo
	global_load_u16 v8, v[8:9], off
	s_waitcnt vmcnt(0)
	v_cvt_f32_f16_e32 v8, v8
	s_delay_alu instid0(VALU_DEP_1)
	v_add_f32_e32 v1, v1, v8
.LBB148_5:                              ;   in Loop: Header=BB148_3 Depth=1
	v_lshrrev_b32_e32 v8, 16, v2
	s_delay_alu instid0(VALU_DEP_1) | instskip(NEXT) | instid1(VALU_DEP_1)
	v_cvt_f32_f16_e32 v8, v8
	v_mul_f32_e32 v8, 0xbfb8aa3b, v8
	s_delay_alu instid0(VALU_DEP_1) | instskip(SKIP_3) | instid1(VALU_DEP_2)
	v_cmp_gt_f32_e32 vcc_lo, 0xc2fc0000, v8
	v_cndmask_b32_e64 v9, 0, 0x42800000, vcc_lo
	v_cndmask_b32_e64 v8, 1.0, 0x1f800000, vcc_lo
	s_and_not1_b32 vcc_lo, exec_lo, s18
	v_fma_mix_f32 v2, v2, s22, v9 op_sel:[1,0,0] op_sel_hi:[1,0,0]
	s_delay_alu instid0(VALU_DEP_1) | instskip(SKIP_2) | instid1(VALU_DEP_1)
	v_exp_f32_e32 v2, v2
	s_waitcnt_depctr 0xfff
	v_fma_f32 v2, v2, v8, 1.0
	v_rcp_f32_e32 v2, v2
	s_cbranch_vccnz .LBB148_2
; %bb.6:                                ;   in Loop: Header=BB148_3 Depth=1
	v_add_co_u32 v8, vcc_lo, s6, v3
	v_add_co_ci_u32_e32 v9, vcc_lo, s7, v5, vcc_lo
	global_load_u16 v8, v[8:9], off offset:2
	s_waitcnt vmcnt(0)
	v_cvt_f32_f16_e32 v8, v8
	s_delay_alu instid0(VALU_DEP_1)
	v_add_f32_e32 v2, v2, v8
	s_branch .LBB148_2
.LBB148_7:
	s_or_b32 exec_lo, exec_lo, s16
	v_lshl_add_u32 v1, s14, 1, v0
	s_mov_b32 s3, exec_lo
	s_delay_alu instid0(VALU_DEP_1)
	v_cmpx_gt_i32_e64 s12, v1
	s_cbranch_execz .LBB148_12
; %bb.8:
	s_load_b32 s17, s[0:1], 0x44
	v_lshlrev_b32_e32 v2, 2, v0
	s_cmp_lg_u64 s[6:7], 0
	s_mov_b32 s20, 0xbfb8aa3b
	s_cselect_b32 s16, -1, 0
	s_lshl_b32 s18, s14, 3
	s_delay_alu instid0(SALU_CYCLE_1) | instskip(SKIP_3) | instid1(SALU_CYCLE_1)
	v_add3_u32 v5, 0, s18, v2
	s_mov_b32 s18, 0
	s_waitcnt lgkmcnt(0)
	s_and_b32 s17, s17, 0xffff
	s_lshl_b32 s19, s17, 2
	s_set_inst_prefetch_distance 0x1
	s_branch .LBB148_10
	.p2align	6
.LBB148_9:                              ;   in Loop: Header=BB148_10 Depth=1
	v_add_nc_u32_e32 v1, s17, v1
	v_add_nc_u32_e32 v5, s19, v5
	s_delay_alu instid0(VALU_DEP_2) | instskip(SKIP_1) | instid1(SALU_CYCLE_1)
	v_cmp_le_i32_e32 vcc_lo, s12, v1
	s_or_b32 s18, vcc_lo, s18
	s_and_not1_b32 exec_lo, exec_lo, s18
	s_cbranch_execz .LBB148_12
.LBB148_10:                             ; =>This Inner Loop Header: Depth=1
	v_ashrrev_i32_e32 v2, 31, v1
	s_delay_alu instid0(VALU_DEP_1) | instskip(NEXT) | instid1(VALU_DEP_1)
	v_lshlrev_b64 v[2:3], 1, v[1:2]
	v_add_co_u32 v6, vcc_lo, s4, v2
	s_delay_alu instid0(VALU_DEP_2) | instskip(SKIP_3) | instid1(VALU_DEP_1)
	v_add_co_ci_u32_e32 v7, vcc_lo, s5, v3, vcc_lo
	global_load_u16 v6, v[6:7], off
	s_waitcnt vmcnt(0)
	v_cvt_f32_f16_e32 v7, v6
	v_mul_f32_e32 v7, 0xbfb8aa3b, v7
	s_delay_alu instid0(VALU_DEP_1) | instskip(SKIP_1) | instid1(VALU_DEP_1)
	v_cmp_gt_f32_e32 vcc_lo, 0xc2fc0000, v7
	v_cndmask_b32_e64 v7, 0, 0x42800000, vcc_lo
	v_fma_mix_f32 v6, v6, s20, v7 op_sel_hi:[1,0,0]
	v_cndmask_b32_e64 v7, 1.0, 0x1f800000, vcc_lo
	s_and_not1_b32 vcc_lo, exec_lo, s16
	s_delay_alu instid0(VALU_DEP_2) | instskip(SKIP_2) | instid1(VALU_DEP_1)
	v_exp_f32_e32 v6, v6
	s_waitcnt_depctr 0xfff
	v_fma_f32 v6, v6, v7, 1.0
	v_rcp_f32_e32 v6, v6
	ds_store_b32 v5, v6
	s_cbranch_vccnz .LBB148_9
; %bb.11:                               ;   in Loop: Header=BB148_10 Depth=1
	v_add_co_u32 v2, vcc_lo, s6, v2
	v_add_co_ci_u32_e32 v3, vcc_lo, s7, v3, vcc_lo
	global_load_u16 v2, v[2:3], off
	s_waitcnt vmcnt(0)
	v_cvt_f32_f16_e32 v2, v2
	s_delay_alu instid0(VALU_DEP_1)
	v_add_f32_e32 v2, v6, v2
	ds_store_b32 v5, v2
	s_branch .LBB148_9
.LBB148_12:
	s_set_inst_prefetch_distance 0x2
	s_or_b32 exec_lo, exec_lo, s3
	s_cmp_lt_i32 s13, 1
	s_waitcnt lgkmcnt(0)
	s_barrier
	buffer_gl0_inv
	s_cbranch_scc1 .LBB148_21
; %bb.13:
	s_add_u32 s4, s0, 56
	s_addc_u32 s5, s1, 0
	v_dual_mov_b32 v6, 0xff800000 :: v_dual_lshlrev_b32 v3, 1, v0
	v_dual_mov_b32 v5, 0 :: v_dual_mov_b32 v2, 0
	v_mov_b32_e32 v1, 0
	s_cmp_lg_u64 s[6:7], 0
	s_mov_b32 s18, 0
	s_cselect_b32 s12, -1, 0
	s_mov_b32 s19, 0x76543210
	s_branch .LBB148_15
.LBB148_14:                             ;   in Loop: Header=BB148_15 Depth=1
	v_cmp_eq_u32_e32 vcc_lo, s18, v0
	s_delay_alu instid0(VALU_DEP_2)
	s_lshl_b32 s3, s16, 2
	s_add_i32 s18, s18, 1
	s_add_i32 s3, s3, 0
	s_cmp_eq_u32 s18, s13
	v_cndmask_b32_e64 v1, v1, s16, vcc_lo
	v_dual_mov_b32 v7, s3 :: v_dual_cndmask_b32 v2, v2, v9
	ds_store_b32 v7, v6
	s_cbranch_scc1 .LBB148_22
.LBB148_15:                             ; =>This Loop Header: Depth=1
                                        ;     Child Loop BB148_17 Depth 2
	v_dual_mov_b32 v7, s18 :: v_dual_mov_b32 v8, 0xff800000
	s_and_saveexec_b32 s16, s2
	s_cbranch_execz .LBB148_19
; %bb.16:                               ;   in Loop: Header=BB148_15 Depth=1
	s_load_b32 s3, s[4:5], 0xc
	v_dual_mov_b32 v7, s18 :: v_dual_mov_b32 v8, 0xff800000
	v_dual_mov_b32 v9, v4 :: v_dual_mov_b32 v10, v3
	v_mov_b32_e32 v11, v0
	s_mov_b32 s21, 0
	s_waitcnt lgkmcnt(0)
	s_and_b32 s17, s3, 0xffff
	s_delay_alu instid0(SALU_CYCLE_1)
	s_lshl_b32 s20, s17, 1
	s_lshl_b32 s22, s17, 3
	.p2align	6
.LBB148_17:                             ;   Parent Loop BB148_15 Depth=1
                                        ; =>  This Inner Loop Header: Depth=2
	ds_load_b64 v[12:13], v9
	v_add_nc_u32_e32 v9, s22, v9
	v_add_nc_u32_e32 v11, s17, v11
	s_delay_alu instid0(VALU_DEP_1) | instskip(NEXT) | instid1(VALU_DEP_1)
	v_cmp_le_i32_e64 s3, s14, v11
	s_or_b32 s21, s3, s21
	s_waitcnt lgkmcnt(0)
	v_cmp_gt_f32_e32 vcc_lo, v12, v8
	v_cndmask_b32_e32 v8, v8, v12, vcc_lo
	v_add_nc_u32_e32 v12, 1, v10
	v_cndmask_b32_e32 v7, v7, v10, vcc_lo
	s_delay_alu instid0(VALU_DEP_3) | instskip(SKIP_1) | instid1(VALU_DEP_3)
	v_cmp_gt_f32_e32 vcc_lo, v13, v8
	v_cndmask_b32_e32 v8, v8, v13, vcc_lo
	v_dual_cndmask_b32 v7, v7, v12 :: v_dual_add_nc_u32 v10, s20, v10
	s_and_not1_b32 exec_lo, exec_lo, s21
	s_cbranch_execnz .LBB148_17
; %bb.18:                               ;   in Loop: Header=BB148_15 Depth=1
	s_or_b32 exec_lo, exec_lo, s21
.LBB148_19:                             ;   in Loop: Header=BB148_15 Depth=1
	s_delay_alu instid0(SALU_CYCLE_1)
	s_or_b32 exec_lo, exec_lo, s16
	;;#ASMSTART
	v_max_f32 v9, v8, v8 quad_perm:[1,0,3,2] row_mask:0xf bank_mask:0xf bound_ctrl:1
	;;#ASMEND
	;;#ASMSTART
	v_max_f32 v10, v9, v9 quad_perm:[2,3,0,1] row_mask:0xf bank_mask:0xf bound_ctrl:1
	;;#ASMEND
	;;#ASMSTART
	v_max_f32 v9, v10, v10 row_half_mirror row_mask:0xf bank_mask:0xf bound_ctrl:1
	;;#ASMEND
	;;#ASMSTART
	v_max_f32 v10, v9, v9 row_mirror row_mask:0xf bank_mask:0xf bound_ctrl:1
	;;#ASMEND
	v_permlanex16_b32 v9, v10, s19, 0xfedcba98 op_sel:[1,1]
	s_delay_alu instid0(VALU_DEP_1) | instskip(NEXT) | instid1(VALU_DEP_1)
	v_dual_max_f32 v10, v10, v10 :: v_dual_max_f32 v9, v9, v9
	v_max_f32_e32 v9, v10, v9
	s_delay_alu instid0(VALU_DEP_1)
	v_cmp_eq_f32_e32 vcc_lo, v8, v9
	s_ctz_i32_b32 s3, vcc_lo
	s_cmp_lg_u32 vcc_lo, 0
	s_cselect_b32 s3, s3, 0
	s_and_b32 vcc_lo, exec_lo, s12
	v_readlane_b32 s16, v7, s3
	s_cbranch_vccz .LBB148_14
; %bb.20:                               ;   in Loop: Header=BB148_15 Depth=1
	s_delay_alu instid0(VALU_DEP_1) | instskip(NEXT) | instid1(SALU_CYCLE_1)
	s_ashr_i32 s17, s16, 31
	s_lshl_b64 s[20:21], s[16:17], 1
	s_delay_alu instid0(SALU_CYCLE_1) | instskip(SKIP_4) | instid1(VALU_DEP_1)
	s_add_u32 s20, s6, s20
	s_addc_u32 s21, s7, s21
	global_load_u16 v7, v5, s[20:21]
	s_waitcnt vmcnt(0)
	v_cvt_f32_f16_e32 v7, v7
	v_sub_f32_e32 v9, v9, v7
	s_branch .LBB148_14
.LBB148_21:
	v_dual_mov_b32 v2, 0 :: v_dual_mov_b32 v1, 0
.LBB148_22:
	s_mov_b32 s2, exec_lo
	v_cmpx_gt_i32_e64 s13, v0
	s_cbranch_execz .LBB148_25
; %bb.23:
	s_clause 0x2
	s_load_b32 s4, s[0:1], 0x34
	s_load_b64 s[2:3], s[0:1], 0x20
	s_load_b32 s0, s[0:1], 0x44
	s_ashr_i32 s1, s15, 31
	s_waitcnt lgkmcnt(0)
	v_mul_f32_e32 v2, s4, v2
	s_mul_i32 s3, s15, s3
	s_mul_hi_u32 s4, s15, s2
	s_mul_i32 s5, s1, s2
	s_add_i32 s3, s4, s3
	s_mul_i32 s1, s15, s2
	s_and_b32 s2, s0, 0xffff
	s_add_i32 s3, s3, s5
	s_mov_b32 s4, 0
	.p2align	6
.LBB148_24:                             ; =>This Inner Loop Header: Depth=1
	v_ashrrev_i32_e32 v4, 31, v0
	v_add_co_u32 v3, vcc_lo, s1, v0
	v_add_nc_u32_e32 v0, s2, v0
	s_delay_alu instid0(VALU_DEP_3) | instskip(NEXT) | instid1(VALU_DEP_2)
	v_add_co_ci_u32_e32 v4, vcc_lo, s3, v4, vcc_lo
	v_cmp_le_i32_e32 vcc_lo, s13, v0
	s_delay_alu instid0(VALU_DEP_2) | instskip(SKIP_1) | instid1(VALU_DEP_1)
	v_lshlrev_b64 v[3:4], 2, v[3:4]
	s_or_b32 s4, vcc_lo, s4
	v_add_co_u32 v5, s0, s8, v3
	s_delay_alu instid0(VALU_DEP_1) | instskip(SKIP_1) | instid1(VALU_DEP_1)
	v_add_co_ci_u32_e64 v6, s0, s9, v4, s0
	v_add_co_u32 v3, s0, s10, v3
	v_add_co_ci_u32_e64 v4, s0, s11, v4, s0
	global_store_b32 v[5:6], v2, off
	global_store_b32 v[3:4], v1, off
	s_and_not1_b32 exec_lo, exec_lo, s4
	s_cbranch_execnz .LBB148_24
.LBB148_25:
	s_nop 0
	s_sendmsg sendmsg(MSG_DEALLOC_VGPRS)
	s_endpgm
	.section	.rodata,"a",@progbits
	.p2align	6, 0x0
	.amdhsa_kernel _ZN5aiter20topk_softplus_kernelI6__halfS1_Dv2_fLb0ELi1EEEvPKT_PKT0_PfPimiiif
		.amdhsa_group_segment_fixed_size 0
		.amdhsa_private_segment_fixed_size 0
		.amdhsa_kernarg_size 312
		.amdhsa_user_sgpr_count 15
		.amdhsa_user_sgpr_dispatch_ptr 0
		.amdhsa_user_sgpr_queue_ptr 0
		.amdhsa_user_sgpr_kernarg_segment_ptr 1
		.amdhsa_user_sgpr_dispatch_id 0
		.amdhsa_user_sgpr_private_segment_size 0
		.amdhsa_wavefront_size32 1
		.amdhsa_uses_dynamic_stack 0
		.amdhsa_enable_private_segment 0
		.amdhsa_system_sgpr_workgroup_id_x 1
		.amdhsa_system_sgpr_workgroup_id_y 0
		.amdhsa_system_sgpr_workgroup_id_z 0
		.amdhsa_system_sgpr_workgroup_info 0
		.amdhsa_system_vgpr_workitem_id 0
		.amdhsa_next_free_vgpr 14
		.amdhsa_next_free_sgpr 23
		.amdhsa_reserve_vcc 1
		.amdhsa_float_round_mode_32 0
		.amdhsa_float_round_mode_16_64 0
		.amdhsa_float_denorm_mode_32 3
		.amdhsa_float_denorm_mode_16_64 3
		.amdhsa_dx10_clamp 1
		.amdhsa_ieee_mode 1
		.amdhsa_fp16_overflow 0
		.amdhsa_workgroup_processor_mode 1
		.amdhsa_memory_ordered 1
		.amdhsa_forward_progress 0
		.amdhsa_shared_vgpr_count 0
		.amdhsa_exception_fp_ieee_invalid_op 0
		.amdhsa_exception_fp_denorm_src 0
		.amdhsa_exception_fp_ieee_div_zero 0
		.amdhsa_exception_fp_ieee_overflow 0
		.amdhsa_exception_fp_ieee_underflow 0
		.amdhsa_exception_fp_ieee_inexact 0
		.amdhsa_exception_int_div_zero 0
	.end_amdhsa_kernel
	.section	.text._ZN5aiter20topk_softplus_kernelI6__halfS1_Dv2_fLb0ELi1EEEvPKT_PKT0_PfPimiiif,"axG",@progbits,_ZN5aiter20topk_softplus_kernelI6__halfS1_Dv2_fLb0ELi1EEEvPKT_PKT0_PfPimiiif,comdat
.Lfunc_end148:
	.size	_ZN5aiter20topk_softplus_kernelI6__halfS1_Dv2_fLb0ELi1EEEvPKT_PKT0_PfPimiiif, .Lfunc_end148-_ZN5aiter20topk_softplus_kernelI6__halfS1_Dv2_fLb0ELi1EEEvPKT_PKT0_PfPimiiif
                                        ; -- End function
	.section	.AMDGPU.csdata,"",@progbits
; Kernel info:
; codeLenInByte = 1540
; NumSgprs: 25
; NumVgprs: 14
; ScratchSize: 0
; MemoryBound: 0
; FloatMode: 240
; IeeeMode: 1
; LDSByteSize: 0 bytes/workgroup (compile time only)
; SGPRBlocks: 3
; VGPRBlocks: 1
; NumSGPRsForWavesPerEU: 25
; NumVGPRsForWavesPerEU: 14
; Occupancy: 16
; WaveLimiterHint : 0
; COMPUTE_PGM_RSRC2:SCRATCH_EN: 0
; COMPUTE_PGM_RSRC2:USER_SGPR: 15
; COMPUTE_PGM_RSRC2:TRAP_HANDLER: 0
; COMPUTE_PGM_RSRC2:TGID_X_EN: 1
; COMPUTE_PGM_RSRC2:TGID_Y_EN: 0
; COMPUTE_PGM_RSRC2:TGID_Z_EN: 0
; COMPUTE_PGM_RSRC2:TIDIG_COMP_CNT: 0
	.section	.text._ZN5aiter20topk_softplus_kernelI6__halfS1_Dv1_fLb1ELi1EEEvPKT_PKT0_PfPimiiif,"axG",@progbits,_ZN5aiter20topk_softplus_kernelI6__halfS1_Dv1_fLb1ELi1EEEvPKT_PKT0_PfPimiiif,comdat
	.protected	_ZN5aiter20topk_softplus_kernelI6__halfS1_Dv1_fLb1ELi1EEEvPKT_PKT0_PfPimiiif ; -- Begin function _ZN5aiter20topk_softplus_kernelI6__halfS1_Dv1_fLb1ELi1EEEvPKT_PKT0_PfPimiiif
	.globl	_ZN5aiter20topk_softplus_kernelI6__halfS1_Dv1_fLb1ELi1EEEvPKT_PKT0_PfPimiiif
	.p2align	8
	.type	_ZN5aiter20topk_softplus_kernelI6__halfS1_Dv1_fLb1ELi1EEEvPKT_PKT0_PfPimiiif,@function
_ZN5aiter20topk_softplus_kernelI6__halfS1_Dv1_fLb1ELi1EEEvPKT_PKT0_PfPimiiif: ; @_ZN5aiter20topk_softplus_kernelI6__halfS1_Dv1_fLb1ELi1EEEvPKT_PKT0_PfPimiiif
; %bb.0:
	s_clause 0x1
	s_load_b64 s[12:13], s[0:1], 0x28
	s_load_b256 s[4:11], s[0:1], 0x0
	v_lshl_add_u32 v4, v0, 2, 0
	s_waitcnt lgkmcnt(0)
	s_mul_i32 s16, s15, s12
	v_cmp_gt_i32_e64 s2, s12, v0
	s_ashr_i32 s17, s16, 31
	s_delay_alu instid0(SALU_CYCLE_1) | instskip(NEXT) | instid1(SALU_CYCLE_1)
	s_lshl_b64 s[16:17], s[16:17], 1
	s_add_u32 s3, s4, s16
	s_addc_u32 s4, s5, s17
	s_and_saveexec_b32 s5, s2
	s_cbranch_execz .LBB149_5
; %bb.1:
	s_load_b32 s16, s[0:1], 0x44
	s_cmp_lg_u64 s[6:7], 0
	v_lshl_add_u32 v5, v0, 2, 0
	v_mov_b32_e32 v1, v0
	s_cselect_b32 s14, -1, 0
	s_mov_b32 s17, 0
	s_mov_b32 s19, 0xbfb8aa3b
	s_waitcnt lgkmcnt(0)
	s_and_b32 s16, s16, 0xffff
	s_delay_alu instid0(SALU_CYCLE_1)
	s_lshl_b32 s18, s16, 2
	s_set_inst_prefetch_distance 0x1
	s_branch .LBB149_3
	.p2align	6
.LBB149_2:                              ;   in Loop: Header=BB149_3 Depth=1
	v_add_nc_u32_e32 v1, s16, v1
	ds_store_b32 v5, v6
	v_add_nc_u32_e32 v5, s18, v5
	v_cmp_le_i32_e32 vcc_lo, s12, v1
	s_or_b32 s17, vcc_lo, s17
	s_delay_alu instid0(SALU_CYCLE_1)
	s_and_not1_b32 exec_lo, exec_lo, s17
	s_cbranch_execz .LBB149_5
.LBB149_3:                              ; =>This Inner Loop Header: Depth=1
	v_ashrrev_i32_e32 v2, 31, v1
	s_delay_alu instid0(VALU_DEP_1) | instskip(NEXT) | instid1(VALU_DEP_1)
	v_lshlrev_b64 v[2:3], 1, v[1:2]
	v_add_co_u32 v6, vcc_lo, s3, v2
	s_delay_alu instid0(VALU_DEP_2) | instskip(SKIP_3) | instid1(VALU_DEP_1)
	v_add_co_ci_u32_e32 v7, vcc_lo, s4, v3, vcc_lo
	global_load_u16 v6, v[6:7], off
	s_waitcnt vmcnt(0)
	v_cvt_f32_f16_e32 v7, v6
	v_mul_f32_e32 v7, 0xbfb8aa3b, v7
	s_delay_alu instid0(VALU_DEP_1) | instskip(SKIP_1) | instid1(VALU_DEP_1)
	v_cmp_gt_f32_e32 vcc_lo, 0xc2fc0000, v7
	v_cndmask_b32_e64 v7, 0, 0x42800000, vcc_lo
	v_fma_mix_f32 v6, v6, s19, v7 op_sel_hi:[1,0,0]
	v_cndmask_b32_e64 v7, 1.0, 0x1f800000, vcc_lo
	s_and_not1_b32 vcc_lo, exec_lo, s14
	s_delay_alu instid0(VALU_DEP_2) | instskip(SKIP_2) | instid1(VALU_DEP_1)
	v_exp_f32_e32 v6, v6
	s_waitcnt_depctr 0xfff
	v_fma_f32 v6, v6, v7, 1.0
	v_rcp_f32_e32 v6, v6
	s_cbranch_vccnz .LBB149_2
; %bb.4:                                ;   in Loop: Header=BB149_3 Depth=1
	v_add_co_u32 v2, vcc_lo, s6, v2
	v_add_co_ci_u32_e32 v3, vcc_lo, s7, v3, vcc_lo
	global_load_u16 v2, v[2:3], off
	s_waitcnt vmcnt(0)
	v_cvt_f32_f16_e32 v2, v2
	s_delay_alu instid0(VALU_DEP_1)
	v_add_f32_e32 v6, v6, v2
	s_branch .LBB149_2
.LBB149_5:
	s_set_inst_prefetch_distance 0x2
	s_or_b32 exec_lo, exec_lo, s5
	v_add_nc_u32_e32 v1, s12, v0
	s_mov_b32 s5, exec_lo
	s_delay_alu instid0(VALU_DEP_1)
	v_cmpx_gt_i32_e64 s12, v1
	s_cbranch_execz .LBB149_10
; %bb.6:
	s_load_b32 s16, s[0:1], 0x44
	s_cmp_lg_u64 s[6:7], 0
	v_lshl_add_u32 v5, v1, 2, 0
	s_cselect_b32 s14, -1, 0
	s_mov_b32 s17, 0
	s_mov_b32 s19, 0xbfb8aa3b
	s_waitcnt lgkmcnt(0)
	s_and_b32 s16, s16, 0xffff
	s_delay_alu instid0(SALU_CYCLE_1)
	s_lshl_b32 s18, s16, 2
	s_set_inst_prefetch_distance 0x1
	s_branch .LBB149_8
	.p2align	6
.LBB149_7:                              ;   in Loop: Header=BB149_8 Depth=1
	v_add_nc_u32_e32 v1, s16, v1
	v_add_nc_u32_e32 v5, s18, v5
	s_delay_alu instid0(VALU_DEP_2) | instskip(SKIP_1) | instid1(SALU_CYCLE_1)
	v_cmp_le_i32_e32 vcc_lo, s12, v1
	s_or_b32 s17, vcc_lo, s17
	s_and_not1_b32 exec_lo, exec_lo, s17
	s_cbranch_execz .LBB149_10
.LBB149_8:                              ; =>This Inner Loop Header: Depth=1
	v_ashrrev_i32_e32 v2, 31, v1
	s_delay_alu instid0(VALU_DEP_1) | instskip(NEXT) | instid1(VALU_DEP_1)
	v_lshlrev_b64 v[2:3], 1, v[1:2]
	v_add_co_u32 v6, vcc_lo, s3, v2
	s_delay_alu instid0(VALU_DEP_2) | instskip(SKIP_3) | instid1(VALU_DEP_1)
	v_add_co_ci_u32_e32 v7, vcc_lo, s4, v3, vcc_lo
	global_load_u16 v6, v[6:7], off
	s_waitcnt vmcnt(0)
	v_cvt_f32_f16_e32 v7, v6
	v_mul_f32_e32 v7, 0xbfb8aa3b, v7
	s_delay_alu instid0(VALU_DEP_1) | instskip(SKIP_1) | instid1(VALU_DEP_1)
	v_cmp_gt_f32_e32 vcc_lo, 0xc2fc0000, v7
	v_cndmask_b32_e64 v7, 0, 0x42800000, vcc_lo
	v_fma_mix_f32 v6, v6, s19, v7 op_sel_hi:[1,0,0]
	v_cndmask_b32_e64 v7, 1.0, 0x1f800000, vcc_lo
	s_and_not1_b32 vcc_lo, exec_lo, s14
	s_delay_alu instid0(VALU_DEP_2) | instskip(SKIP_2) | instid1(VALU_DEP_1)
	v_exp_f32_e32 v6, v6
	s_waitcnt_depctr 0xfff
	v_fma_f32 v6, v6, v7, 1.0
	v_rcp_f32_e32 v6, v6
	ds_store_b32 v5, v6
	s_cbranch_vccnz .LBB149_7
; %bb.9:                                ;   in Loop: Header=BB149_8 Depth=1
	v_add_co_u32 v2, vcc_lo, s6, v2
	v_add_co_ci_u32_e32 v3, vcc_lo, s7, v3, vcc_lo
	global_load_u16 v2, v[2:3], off
	s_waitcnt vmcnt(0)
	v_cvt_f32_f16_e32 v2, v2
	s_delay_alu instid0(VALU_DEP_1)
	v_add_f32_e32 v2, v6, v2
	ds_store_b32 v5, v2
	s_branch .LBB149_7
.LBB149_10:
	s_set_inst_prefetch_distance 0x2
	s_or_b32 exec_lo, exec_lo, s5
	v_mov_b32_e32 v2, 0
	s_cmp_lt_i32 s13, 1
	s_waitcnt lgkmcnt(0)
	s_barrier
	buffer_gl0_inv
	s_cbranch_scc1 .LBB149_19
; %bb.11:
	s_add_u32 s4, s0, 56
	s_addc_u32 s5, s1, 0
	v_dual_mov_b32 v2, 0 :: v_dual_mov_b32 v5, 0
	v_dual_mov_b32 v6, 0xff800000 :: v_dual_mov_b32 v1, 0
	v_mov_b32_e32 v3, 0
	s_cmp_lg_u64 s[6:7], 0
	s_mov_b32 s14, 0
	s_cselect_b32 s3, -1, 0
	s_mov_b32 s18, 0x76543210
	s_branch .LBB149_13
.LBB149_12:                             ;   in Loop: Header=BB149_13 Depth=1
	v_cmp_eq_u32_e32 vcc_lo, s14, v0
	s_delay_alu instid0(VALU_DEP_2) | instskip(NEXT) | instid1(VALU_DEP_2)
	s_lshl_b32 s17, s16, 2
	v_add_f32_e32 v3, v3, v9
	s_add_i32 s17, s17, 0
	s_add_i32 s14, s14, 1
	v_cndmask_b32_e64 v1, v1, s16, vcc_lo
	v_dual_mov_b32 v7, s17 :: v_dual_cndmask_b32 v2, v2, v9
	s_cmp_eq_u32 s14, s13
	ds_store_b32 v7, v6
	s_cbranch_scc1 .LBB149_20
.LBB149_13:                             ; =>This Loop Header: Depth=1
                                        ;     Child Loop BB149_15 Depth 2
	v_dual_mov_b32 v7, s14 :: v_dual_mov_b32 v8, 0xff800000
	s_and_saveexec_b32 s16, s2
	s_cbranch_execz .LBB149_17
; %bb.14:                               ;   in Loop: Header=BB149_13 Depth=1
	s_load_b32 s17, s[4:5], 0xc
	v_dual_mov_b32 v7, s14 :: v_dual_mov_b32 v8, 0xff800000
	v_mov_b32_e32 v9, v4
	v_mov_b32_e32 v10, v0
	s_mov_b32 s19, 0
	s_waitcnt lgkmcnt(0)
	s_and_b32 s17, s17, 0xffff
	s_delay_alu instid0(SALU_CYCLE_1)
	s_lshl_b32 s20, s17, 2
.LBB149_15:                             ;   Parent Loop BB149_13 Depth=1
                                        ; =>  This Inner Loop Header: Depth=2
	ds_load_b32 v11, v9
	v_add_nc_u32_e32 v9, s20, v9
	s_waitcnt lgkmcnt(0)
	v_cmp_gt_f32_e32 vcc_lo, v11, v8
	v_dual_cndmask_b32 v8, v8, v11 :: v_dual_cndmask_b32 v7, v7, v10
	v_add_nc_u32_e32 v10, s17, v10
	s_delay_alu instid0(VALU_DEP_1) | instskip(SKIP_1) | instid1(SALU_CYCLE_1)
	v_cmp_le_i32_e32 vcc_lo, s12, v10
	s_or_b32 s19, vcc_lo, s19
	s_and_not1_b32 exec_lo, exec_lo, s19
	s_cbranch_execnz .LBB149_15
; %bb.16:                               ;   in Loop: Header=BB149_13 Depth=1
	s_or_b32 exec_lo, exec_lo, s19
.LBB149_17:                             ;   in Loop: Header=BB149_13 Depth=1
	s_delay_alu instid0(SALU_CYCLE_1)
	s_or_b32 exec_lo, exec_lo, s16
	;;#ASMSTART
	v_max_f32 v9, v8, v8 quad_perm:[1,0,3,2] row_mask:0xf bank_mask:0xf bound_ctrl:1
	;;#ASMEND
	;;#ASMSTART
	v_max_f32 v10, v9, v9 quad_perm:[2,3,0,1] row_mask:0xf bank_mask:0xf bound_ctrl:1
	;;#ASMEND
	;;#ASMSTART
	v_max_f32 v9, v10, v10 row_half_mirror row_mask:0xf bank_mask:0xf bound_ctrl:1
	;;#ASMEND
	;;#ASMSTART
	v_max_f32 v10, v9, v9 row_mirror row_mask:0xf bank_mask:0xf bound_ctrl:1
	;;#ASMEND
	v_permlanex16_b32 v9, v10, s18, 0xfedcba98 op_sel:[1,1]
	s_delay_alu instid0(VALU_DEP_1) | instskip(NEXT) | instid1(VALU_DEP_1)
	v_dual_max_f32 v10, v10, v10 :: v_dual_max_f32 v9, v9, v9
	v_max_f32_e32 v9, v10, v9
	s_delay_alu instid0(VALU_DEP_1)
	v_cmp_eq_f32_e32 vcc_lo, v8, v9
	s_ctz_i32_b32 s16, vcc_lo
	s_cmp_lg_u32 vcc_lo, 0
	s_cselect_b32 s16, s16, 0
	s_and_b32 vcc_lo, exec_lo, s3
	v_readlane_b32 s16, v7, s16
	s_cbranch_vccz .LBB149_12
; %bb.18:                               ;   in Loop: Header=BB149_13 Depth=1
	s_delay_alu instid0(VALU_DEP_1) | instskip(NEXT) | instid1(SALU_CYCLE_1)
	s_ashr_i32 s17, s16, 31
	s_lshl_b64 s[20:21], s[16:17], 1
	s_delay_alu instid0(SALU_CYCLE_1) | instskip(SKIP_4) | instid1(VALU_DEP_1)
	s_add_u32 s20, s6, s20
	s_addc_u32 s21, s7, s21
	global_load_u16 v7, v5, s[20:21]
	s_waitcnt vmcnt(0)
	v_cvt_f32_f16_e32 v7, v7
	v_sub_f32_e32 v9, v9, v7
	s_branch .LBB149_12
.LBB149_19:
	v_mov_b32_e32 v1, 0
	v_mov_b32_e32 v3, 0
.LBB149_20:
	s_mov_b32 s2, exec_lo
	v_cmpx_gt_i32_e64 s13, v0
	s_cbranch_execz .LBB149_23
; %bb.21:
	s_clause 0x1
	s_load_b32 s2, s[0:1], 0x34
	s_load_b32 s3, s[0:1], 0x44
	v_max_f32_e32 v3, v3, v3
	s_load_b64 s[0:1], s[0:1], 0x20
	s_ashr_i32 s4, s15, 31
	s_delay_alu instid0(VALU_DEP_1) | instskip(SKIP_1) | instid1(VALU_DEP_1)
	v_max_f32_e32 v3, 0x1e3ce508, v3
	s_waitcnt lgkmcnt(0)
	v_div_scale_f32 v4, null, v3, v3, s2
	v_div_scale_f32 v7, vcc_lo, s2, v3, s2
	s_mul_i32 s1, s15, s1
	s_delay_alu instid0(VALU_DEP_2) | instskip(SKIP_4) | instid1(VALU_DEP_1)
	v_rcp_f32_e32 v5, v4
	s_mul_i32 s4, s4, s0
	s_and_b32 s3, s3, 0xffff
	s_waitcnt_depctr 0xfff
	v_fma_f32 v6, -v4, v5, 1.0
	v_fmac_f32_e32 v5, v6, v5
	s_delay_alu instid0(VALU_DEP_1) | instskip(NEXT) | instid1(VALU_DEP_1)
	v_mul_f32_e32 v6, v7, v5
	v_fma_f32 v8, -v4, v6, v7
	s_delay_alu instid0(VALU_DEP_1) | instskip(NEXT) | instid1(VALU_DEP_1)
	v_fmac_f32_e32 v6, v8, v5
	v_fma_f32 v4, -v4, v6, v7
	s_delay_alu instid0(VALU_DEP_1) | instskip(NEXT) | instid1(VALU_DEP_1)
	v_div_fmas_f32 v4, v4, v5, v6
	v_div_fixup_f32 v3, v4, v3, s2
	s_mul_hi_u32 s2, s15, s0
	s_delay_alu instid0(SALU_CYCLE_1) | instskip(SKIP_1) | instid1(VALU_DEP_1)
	s_add_i32 s1, s2, s1
	s_mul_i32 s2, s15, s0
	v_mul_f32_e32 v2, v2, v3
	s_add_i32 s1, s1, s4
	s_mov_b32 s4, 0
	.p2align	6
.LBB149_22:                             ; =>This Inner Loop Header: Depth=1
	v_ashrrev_i32_e32 v4, 31, v0
	v_add_co_u32 v3, vcc_lo, s2, v0
	v_add_nc_u32_e32 v0, s3, v0
	s_delay_alu instid0(VALU_DEP_3) | instskip(NEXT) | instid1(VALU_DEP_2)
	v_add_co_ci_u32_e32 v4, vcc_lo, s1, v4, vcc_lo
	v_cmp_le_i32_e32 vcc_lo, s13, v0
	s_delay_alu instid0(VALU_DEP_2) | instskip(SKIP_1) | instid1(VALU_DEP_1)
	v_lshlrev_b64 v[3:4], 2, v[3:4]
	s_or_b32 s4, vcc_lo, s4
	v_add_co_u32 v5, s0, s8, v3
	s_delay_alu instid0(VALU_DEP_1) | instskip(SKIP_1) | instid1(VALU_DEP_1)
	v_add_co_ci_u32_e64 v6, s0, s9, v4, s0
	v_add_co_u32 v3, s0, s10, v3
	v_add_co_ci_u32_e64 v4, s0, s11, v4, s0
	global_store_b32 v[5:6], v2, off
	global_store_b32 v[3:4], v1, off
	s_and_not1_b32 exec_lo, exec_lo, s4
	s_cbranch_execnz .LBB149_22
.LBB149_23:
	s_nop 0
	s_sendmsg sendmsg(MSG_DEALLOC_VGPRS)
	s_endpgm
	.section	.rodata,"a",@progbits
	.p2align	6, 0x0
	.amdhsa_kernel _ZN5aiter20topk_softplus_kernelI6__halfS1_Dv1_fLb1ELi1EEEvPKT_PKT0_PfPimiiif
		.amdhsa_group_segment_fixed_size 0
		.amdhsa_private_segment_fixed_size 0
		.amdhsa_kernarg_size 312
		.amdhsa_user_sgpr_count 15
		.amdhsa_user_sgpr_dispatch_ptr 0
		.amdhsa_user_sgpr_queue_ptr 0
		.amdhsa_user_sgpr_kernarg_segment_ptr 1
		.amdhsa_user_sgpr_dispatch_id 0
		.amdhsa_user_sgpr_private_segment_size 0
		.amdhsa_wavefront_size32 1
		.amdhsa_uses_dynamic_stack 0
		.amdhsa_enable_private_segment 0
		.amdhsa_system_sgpr_workgroup_id_x 1
		.amdhsa_system_sgpr_workgroup_id_y 0
		.amdhsa_system_sgpr_workgroup_id_z 0
		.amdhsa_system_sgpr_workgroup_info 0
		.amdhsa_system_vgpr_workitem_id 0
		.amdhsa_next_free_vgpr 12
		.amdhsa_next_free_sgpr 22
		.amdhsa_reserve_vcc 1
		.amdhsa_float_round_mode_32 0
		.amdhsa_float_round_mode_16_64 0
		.amdhsa_float_denorm_mode_32 3
		.amdhsa_float_denorm_mode_16_64 3
		.amdhsa_dx10_clamp 1
		.amdhsa_ieee_mode 1
		.amdhsa_fp16_overflow 0
		.amdhsa_workgroup_processor_mode 1
		.amdhsa_memory_ordered 1
		.amdhsa_forward_progress 0
		.amdhsa_shared_vgpr_count 0
		.amdhsa_exception_fp_ieee_invalid_op 0
		.amdhsa_exception_fp_denorm_src 0
		.amdhsa_exception_fp_ieee_div_zero 0
		.amdhsa_exception_fp_ieee_overflow 0
		.amdhsa_exception_fp_ieee_underflow 0
		.amdhsa_exception_fp_ieee_inexact 0
		.amdhsa_exception_int_div_zero 0
	.end_amdhsa_kernel
	.section	.text._ZN5aiter20topk_softplus_kernelI6__halfS1_Dv1_fLb1ELi1EEEvPKT_PKT0_PfPimiiif,"axG",@progbits,_ZN5aiter20topk_softplus_kernelI6__halfS1_Dv1_fLb1ELi1EEEvPKT_PKT0_PfPimiiif,comdat
.Lfunc_end149:
	.size	_ZN5aiter20topk_softplus_kernelI6__halfS1_Dv1_fLb1ELi1EEEvPKT_PKT0_PfPimiiif, .Lfunc_end149-_ZN5aiter20topk_softplus_kernelI6__halfS1_Dv1_fLb1ELi1EEEvPKT_PKT0_PfPimiiif
                                        ; -- End function
	.section	.AMDGPU.csdata,"",@progbits
; Kernel info:
; codeLenInByte = 1464
; NumSgprs: 24
; NumVgprs: 12
; ScratchSize: 0
; MemoryBound: 0
; FloatMode: 240
; IeeeMode: 1
; LDSByteSize: 0 bytes/workgroup (compile time only)
; SGPRBlocks: 2
; VGPRBlocks: 1
; NumSGPRsForWavesPerEU: 24
; NumVGPRsForWavesPerEU: 12
; Occupancy: 16
; WaveLimiterHint : 0
; COMPUTE_PGM_RSRC2:SCRATCH_EN: 0
; COMPUTE_PGM_RSRC2:USER_SGPR: 15
; COMPUTE_PGM_RSRC2:TRAP_HANDLER: 0
; COMPUTE_PGM_RSRC2:TGID_X_EN: 1
; COMPUTE_PGM_RSRC2:TGID_Y_EN: 0
; COMPUTE_PGM_RSRC2:TGID_Z_EN: 0
; COMPUTE_PGM_RSRC2:TIDIG_COMP_CNT: 0
	.section	.text._ZN5aiter20topk_softplus_kernelI6__halfS1_Dv1_fLb0ELi1EEEvPKT_PKT0_PfPimiiif,"axG",@progbits,_ZN5aiter20topk_softplus_kernelI6__halfS1_Dv1_fLb0ELi1EEEvPKT_PKT0_PfPimiiif,comdat
	.protected	_ZN5aiter20topk_softplus_kernelI6__halfS1_Dv1_fLb0ELi1EEEvPKT_PKT0_PfPimiiif ; -- Begin function _ZN5aiter20topk_softplus_kernelI6__halfS1_Dv1_fLb0ELi1EEEvPKT_PKT0_PfPimiiif
	.globl	_ZN5aiter20topk_softplus_kernelI6__halfS1_Dv1_fLb0ELi1EEEvPKT_PKT0_PfPimiiif
	.p2align	8
	.type	_ZN5aiter20topk_softplus_kernelI6__halfS1_Dv1_fLb0ELi1EEEvPKT_PKT0_PfPimiiif,@function
_ZN5aiter20topk_softplus_kernelI6__halfS1_Dv1_fLb0ELi1EEEvPKT_PKT0_PfPimiiif: ; @_ZN5aiter20topk_softplus_kernelI6__halfS1_Dv1_fLb0ELi1EEEvPKT_PKT0_PfPimiiif
; %bb.0:
	s_clause 0x1
	s_load_b64 s[12:13], s[0:1], 0x28
	s_load_b256 s[4:11], s[0:1], 0x0
	v_lshl_add_u32 v4, v0, 2, 0
	s_waitcnt lgkmcnt(0)
	s_mul_i32 s16, s15, s12
	v_cmp_gt_i32_e64 s2, s12, v0
	s_ashr_i32 s17, s16, 31
	s_delay_alu instid0(SALU_CYCLE_1) | instskip(NEXT) | instid1(SALU_CYCLE_1)
	s_lshl_b64 s[16:17], s[16:17], 1
	s_add_u32 s3, s4, s16
	s_addc_u32 s4, s5, s17
	s_and_saveexec_b32 s5, s2
	s_cbranch_execz .LBB150_5
; %bb.1:
	s_load_b32 s16, s[0:1], 0x44
	s_cmp_lg_u64 s[6:7], 0
	v_lshl_add_u32 v5, v0, 2, 0
	v_mov_b32_e32 v1, v0
	s_cselect_b32 s14, -1, 0
	s_mov_b32 s17, 0
	s_mov_b32 s19, 0xbfb8aa3b
	s_waitcnt lgkmcnt(0)
	s_and_b32 s16, s16, 0xffff
	s_delay_alu instid0(SALU_CYCLE_1)
	s_lshl_b32 s18, s16, 2
	s_set_inst_prefetch_distance 0x1
	s_branch .LBB150_3
	.p2align	6
.LBB150_2:                              ;   in Loop: Header=BB150_3 Depth=1
	v_add_nc_u32_e32 v1, s16, v1
	ds_store_b32 v5, v6
	v_add_nc_u32_e32 v5, s18, v5
	v_cmp_le_i32_e32 vcc_lo, s12, v1
	s_or_b32 s17, vcc_lo, s17
	s_delay_alu instid0(SALU_CYCLE_1)
	s_and_not1_b32 exec_lo, exec_lo, s17
	s_cbranch_execz .LBB150_5
.LBB150_3:                              ; =>This Inner Loop Header: Depth=1
	v_ashrrev_i32_e32 v2, 31, v1
	s_delay_alu instid0(VALU_DEP_1) | instskip(NEXT) | instid1(VALU_DEP_1)
	v_lshlrev_b64 v[2:3], 1, v[1:2]
	v_add_co_u32 v6, vcc_lo, s3, v2
	s_delay_alu instid0(VALU_DEP_2) | instskip(SKIP_3) | instid1(VALU_DEP_1)
	v_add_co_ci_u32_e32 v7, vcc_lo, s4, v3, vcc_lo
	global_load_u16 v6, v[6:7], off
	s_waitcnt vmcnt(0)
	v_cvt_f32_f16_e32 v7, v6
	v_mul_f32_e32 v7, 0xbfb8aa3b, v7
	s_delay_alu instid0(VALU_DEP_1) | instskip(SKIP_1) | instid1(VALU_DEP_1)
	v_cmp_gt_f32_e32 vcc_lo, 0xc2fc0000, v7
	v_cndmask_b32_e64 v7, 0, 0x42800000, vcc_lo
	v_fma_mix_f32 v6, v6, s19, v7 op_sel_hi:[1,0,0]
	v_cndmask_b32_e64 v7, 1.0, 0x1f800000, vcc_lo
	s_and_not1_b32 vcc_lo, exec_lo, s14
	s_delay_alu instid0(VALU_DEP_2) | instskip(SKIP_2) | instid1(VALU_DEP_1)
	v_exp_f32_e32 v6, v6
	s_waitcnt_depctr 0xfff
	v_fma_f32 v6, v6, v7, 1.0
	v_rcp_f32_e32 v6, v6
	s_cbranch_vccnz .LBB150_2
; %bb.4:                                ;   in Loop: Header=BB150_3 Depth=1
	v_add_co_u32 v2, vcc_lo, s6, v2
	v_add_co_ci_u32_e32 v3, vcc_lo, s7, v3, vcc_lo
	global_load_u16 v2, v[2:3], off
	s_waitcnt vmcnt(0)
	v_cvt_f32_f16_e32 v2, v2
	s_delay_alu instid0(VALU_DEP_1)
	v_add_f32_e32 v6, v6, v2
	s_branch .LBB150_2
.LBB150_5:
	s_set_inst_prefetch_distance 0x2
	s_or_b32 exec_lo, exec_lo, s5
	v_add_nc_u32_e32 v1, s12, v0
	s_mov_b32 s5, exec_lo
	s_delay_alu instid0(VALU_DEP_1)
	v_cmpx_gt_i32_e64 s12, v1
	s_cbranch_execz .LBB150_10
; %bb.6:
	s_load_b32 s16, s[0:1], 0x44
	s_cmp_lg_u64 s[6:7], 0
	v_lshl_add_u32 v5, v1, 2, 0
	s_cselect_b32 s14, -1, 0
	s_mov_b32 s17, 0
	s_mov_b32 s19, 0xbfb8aa3b
	s_waitcnt lgkmcnt(0)
	s_and_b32 s16, s16, 0xffff
	s_delay_alu instid0(SALU_CYCLE_1)
	s_lshl_b32 s18, s16, 2
	s_set_inst_prefetch_distance 0x1
	s_branch .LBB150_8
	.p2align	6
.LBB150_7:                              ;   in Loop: Header=BB150_8 Depth=1
	v_add_nc_u32_e32 v1, s16, v1
	v_add_nc_u32_e32 v5, s18, v5
	s_delay_alu instid0(VALU_DEP_2) | instskip(SKIP_1) | instid1(SALU_CYCLE_1)
	v_cmp_le_i32_e32 vcc_lo, s12, v1
	s_or_b32 s17, vcc_lo, s17
	s_and_not1_b32 exec_lo, exec_lo, s17
	s_cbranch_execz .LBB150_10
.LBB150_8:                              ; =>This Inner Loop Header: Depth=1
	v_ashrrev_i32_e32 v2, 31, v1
	s_delay_alu instid0(VALU_DEP_1) | instskip(NEXT) | instid1(VALU_DEP_1)
	v_lshlrev_b64 v[2:3], 1, v[1:2]
	v_add_co_u32 v6, vcc_lo, s3, v2
	s_delay_alu instid0(VALU_DEP_2) | instskip(SKIP_3) | instid1(VALU_DEP_1)
	v_add_co_ci_u32_e32 v7, vcc_lo, s4, v3, vcc_lo
	global_load_u16 v6, v[6:7], off
	s_waitcnt vmcnt(0)
	v_cvt_f32_f16_e32 v7, v6
	v_mul_f32_e32 v7, 0xbfb8aa3b, v7
	s_delay_alu instid0(VALU_DEP_1) | instskip(SKIP_1) | instid1(VALU_DEP_1)
	v_cmp_gt_f32_e32 vcc_lo, 0xc2fc0000, v7
	v_cndmask_b32_e64 v7, 0, 0x42800000, vcc_lo
	v_fma_mix_f32 v6, v6, s19, v7 op_sel_hi:[1,0,0]
	v_cndmask_b32_e64 v7, 1.0, 0x1f800000, vcc_lo
	s_and_not1_b32 vcc_lo, exec_lo, s14
	s_delay_alu instid0(VALU_DEP_2) | instskip(SKIP_2) | instid1(VALU_DEP_1)
	v_exp_f32_e32 v6, v6
	s_waitcnt_depctr 0xfff
	v_fma_f32 v6, v6, v7, 1.0
	v_rcp_f32_e32 v6, v6
	ds_store_b32 v5, v6
	s_cbranch_vccnz .LBB150_7
; %bb.9:                                ;   in Loop: Header=BB150_8 Depth=1
	v_add_co_u32 v2, vcc_lo, s6, v2
	v_add_co_ci_u32_e32 v3, vcc_lo, s7, v3, vcc_lo
	global_load_u16 v2, v[2:3], off
	s_waitcnt vmcnt(0)
	v_cvt_f32_f16_e32 v2, v2
	s_delay_alu instid0(VALU_DEP_1)
	v_add_f32_e32 v2, v6, v2
	ds_store_b32 v5, v2
	s_branch .LBB150_7
.LBB150_10:
	s_set_inst_prefetch_distance 0x2
	s_or_b32 exec_lo, exec_lo, s5
	s_cmp_lt_i32 s13, 1
	s_waitcnt lgkmcnt(0)
	s_barrier
	buffer_gl0_inv
	s_cbranch_scc1 .LBB150_19
; %bb.11:
	s_add_u32 s4, s0, 56
	s_addc_u32 s5, s1, 0
	v_dual_mov_b32 v3, 0 :: v_dual_mov_b32 v2, 0
	v_mov_b32_e32 v1, 0
	v_mov_b32_e32 v5, 0xff800000
	s_cmp_lg_u64 s[6:7], 0
	s_mov_b32 s14, 0
	s_cselect_b32 s3, -1, 0
	s_mov_b32 s18, 0x76543210
	s_branch .LBB150_13
.LBB150_12:                             ;   in Loop: Header=BB150_13 Depth=1
	v_cmp_eq_u32_e32 vcc_lo, s14, v0
	s_delay_alu instid0(VALU_DEP_2)
	s_lshl_b32 s17, s16, 2
	s_add_i32 s14, s14, 1
	s_add_i32 s17, s17, 0
	s_cmp_eq_u32 s14, s13
	v_cndmask_b32_e64 v1, v1, s16, vcc_lo
	v_mov_b32_e32 v6, s17
	v_cndmask_b32_e32 v2, v2, v8, vcc_lo
	ds_store_b32 v6, v5
	s_cbranch_scc1 .LBB150_20
.LBB150_13:                             ; =>This Loop Header: Depth=1
                                        ;     Child Loop BB150_15 Depth 2
	v_dual_mov_b32 v6, s14 :: v_dual_mov_b32 v7, 0xff800000
	s_and_saveexec_b32 s16, s2
	s_cbranch_execz .LBB150_17
; %bb.14:                               ;   in Loop: Header=BB150_13 Depth=1
	s_load_b32 s17, s[4:5], 0xc
	v_dual_mov_b32 v6, s14 :: v_dual_mov_b32 v7, 0xff800000
	v_mov_b32_e32 v8, v4
	v_mov_b32_e32 v9, v0
	s_mov_b32 s19, 0
	s_waitcnt lgkmcnt(0)
	s_and_b32 s17, s17, 0xffff
	s_delay_alu instid0(SALU_CYCLE_1)
	s_lshl_b32 s20, s17, 2
.LBB150_15:                             ;   Parent Loop BB150_13 Depth=1
                                        ; =>  This Inner Loop Header: Depth=2
	ds_load_b32 v10, v8
	v_add_nc_u32_e32 v8, s20, v8
	s_waitcnt lgkmcnt(0)
	v_cmp_gt_f32_e32 vcc_lo, v10, v7
	v_dual_cndmask_b32 v7, v7, v10 :: v_dual_cndmask_b32 v6, v6, v9
	v_add_nc_u32_e32 v9, s17, v9
	s_delay_alu instid0(VALU_DEP_1) | instskip(SKIP_1) | instid1(SALU_CYCLE_1)
	v_cmp_le_i32_e32 vcc_lo, s12, v9
	s_or_b32 s19, vcc_lo, s19
	s_and_not1_b32 exec_lo, exec_lo, s19
	s_cbranch_execnz .LBB150_15
; %bb.16:                               ;   in Loop: Header=BB150_13 Depth=1
	s_or_b32 exec_lo, exec_lo, s19
.LBB150_17:                             ;   in Loop: Header=BB150_13 Depth=1
	s_delay_alu instid0(SALU_CYCLE_1)
	s_or_b32 exec_lo, exec_lo, s16
	;;#ASMSTART
	v_max_f32 v8, v7, v7 quad_perm:[1,0,3,2] row_mask:0xf bank_mask:0xf bound_ctrl:1
	;;#ASMEND
	;;#ASMSTART
	v_max_f32 v9, v8, v8 quad_perm:[2,3,0,1] row_mask:0xf bank_mask:0xf bound_ctrl:1
	;;#ASMEND
	;;#ASMSTART
	v_max_f32 v8, v9, v9 row_half_mirror row_mask:0xf bank_mask:0xf bound_ctrl:1
	;;#ASMEND
	;;#ASMSTART
	v_max_f32 v9, v8, v8 row_mirror row_mask:0xf bank_mask:0xf bound_ctrl:1
	;;#ASMEND
	v_permlanex16_b32 v8, v9, s18, 0xfedcba98 op_sel:[1,1]
	s_delay_alu instid0(VALU_DEP_1) | instskip(NEXT) | instid1(VALU_DEP_1)
	v_dual_max_f32 v9, v9, v9 :: v_dual_max_f32 v8, v8, v8
	v_max_f32_e32 v8, v9, v8
	s_delay_alu instid0(VALU_DEP_1)
	v_cmp_eq_f32_e32 vcc_lo, v7, v8
	s_ctz_i32_b32 s16, vcc_lo
	s_cmp_lg_u32 vcc_lo, 0
	s_cselect_b32 s16, s16, 0
	s_and_b32 vcc_lo, exec_lo, s3
	v_readlane_b32 s16, v6, s16
	s_cbranch_vccz .LBB150_12
; %bb.18:                               ;   in Loop: Header=BB150_13 Depth=1
	s_delay_alu instid0(VALU_DEP_1) | instskip(NEXT) | instid1(SALU_CYCLE_1)
	s_ashr_i32 s17, s16, 31
	s_lshl_b64 s[20:21], s[16:17], 1
	s_delay_alu instid0(SALU_CYCLE_1) | instskip(SKIP_4) | instid1(VALU_DEP_1)
	s_add_u32 s20, s6, s20
	s_addc_u32 s21, s7, s21
	global_load_u16 v6, v3, s[20:21]
	s_waitcnt vmcnt(0)
	v_cvt_f32_f16_e32 v6, v6
	v_sub_f32_e32 v8, v8, v6
	s_branch .LBB150_12
.LBB150_19:
	v_dual_mov_b32 v2, 0 :: v_dual_mov_b32 v1, 0
.LBB150_20:
	s_mov_b32 s2, exec_lo
	v_cmpx_gt_i32_e64 s13, v0
	s_cbranch_execz .LBB150_23
; %bb.21:
	s_clause 0x2
	s_load_b32 s4, s[0:1], 0x34
	s_load_b64 s[2:3], s[0:1], 0x20
	s_load_b32 s0, s[0:1], 0x44
	s_ashr_i32 s1, s15, 31
	s_waitcnt lgkmcnt(0)
	v_mul_f32_e32 v2, s4, v2
	s_mul_i32 s3, s15, s3
	s_mul_hi_u32 s4, s15, s2
	s_mul_i32 s5, s1, s2
	s_add_i32 s3, s4, s3
	s_mul_i32 s1, s15, s2
	s_and_b32 s2, s0, 0xffff
	s_add_i32 s3, s3, s5
	s_mov_b32 s4, 0
	.p2align	6
.LBB150_22:                             ; =>This Inner Loop Header: Depth=1
	v_ashrrev_i32_e32 v4, 31, v0
	v_add_co_u32 v3, vcc_lo, s1, v0
	v_add_nc_u32_e32 v0, s2, v0
	s_delay_alu instid0(VALU_DEP_3) | instskip(NEXT) | instid1(VALU_DEP_2)
	v_add_co_ci_u32_e32 v4, vcc_lo, s3, v4, vcc_lo
	v_cmp_le_i32_e32 vcc_lo, s13, v0
	s_delay_alu instid0(VALU_DEP_2) | instskip(SKIP_1) | instid1(VALU_DEP_1)
	v_lshlrev_b64 v[3:4], 2, v[3:4]
	s_or_b32 s4, vcc_lo, s4
	v_add_co_u32 v5, s0, s8, v3
	s_delay_alu instid0(VALU_DEP_1) | instskip(SKIP_1) | instid1(VALU_DEP_1)
	v_add_co_ci_u32_e64 v6, s0, s9, v4, s0
	v_add_co_u32 v3, s0, s10, v3
	v_add_co_ci_u32_e64 v4, s0, s11, v4, s0
	global_store_b32 v[5:6], v2, off
	global_store_b32 v[3:4], v1, off
	s_and_not1_b32 exec_lo, exec_lo, s4
	s_cbranch_execnz .LBB150_22
.LBB150_23:
	s_nop 0
	s_sendmsg sendmsg(MSG_DEALLOC_VGPRS)
	s_endpgm
	.section	.rodata,"a",@progbits
	.p2align	6, 0x0
	.amdhsa_kernel _ZN5aiter20topk_softplus_kernelI6__halfS1_Dv1_fLb0ELi1EEEvPKT_PKT0_PfPimiiif
		.amdhsa_group_segment_fixed_size 0
		.amdhsa_private_segment_fixed_size 0
		.amdhsa_kernarg_size 312
		.amdhsa_user_sgpr_count 15
		.amdhsa_user_sgpr_dispatch_ptr 0
		.amdhsa_user_sgpr_queue_ptr 0
		.amdhsa_user_sgpr_kernarg_segment_ptr 1
		.amdhsa_user_sgpr_dispatch_id 0
		.amdhsa_user_sgpr_private_segment_size 0
		.amdhsa_wavefront_size32 1
		.amdhsa_uses_dynamic_stack 0
		.amdhsa_enable_private_segment 0
		.amdhsa_system_sgpr_workgroup_id_x 1
		.amdhsa_system_sgpr_workgroup_id_y 0
		.amdhsa_system_sgpr_workgroup_id_z 0
		.amdhsa_system_sgpr_workgroup_info 0
		.amdhsa_system_vgpr_workitem_id 0
		.amdhsa_next_free_vgpr 11
		.amdhsa_next_free_sgpr 22
		.amdhsa_reserve_vcc 1
		.amdhsa_float_round_mode_32 0
		.amdhsa_float_round_mode_16_64 0
		.amdhsa_float_denorm_mode_32 3
		.amdhsa_float_denorm_mode_16_64 3
		.amdhsa_dx10_clamp 1
		.amdhsa_ieee_mode 1
		.amdhsa_fp16_overflow 0
		.amdhsa_workgroup_processor_mode 1
		.amdhsa_memory_ordered 1
		.amdhsa_forward_progress 0
		.amdhsa_shared_vgpr_count 0
		.amdhsa_exception_fp_ieee_invalid_op 0
		.amdhsa_exception_fp_denorm_src 0
		.amdhsa_exception_fp_ieee_div_zero 0
		.amdhsa_exception_fp_ieee_overflow 0
		.amdhsa_exception_fp_ieee_underflow 0
		.amdhsa_exception_fp_ieee_inexact 0
		.amdhsa_exception_int_div_zero 0
	.end_amdhsa_kernel
	.section	.text._ZN5aiter20topk_softplus_kernelI6__halfS1_Dv1_fLb0ELi1EEEvPKT_PKT0_PfPimiiif,"axG",@progbits,_ZN5aiter20topk_softplus_kernelI6__halfS1_Dv1_fLb0ELi1EEEvPKT_PKT0_PfPimiiif,comdat
.Lfunc_end150:
	.size	_ZN5aiter20topk_softplus_kernelI6__halfS1_Dv1_fLb0ELi1EEEvPKT_PKT0_PfPimiiif, .Lfunc_end150-_ZN5aiter20topk_softplus_kernelI6__halfS1_Dv1_fLb0ELi1EEEvPKT_PKT0_PfPimiiif
                                        ; -- End function
	.section	.AMDGPU.csdata,"",@progbits
; Kernel info:
; codeLenInByte = 1340
; NumSgprs: 24
; NumVgprs: 11
; ScratchSize: 0
; MemoryBound: 0
; FloatMode: 240
; IeeeMode: 1
; LDSByteSize: 0 bytes/workgroup (compile time only)
; SGPRBlocks: 2
; VGPRBlocks: 1
; NumSGPRsForWavesPerEU: 24
; NumVGPRsForWavesPerEU: 11
; Occupancy: 16
; WaveLimiterHint : 0
; COMPUTE_PGM_RSRC2:SCRATCH_EN: 0
; COMPUTE_PGM_RSRC2:USER_SGPR: 15
; COMPUTE_PGM_RSRC2:TRAP_HANDLER: 0
; COMPUTE_PGM_RSRC2:TGID_X_EN: 1
; COMPUTE_PGM_RSRC2:TGID_Y_EN: 0
; COMPUTE_PGM_RSRC2:TGID_Z_EN: 0
; COMPUTE_PGM_RSRC2:TIDIG_COMP_CNT: 0
	.section	.text._ZN5aiter20topk_softplus_kernelI6__halfS1_Dv4_fLb1ELi2EEEvPKT_PKT0_PfPimiiif,"axG",@progbits,_ZN5aiter20topk_softplus_kernelI6__halfS1_Dv4_fLb1ELi2EEEvPKT_PKT0_PfPimiiif,comdat
	.protected	_ZN5aiter20topk_softplus_kernelI6__halfS1_Dv4_fLb1ELi2EEEvPKT_PKT0_PfPimiiif ; -- Begin function _ZN5aiter20topk_softplus_kernelI6__halfS1_Dv4_fLb1ELi2EEEvPKT_PKT0_PfPimiiif
	.globl	_ZN5aiter20topk_softplus_kernelI6__halfS1_Dv4_fLb1ELi2EEEvPKT_PKT0_PfPimiiif
	.p2align	8
	.type	_ZN5aiter20topk_softplus_kernelI6__halfS1_Dv4_fLb1ELi2EEEvPKT_PKT0_PfPimiiif,@function
_ZN5aiter20topk_softplus_kernelI6__halfS1_Dv4_fLb1ELi2EEEvPKT_PKT0_PfPimiiif: ; @_ZN5aiter20topk_softplus_kernelI6__halfS1_Dv4_fLb1ELi2EEEvPKT_PKT0_PfPimiiif
; %bb.0:
	s_clause 0x1
	s_load_b64 s[12:13], s[0:1], 0x28
	s_load_b256 s[4:11], s[0:1], 0x0
	v_lshl_add_u32 v3, v0, 4, 0
	s_waitcnt lgkmcnt(0)
	s_ashr_i32 s2, s12, 31
	s_mul_i32 s16, s15, s12
	s_lshr_b32 s2, s2, 30
	s_ashr_i32 s17, s16, 31
	s_add_i32 s2, s12, s2
	s_delay_alu instid0(SALU_CYCLE_1) | instskip(NEXT) | instid1(SALU_CYCLE_1)
	s_ashr_i32 s14, s2, 2
	v_cmp_gt_i32_e64 s2, s14, v0
	s_delay_alu instid0(VALU_DEP_1)
	s_and_saveexec_b32 s18, s2
	s_cbranch_execz .LBB151_3
; %bb.1:
	s_load_b32 s3, s[0:1], 0x44
	v_lshlrev_b32_e32 v1, 3, v0
	s_lshl_b64 s[20:21], s[16:17], 1
	v_lshl_add_u32 v4, v0, 4, 0
	v_mov_b32_e32 v5, v0
	s_waitcnt lgkmcnt(0)
	s_and_b32 s19, s3, 0xffff
	s_add_u32 s3, s4, s20
	s_addc_u32 s20, s5, s21
	v_add_co_u32 v1, s3, s3, v1
	s_delay_alu instid0(VALU_DEP_1)
	v_add_co_ci_u32_e64 v2, null, s20, 0, s3
	s_mov_b32 s20, 0
	s_lshl_b32 s21, s19, 3
	s_lshl_b32 s22, s19, 4
	.p2align	6
.LBB151_2:                              ; =>This Inner Loop Header: Depth=1
	global_load_b64 v[6:7], v[1:2], off
	v_add_nc_u32_e32 v5, s19, v5
	v_add_co_u32 v1, vcc_lo, v1, s21
	v_add_co_ci_u32_e32 v2, vcc_lo, 0, v2, vcc_lo
	s_delay_alu instid0(VALU_DEP_3) | instskip(NEXT) | instid1(VALU_DEP_1)
	v_cmp_le_i32_e64 s3, s14, v5
	s_or_b32 s20, s3, s20
	s_waitcnt vmcnt(0)
	v_lshrrev_b32_e32 v9, 16, v6
	v_lshrrev_b32_e32 v10, 16, v7
	v_cvt_f32_f16_e32 v6, v6
	v_cvt_f32_f16_e32 v8, v7
	s_delay_alu instid0(VALU_DEP_4) | instskip(NEXT) | instid1(VALU_DEP_4)
	v_cvt_f32_f16_e32 v7, v9
	v_cvt_f32_f16_e32 v9, v10
	ds_store_b128 v4, v[6:9]
	v_add_nc_u32_e32 v4, s22, v4
	s_and_not1_b32 exec_lo, exec_lo, s20
	s_cbranch_execnz .LBB151_2
.LBB151_3:
	s_or_b32 exec_lo, exec_lo, s18
	v_lshl_add_u32 v1, s14, 2, v0
	v_lshlrev_b32_e32 v4, 2, v0
	s_mov_b32 s3, exec_lo
	s_delay_alu instid0(VALU_DEP_2)
	v_cmpx_gt_i32_e64 s12, v1
	s_cbranch_execz .LBB151_6
; %bb.4:
	s_load_b32 s18, s[0:1], 0x44
	s_lshl_b64 s[16:17], s[16:17], 1
	v_lshlrev_b32_e32 v2, 2, v0
	s_add_u32 s4, s4, s16
	s_addc_u32 s5, s5, s17
	s_lshl_b32 s16, s14, 4
	s_mov_b32 s17, 0
	v_add3_u32 v5, 0, s16, v2
	s_waitcnt lgkmcnt(0)
	s_and_b32 s16, s18, 0xffff
	s_delay_alu instid0(SALU_CYCLE_1)
	s_lshl_b32 s18, s16, 2
	.p2align	6
.LBB151_5:                              ; =>This Inner Loop Header: Depth=1
	v_ashrrev_i32_e32 v2, 31, v1
	s_delay_alu instid0(VALU_DEP_1) | instskip(SKIP_1) | instid1(VALU_DEP_2)
	v_lshlrev_b64 v[6:7], 1, v[1:2]
	v_add_nc_u32_e32 v1, s16, v1
	v_add_co_u32 v6, vcc_lo, s4, v6
	s_delay_alu instid0(VALU_DEP_3) | instskip(NEXT) | instid1(VALU_DEP_3)
	v_add_co_ci_u32_e32 v7, vcc_lo, s5, v7, vcc_lo
	v_cmp_le_i32_e32 vcc_lo, s12, v1
	global_load_u16 v2, v[6:7], off
	s_or_b32 s17, vcc_lo, s17
	s_waitcnt vmcnt(0)
	v_cvt_f32_f16_e32 v2, v2
	ds_store_b32 v5, v2
	v_add_nc_u32_e32 v5, s18, v5
	s_and_not1_b32 exec_lo, exec_lo, s17
	s_cbranch_execnz .LBB151_5
.LBB151_6:
	s_or_b32 exec_lo, exec_lo, s3
	v_cmp_gt_i32_e32 vcc_lo, s12, v0
	v_mov_b32_e32 v2, 0xff800000
	s_waitcnt lgkmcnt(0)
	s_barrier
	buffer_gl0_inv
	s_and_saveexec_b32 s4, vcc_lo
	s_cbranch_execz .LBB151_10
; %bb.7:
	s_load_b32 s3, s[0:1], 0x44
	v_lshl_add_u32 v1, v0, 2, 0
	v_dual_mov_b32 v2, 0xff800000 :: v_dual_mov_b32 v5, v0
	s_mov_b32 s5, 0
	s_waitcnt lgkmcnt(0)
	s_and_b32 s16, s3, 0xffff
	s_delay_alu instid0(SALU_CYCLE_1)
	s_lshl_b32 s17, s16, 2
.LBB151_8:                              ; =>This Inner Loop Header: Depth=1
	ds_load_b32 v6, v1
	v_dual_max_f32 v2, v2, v2 :: v_dual_add_nc_u32 v5, s16, v5
	v_add_nc_u32_e32 v1, s17, v1
	s_delay_alu instid0(VALU_DEP_2) | instskip(NEXT) | instid1(VALU_DEP_1)
	v_cmp_le_i32_e64 s3, s12, v5
	s_or_b32 s5, s3, s5
	s_waitcnt lgkmcnt(0)
	v_max_f32_e32 v6, v6, v6
	s_delay_alu instid0(VALU_DEP_1)
	v_max_f32_e32 v2, v2, v6
	s_and_not1_b32 exec_lo, exec_lo, s5
	s_cbranch_execnz .LBB151_8
; %bb.9:
	s_or_b32 exec_lo, exec_lo, s5
.LBB151_10:
	s_delay_alu instid0(SALU_CYCLE_1)
	s_or_b32 exec_lo, exec_lo, s4
	v_mov_b32_e32 v1, 0
	;;#ASMSTART
	v_max_f32 v5, v2, v2 quad_perm:[1,0,3,2] row_mask:0xf bank_mask:0xf bound_ctrl:1
	;;#ASMEND
	;;#ASMSTART
	v_max_f32 v2, v5, v5 quad_perm:[2,3,0,1] row_mask:0xf bank_mask:0xf bound_ctrl:1
	;;#ASMEND
	;;#ASMSTART
	v_max_f32 v5, v2, v2 row_half_mirror row_mask:0xf bank_mask:0xf bound_ctrl:1
	;;#ASMEND
	;;#ASMSTART
	v_max_f32 v2, v5, v5 row_mirror row_mask:0xf bank_mask:0xf bound_ctrl:1
	;;#ASMEND
	s_and_saveexec_b32 s4, vcc_lo
	s_cbranch_execz .LBB151_14
; %bb.11:
	s_load_b32 s3, s[0:1], 0x44
	s_mov_b32 s5, 0x76543210
	v_lshl_add_u32 v5, v0, 2, 0
	v_permlanex16_b32 v1, v2, s5, 0xfedcba98 op_sel:[1,1]
	v_mov_b32_e32 v6, v0
	s_mov_b32 s5, 0
	s_delay_alu instid0(VALU_DEP_2) | instskip(NEXT) | instid1(VALU_DEP_1)
	v_dual_max_f32 v2, v2, v2 :: v_dual_max_f32 v1, v1, v1
	v_dual_max_f32 v2, v2, v1 :: v_dual_mov_b32 v1, 0
	s_waitcnt lgkmcnt(0)
	s_and_b32 s16, s3, 0xffff
	s_delay_alu instid0(SALU_CYCLE_1)
	s_lshl_b32 s17, s16, 2
	.p2align	6
.LBB151_12:                             ; =>This Inner Loop Header: Depth=1
	ds_load_b32 v7, v5
	s_waitcnt lgkmcnt(0)
	v_sub_f32_e32 v7, v7, v2
	s_delay_alu instid0(VALU_DEP_1) | instskip(NEXT) | instid1(VALU_DEP_1)
	v_mul_f32_e32 v8, 0x3fb8aa3b, v7
	v_cmp_gt_f32_e64 s3, 0xc2fc0000, v8
	s_delay_alu instid0(VALU_DEP_1) | instskip(NEXT) | instid1(VALU_DEP_1)
	v_cndmask_b32_e64 v8, 0, 0x42800000, s3
	v_fmac_f32_e32 v8, 0x3fb8aa3b, v7
	s_delay_alu instid0(VALU_DEP_1) | instskip(SKIP_3) | instid1(VALU_DEP_1)
	v_exp_f32_e32 v7, v8
	v_cndmask_b32_e64 v8, 1.0, 0x1f800000, s3
	s_waitcnt_depctr 0xfff
	v_dual_mul_f32 v9, v7, v8 :: v_dual_add_nc_u32 v6, s16, v6
	v_cmp_le_i32_e64 s3, s12, v6
	v_fmac_f32_e32 v1, v7, v8
	ds_store_b32 v5, v9
	v_add_nc_u32_e32 v5, s17, v5
	s_or_b32 s5, s3, s5
	s_delay_alu instid0(SALU_CYCLE_1)
	s_and_not1_b32 exec_lo, exec_lo, s5
	s_cbranch_execnz .LBB151_12
; %bb.13:
	s_or_b32 exec_lo, exec_lo, s5
.LBB151_14:
	s_delay_alu instid0(SALU_CYCLE_1) | instskip(SKIP_1) | instid1(VALU_DEP_1)
	s_or_b32 exec_lo, exec_lo, s4
	v_mov_b32_dpp v2, v1 quad_perm:[1,0,3,2] row_mask:0xf bank_mask:0xf
	v_add_f32_e32 v1, v1, v2
	s_delay_alu instid0(VALU_DEP_1) | instskip(NEXT) | instid1(VALU_DEP_1)
	v_mov_b32_dpp v2, v1 quad_perm:[2,3,0,1] row_mask:0xf bank_mask:0xf
	v_add_f32_e32 v1, v1, v2
	s_delay_alu instid0(VALU_DEP_1) | instskip(NEXT) | instid1(VALU_DEP_1)
	v_mov_b32_dpp v2, v1 row_xmask:7 row_mask:0xf bank_mask:0xf
	v_add_f32_e32 v1, v1, v2
	s_delay_alu instid0(VALU_DEP_1)
	v_mov_b32_dpp v2, v1 row_xmask:15 row_mask:0xf bank_mask:0xf
	s_and_saveexec_b32 s3, vcc_lo
	s_cbranch_execz .LBB151_19
; %bb.15:
	s_delay_alu instid0(VALU_DEP_1)
	v_add_f32_e32 v1, v1, v2
	s_load_b32 s5, s[0:1], 0x44
	s_mov_b32 s4, 0x76543210
	s_cmp_lg_u64 s[6:7], 0
	v_lshl_add_u32 v6, v0, 2, 0
	v_permlanex16_b32 v2, v1, s4, 0xfedcba98 op_sel:[1,1]
	s_cselect_b32 s4, -1, 0
	s_mov_b32 s16, 0
	s_delay_alu instid0(VALU_DEP_1) | instskip(NEXT) | instid1(VALU_DEP_1)
	v_add_f32_e32 v1, v1, v2
	v_rcp_f32_e32 v5, v1
	v_mov_b32_e32 v1, v0
	s_waitcnt lgkmcnt(0)
	s_and_b32 s5, s5, 0xffff
	s_delay_alu instid0(SALU_CYCLE_1)
	s_lshl_b32 s17, s5, 2
	s_set_inst_prefetch_distance 0x1
	s_branch .LBB151_17
	.p2align	6
.LBB151_16:                             ;   in Loop: Header=BB151_17 Depth=1
	v_add_nc_u32_e32 v1, s5, v1
	v_add_nc_u32_e32 v6, s17, v6
	s_delay_alu instid0(VALU_DEP_2) | instskip(SKIP_1) | instid1(SALU_CYCLE_1)
	v_cmp_le_i32_e32 vcc_lo, s12, v1
	s_or_b32 s16, vcc_lo, s16
	s_and_not1_b32 exec_lo, exec_lo, s16
	s_cbranch_execz .LBB151_19
.LBB151_17:                             ; =>This Inner Loop Header: Depth=1
	ds_load_b32 v2, v6
	s_and_not1_b32 vcc_lo, exec_lo, s4
	s_waitcnt lgkmcnt(0)
	v_mul_f32_e32 v7, v5, v2
	ds_store_b32 v6, v7
	s_cbranch_vccnz .LBB151_16
; %bb.18:                               ;   in Loop: Header=BB151_17 Depth=1
	v_ashrrev_i32_e32 v2, 31, v1
	s_delay_alu instid0(VALU_DEP_1) | instskip(NEXT) | instid1(VALU_DEP_1)
	v_lshlrev_b64 v[8:9], 1, v[1:2]
	v_add_co_u32 v8, vcc_lo, s6, v8
	s_delay_alu instid0(VALU_DEP_2) | instskip(SKIP_3) | instid1(VALU_DEP_1)
	v_add_co_ci_u32_e32 v9, vcc_lo, s7, v9, vcc_lo
	global_load_u16 v2, v[8:9], off
	s_waitcnt vmcnt(0)
	v_cvt_f32_f16_e32 v2, v2
	v_add_f32_e32 v2, v7, v2
	ds_store_b32 v6, v2
	s_branch .LBB151_16
.LBB151_19:
	s_set_inst_prefetch_distance 0x2
	s_or_b32 exec_lo, exec_lo, s3
	v_mov_b32_e32 v2, 0
	s_cmp_lt_i32 s13, 1
	s_waitcnt lgkmcnt(0)
	s_barrier
	buffer_gl0_inv
	s_cbranch_scc1 .LBB151_28
; %bb.20:
	s_add_u32 s4, s0, 56
	s_addc_u32 s5, s1, 0
	v_dual_mov_b32 v2, 0 :: v_dual_mov_b32 v7, 0xff800000
	v_dual_mov_b32 v6, 0 :: v_dual_mov_b32 v1, 0
	v_mov_b32_e32 v5, 0
	s_cmp_lg_u64 s[6:7], 0
	s_mov_b32 s18, 0
	s_cselect_b32 s12, -1, 0
	s_mov_b32 s19, 0x76543210
	s_branch .LBB151_22
.LBB151_21:                             ;   in Loop: Header=BB151_22 Depth=1
	v_cmp_eq_u32_e32 vcc_lo, s18, v0
	s_delay_alu instid0(VALU_DEP_2)
	s_lshl_b32 s3, s16, 2
	s_add_i32 s18, s18, 1
	s_add_i32 s3, s3, 0
	v_add_f32_e32 v5, v5, v10
	v_cndmask_b32_e64 v1, v1, s16, vcc_lo
	v_mov_b32_e32 v8, s3
	v_cndmask_b32_e32 v2, v2, v10, vcc_lo
	s_cmp_eq_u32 s18, s13
	ds_store_b32 v8, v7
	s_cbranch_scc1 .LBB151_29
.LBB151_22:                             ; =>This Loop Header: Depth=1
                                        ;     Child Loop BB151_24 Depth 2
	v_dual_mov_b32 v8, s18 :: v_dual_mov_b32 v9, 0xff800000
	s_and_saveexec_b32 s16, s2
	s_cbranch_execz .LBB151_26
; %bb.23:                               ;   in Loop: Header=BB151_22 Depth=1
	s_load_b32 s3, s[4:5], 0xc
	v_dual_mov_b32 v8, s18 :: v_dual_mov_b32 v9, 0xff800000
	v_dual_mov_b32 v10, v3 :: v_dual_mov_b32 v11, v4
	v_mov_b32_e32 v12, v0
	s_mov_b32 s21, 0
	s_waitcnt lgkmcnt(0)
	s_and_b32 s17, s3, 0xffff
	s_delay_alu instid0(SALU_CYCLE_1)
	s_lshl_b32 s20, s17, 2
	s_lshl_b32 s22, s17, 4
	.p2align	6
.LBB151_24:                             ;   Parent Loop BB151_22 Depth=1
                                        ; =>  This Inner Loop Header: Depth=2
	ds_load_b128 v[13:16], v10
	v_add_nc_u32_e32 v12, s17, v12
	s_delay_alu instid0(VALU_DEP_1) | instskip(NEXT) | instid1(VALU_DEP_1)
	v_cmp_le_i32_e64 s3, s14, v12
	s_or_b32 s21, s3, s21
	s_waitcnt lgkmcnt(0)
	v_cmp_gt_f32_e32 vcc_lo, v13, v9
	v_dual_cndmask_b32 v9, v9, v13 :: v_dual_cndmask_b32 v8, v8, v11
	s_delay_alu instid0(VALU_DEP_1) | instskip(SKIP_2) | instid1(VALU_DEP_1)
	v_cmp_gt_f32_e32 vcc_lo, v14, v9
	v_dual_cndmask_b32 v9, v9, v14 :: v_dual_add_nc_u32 v14, 2, v11
	v_add_nc_u32_e32 v13, 1, v11
	v_cndmask_b32_e32 v8, v8, v13, vcc_lo
	s_delay_alu instid0(VALU_DEP_3) | instskip(SKIP_1) | instid1(VALU_DEP_3)
	v_cmp_gt_f32_e32 vcc_lo, v15, v9
	v_add_nc_u32_e32 v13, 3, v11
	v_dual_cndmask_b32 v9, v9, v15 :: v_dual_cndmask_b32 v8, v8, v14
	s_delay_alu instid0(VALU_DEP_1) | instskip(SKIP_1) | instid1(VALU_DEP_3)
	v_cmp_gt_f32_e32 vcc_lo, v16, v9
	v_add_nc_u32_e32 v10, s22, v10
	v_dual_cndmask_b32 v8, v8, v13 :: v_dual_add_nc_u32 v11, s20, v11
	v_cndmask_b32_e32 v9, v9, v16, vcc_lo
	s_and_not1_b32 exec_lo, exec_lo, s21
	s_cbranch_execnz .LBB151_24
; %bb.25:                               ;   in Loop: Header=BB151_22 Depth=1
	s_or_b32 exec_lo, exec_lo, s21
.LBB151_26:                             ;   in Loop: Header=BB151_22 Depth=1
	s_delay_alu instid0(SALU_CYCLE_1)
	s_or_b32 exec_lo, exec_lo, s16
	;;#ASMSTART
	v_max_f32 v10, v9, v9 quad_perm:[1,0,3,2] row_mask:0xf bank_mask:0xf bound_ctrl:1
	;;#ASMEND
	;;#ASMSTART
	v_max_f32 v11, v10, v10 quad_perm:[2,3,0,1] row_mask:0xf bank_mask:0xf bound_ctrl:1
	;;#ASMEND
	;;#ASMSTART
	v_max_f32 v10, v11, v11 row_half_mirror row_mask:0xf bank_mask:0xf bound_ctrl:1
	;;#ASMEND
	;;#ASMSTART
	v_max_f32 v11, v10, v10 row_mirror row_mask:0xf bank_mask:0xf bound_ctrl:1
	;;#ASMEND
	v_permlanex16_b32 v10, v11, s19, 0xfedcba98 op_sel:[1,1]
	s_delay_alu instid0(VALU_DEP_1) | instskip(NEXT) | instid1(VALU_DEP_1)
	v_dual_max_f32 v11, v11, v11 :: v_dual_max_f32 v10, v10, v10
	v_max_f32_e32 v10, v11, v10
	s_delay_alu instid0(VALU_DEP_1)
	v_cmp_eq_f32_e32 vcc_lo, v9, v10
	s_ctz_i32_b32 s3, vcc_lo
	s_cmp_lg_u32 vcc_lo, 0
	s_cselect_b32 s3, s3, 0
	s_and_b32 vcc_lo, exec_lo, s12
	v_readlane_b32 s16, v8, s3
	s_cbranch_vccz .LBB151_21
; %bb.27:                               ;   in Loop: Header=BB151_22 Depth=1
	s_delay_alu instid0(VALU_DEP_1) | instskip(NEXT) | instid1(SALU_CYCLE_1)
	s_ashr_i32 s17, s16, 31
	s_lshl_b64 s[20:21], s[16:17], 1
	s_delay_alu instid0(SALU_CYCLE_1) | instskip(SKIP_4) | instid1(VALU_DEP_1)
	s_add_u32 s20, s6, s20
	s_addc_u32 s21, s7, s21
	global_load_u16 v8, v6, s[20:21]
	s_waitcnt vmcnt(0)
	v_cvt_f32_f16_e32 v8, v8
	v_sub_f32_e32 v10, v10, v8
	s_branch .LBB151_21
.LBB151_28:
	v_mov_b32_e32 v1, 0
	v_mov_b32_e32 v5, 0
.LBB151_29:
	s_mov_b32 s2, exec_lo
	v_cmpx_gt_i32_e64 s13, v0
	s_cbranch_execz .LBB151_32
; %bb.30:
	s_clause 0x1
	s_load_b32 s2, s[0:1], 0x34
	s_load_b32 s3, s[0:1], 0x44
	v_max_f32_e32 v3, v5, v5
	s_load_b64 s[0:1], s[0:1], 0x20
	s_ashr_i32 s4, s15, 31
	s_delay_alu instid0(VALU_DEP_1) | instskip(SKIP_1) | instid1(VALU_DEP_1)
	v_max_f32_e32 v3, 0x1e3ce508, v3
	s_waitcnt lgkmcnt(0)
	v_div_scale_f32 v4, null, v3, v3, s2
	v_div_scale_f32 v7, vcc_lo, s2, v3, s2
	s_mul_i32 s1, s15, s1
	s_delay_alu instid0(VALU_DEP_2) | instskip(SKIP_4) | instid1(VALU_DEP_1)
	v_rcp_f32_e32 v5, v4
	s_mul_i32 s4, s4, s0
	s_and_b32 s3, s3, 0xffff
	s_waitcnt_depctr 0xfff
	v_fma_f32 v6, -v4, v5, 1.0
	v_fmac_f32_e32 v5, v6, v5
	s_delay_alu instid0(VALU_DEP_1) | instskip(NEXT) | instid1(VALU_DEP_1)
	v_mul_f32_e32 v6, v7, v5
	v_fma_f32 v8, -v4, v6, v7
	s_delay_alu instid0(VALU_DEP_1) | instskip(NEXT) | instid1(VALU_DEP_1)
	v_fmac_f32_e32 v6, v8, v5
	v_fma_f32 v4, -v4, v6, v7
	s_delay_alu instid0(VALU_DEP_1) | instskip(NEXT) | instid1(VALU_DEP_1)
	v_div_fmas_f32 v4, v4, v5, v6
	v_div_fixup_f32 v3, v4, v3, s2
	s_mul_hi_u32 s2, s15, s0
	s_delay_alu instid0(SALU_CYCLE_1) | instskip(SKIP_1) | instid1(VALU_DEP_1)
	s_add_i32 s1, s2, s1
	s_mul_i32 s2, s15, s0
	v_mul_f32_e32 v2, v2, v3
	s_add_i32 s1, s1, s4
	s_mov_b32 s4, 0
	.p2align	6
.LBB151_31:                             ; =>This Inner Loop Header: Depth=1
	v_ashrrev_i32_e32 v4, 31, v0
	v_add_co_u32 v3, vcc_lo, s2, v0
	v_add_nc_u32_e32 v0, s3, v0
	s_delay_alu instid0(VALU_DEP_3) | instskip(NEXT) | instid1(VALU_DEP_2)
	v_add_co_ci_u32_e32 v4, vcc_lo, s1, v4, vcc_lo
	v_cmp_le_i32_e32 vcc_lo, s13, v0
	s_delay_alu instid0(VALU_DEP_2) | instskip(SKIP_1) | instid1(VALU_DEP_1)
	v_lshlrev_b64 v[3:4], 2, v[3:4]
	s_or_b32 s4, vcc_lo, s4
	v_add_co_u32 v5, s0, s8, v3
	s_delay_alu instid0(VALU_DEP_1) | instskip(SKIP_1) | instid1(VALU_DEP_1)
	v_add_co_ci_u32_e64 v6, s0, s9, v4, s0
	v_add_co_u32 v3, s0, s10, v3
	v_add_co_ci_u32_e64 v4, s0, s11, v4, s0
	global_store_b32 v[5:6], v2, off
	global_store_b32 v[3:4], v1, off
	s_and_not1_b32 exec_lo, exec_lo, s4
	s_cbranch_execnz .LBB151_31
.LBB151_32:
	s_nop 0
	s_sendmsg sendmsg(MSG_DEALLOC_VGPRS)
	s_endpgm
	.section	.rodata,"a",@progbits
	.p2align	6, 0x0
	.amdhsa_kernel _ZN5aiter20topk_softplus_kernelI6__halfS1_Dv4_fLb1ELi2EEEvPKT_PKT0_PfPimiiif
		.amdhsa_group_segment_fixed_size 0
		.amdhsa_private_segment_fixed_size 0
		.amdhsa_kernarg_size 312
		.amdhsa_user_sgpr_count 15
		.amdhsa_user_sgpr_dispatch_ptr 0
		.amdhsa_user_sgpr_queue_ptr 0
		.amdhsa_user_sgpr_kernarg_segment_ptr 1
		.amdhsa_user_sgpr_dispatch_id 0
		.amdhsa_user_sgpr_private_segment_size 0
		.amdhsa_wavefront_size32 1
		.amdhsa_uses_dynamic_stack 0
		.amdhsa_enable_private_segment 0
		.amdhsa_system_sgpr_workgroup_id_x 1
		.amdhsa_system_sgpr_workgroup_id_y 0
		.amdhsa_system_sgpr_workgroup_id_z 0
		.amdhsa_system_sgpr_workgroup_info 0
		.amdhsa_system_vgpr_workitem_id 0
		.amdhsa_next_free_vgpr 17
		.amdhsa_next_free_sgpr 23
		.amdhsa_reserve_vcc 1
		.amdhsa_float_round_mode_32 0
		.amdhsa_float_round_mode_16_64 0
		.amdhsa_float_denorm_mode_32 3
		.amdhsa_float_denorm_mode_16_64 3
		.amdhsa_dx10_clamp 1
		.amdhsa_ieee_mode 1
		.amdhsa_fp16_overflow 0
		.amdhsa_workgroup_processor_mode 1
		.amdhsa_memory_ordered 1
		.amdhsa_forward_progress 0
		.amdhsa_shared_vgpr_count 0
		.amdhsa_exception_fp_ieee_invalid_op 0
		.amdhsa_exception_fp_denorm_src 0
		.amdhsa_exception_fp_ieee_div_zero 0
		.amdhsa_exception_fp_ieee_overflow 0
		.amdhsa_exception_fp_ieee_underflow 0
		.amdhsa_exception_fp_ieee_inexact 0
		.amdhsa_exception_int_div_zero 0
	.end_amdhsa_kernel
	.section	.text._ZN5aiter20topk_softplus_kernelI6__halfS1_Dv4_fLb1ELi2EEEvPKT_PKT0_PfPimiiif,"axG",@progbits,_ZN5aiter20topk_softplus_kernelI6__halfS1_Dv4_fLb1ELi2EEEvPKT_PKT0_PfPimiiif,comdat
.Lfunc_end151:
	.size	_ZN5aiter20topk_softplus_kernelI6__halfS1_Dv4_fLb1ELi2EEEvPKT_PKT0_PfPimiiif, .Lfunc_end151-_ZN5aiter20topk_softplus_kernelI6__halfS1_Dv4_fLb1ELi2EEEvPKT_PKT0_PfPimiiif
                                        ; -- End function
	.section	.AMDGPU.csdata,"",@progbits
; Kernel info:
; codeLenInByte = 2084
; NumSgprs: 25
; NumVgprs: 17
; ScratchSize: 0
; MemoryBound: 0
; FloatMode: 240
; IeeeMode: 1
; LDSByteSize: 0 bytes/workgroup (compile time only)
; SGPRBlocks: 3
; VGPRBlocks: 2
; NumSGPRsForWavesPerEU: 25
; NumVGPRsForWavesPerEU: 17
; Occupancy: 16
; WaveLimiterHint : 0
; COMPUTE_PGM_RSRC2:SCRATCH_EN: 0
; COMPUTE_PGM_RSRC2:USER_SGPR: 15
; COMPUTE_PGM_RSRC2:TRAP_HANDLER: 0
; COMPUTE_PGM_RSRC2:TGID_X_EN: 1
; COMPUTE_PGM_RSRC2:TGID_Y_EN: 0
; COMPUTE_PGM_RSRC2:TGID_Z_EN: 0
; COMPUTE_PGM_RSRC2:TIDIG_COMP_CNT: 0
	.section	.text._ZN5aiter20topk_softplus_kernelI6__halfS1_Dv4_fLb0ELi2EEEvPKT_PKT0_PfPimiiif,"axG",@progbits,_ZN5aiter20topk_softplus_kernelI6__halfS1_Dv4_fLb0ELi2EEEvPKT_PKT0_PfPimiiif,comdat
	.protected	_ZN5aiter20topk_softplus_kernelI6__halfS1_Dv4_fLb0ELi2EEEvPKT_PKT0_PfPimiiif ; -- Begin function _ZN5aiter20topk_softplus_kernelI6__halfS1_Dv4_fLb0ELi2EEEvPKT_PKT0_PfPimiiif
	.globl	_ZN5aiter20topk_softplus_kernelI6__halfS1_Dv4_fLb0ELi2EEEvPKT_PKT0_PfPimiiif
	.p2align	8
	.type	_ZN5aiter20topk_softplus_kernelI6__halfS1_Dv4_fLb0ELi2EEEvPKT_PKT0_PfPimiiif,@function
_ZN5aiter20topk_softplus_kernelI6__halfS1_Dv4_fLb0ELi2EEEvPKT_PKT0_PfPimiiif: ; @_ZN5aiter20topk_softplus_kernelI6__halfS1_Dv4_fLb0ELi2EEEvPKT_PKT0_PfPimiiif
; %bb.0:
	s_clause 0x1
	s_load_b64 s[12:13], s[0:1], 0x28
	s_load_b256 s[4:11], s[0:1], 0x0
	v_lshl_add_u32 v3, v0, 4, 0
	s_waitcnt lgkmcnt(0)
	s_ashr_i32 s2, s12, 31
	s_mul_i32 s16, s15, s12
	s_lshr_b32 s2, s2, 30
	s_ashr_i32 s17, s16, 31
	s_add_i32 s2, s12, s2
	s_delay_alu instid0(SALU_CYCLE_1) | instskip(NEXT) | instid1(SALU_CYCLE_1)
	s_ashr_i32 s14, s2, 2
	v_cmp_gt_i32_e64 s2, s14, v0
	s_delay_alu instid0(VALU_DEP_1)
	s_and_saveexec_b32 s18, s2
	s_cbranch_execz .LBB152_3
; %bb.1:
	s_load_b32 s3, s[0:1], 0x44
	v_lshlrev_b32_e32 v1, 3, v0
	s_lshl_b64 s[20:21], s[16:17], 1
	v_lshl_add_u32 v4, v0, 4, 0
	v_mov_b32_e32 v5, v0
	s_waitcnt lgkmcnt(0)
	s_and_b32 s19, s3, 0xffff
	s_add_u32 s3, s4, s20
	s_addc_u32 s20, s5, s21
	v_add_co_u32 v1, s3, s3, v1
	s_delay_alu instid0(VALU_DEP_1)
	v_add_co_ci_u32_e64 v2, null, s20, 0, s3
	s_mov_b32 s20, 0
	s_lshl_b32 s21, s19, 3
	s_lshl_b32 s22, s19, 4
	.p2align	6
.LBB152_2:                              ; =>This Inner Loop Header: Depth=1
	global_load_b64 v[6:7], v[1:2], off
	v_add_nc_u32_e32 v5, s19, v5
	v_add_co_u32 v1, vcc_lo, v1, s21
	v_add_co_ci_u32_e32 v2, vcc_lo, 0, v2, vcc_lo
	s_delay_alu instid0(VALU_DEP_3) | instskip(NEXT) | instid1(VALU_DEP_1)
	v_cmp_le_i32_e64 s3, s14, v5
	s_or_b32 s20, s3, s20
	s_waitcnt vmcnt(0)
	v_lshrrev_b32_e32 v9, 16, v6
	v_lshrrev_b32_e32 v10, 16, v7
	v_cvt_f32_f16_e32 v6, v6
	v_cvt_f32_f16_e32 v8, v7
	s_delay_alu instid0(VALU_DEP_4) | instskip(NEXT) | instid1(VALU_DEP_4)
	v_cvt_f32_f16_e32 v7, v9
	v_cvt_f32_f16_e32 v9, v10
	ds_store_b128 v4, v[6:9]
	v_add_nc_u32_e32 v4, s22, v4
	s_and_not1_b32 exec_lo, exec_lo, s20
	s_cbranch_execnz .LBB152_2
.LBB152_3:
	s_or_b32 exec_lo, exec_lo, s18
	v_lshl_add_u32 v1, s14, 2, v0
	v_lshlrev_b32_e32 v4, 2, v0
	s_mov_b32 s3, exec_lo
	s_delay_alu instid0(VALU_DEP_2)
	v_cmpx_gt_i32_e64 s12, v1
	s_cbranch_execz .LBB152_6
; %bb.4:
	s_load_b32 s18, s[0:1], 0x44
	s_lshl_b64 s[16:17], s[16:17], 1
	v_lshlrev_b32_e32 v2, 2, v0
	s_add_u32 s4, s4, s16
	s_addc_u32 s5, s5, s17
	s_lshl_b32 s16, s14, 4
	s_mov_b32 s17, 0
	v_add3_u32 v5, 0, s16, v2
	s_waitcnt lgkmcnt(0)
	s_and_b32 s16, s18, 0xffff
	s_delay_alu instid0(SALU_CYCLE_1)
	s_lshl_b32 s18, s16, 2
	.p2align	6
.LBB152_5:                              ; =>This Inner Loop Header: Depth=1
	v_ashrrev_i32_e32 v2, 31, v1
	s_delay_alu instid0(VALU_DEP_1) | instskip(SKIP_1) | instid1(VALU_DEP_2)
	v_lshlrev_b64 v[6:7], 1, v[1:2]
	v_add_nc_u32_e32 v1, s16, v1
	v_add_co_u32 v6, vcc_lo, s4, v6
	s_delay_alu instid0(VALU_DEP_3) | instskip(NEXT) | instid1(VALU_DEP_3)
	v_add_co_ci_u32_e32 v7, vcc_lo, s5, v7, vcc_lo
	v_cmp_le_i32_e32 vcc_lo, s12, v1
	global_load_u16 v2, v[6:7], off
	s_or_b32 s17, vcc_lo, s17
	s_waitcnt vmcnt(0)
	v_cvt_f32_f16_e32 v2, v2
	ds_store_b32 v5, v2
	v_add_nc_u32_e32 v5, s18, v5
	s_and_not1_b32 exec_lo, exec_lo, s17
	s_cbranch_execnz .LBB152_5
.LBB152_6:
	s_or_b32 exec_lo, exec_lo, s3
	v_cmp_gt_i32_e32 vcc_lo, s12, v0
	v_mov_b32_e32 v2, 0xff800000
	s_waitcnt lgkmcnt(0)
	s_barrier
	buffer_gl0_inv
	s_and_saveexec_b32 s4, vcc_lo
	s_cbranch_execz .LBB152_10
; %bb.7:
	s_load_b32 s3, s[0:1], 0x44
	v_lshl_add_u32 v1, v0, 2, 0
	v_dual_mov_b32 v2, 0xff800000 :: v_dual_mov_b32 v5, v0
	s_mov_b32 s5, 0
	s_waitcnt lgkmcnt(0)
	s_and_b32 s16, s3, 0xffff
	s_delay_alu instid0(SALU_CYCLE_1)
	s_lshl_b32 s17, s16, 2
.LBB152_8:                              ; =>This Inner Loop Header: Depth=1
	ds_load_b32 v6, v1
	v_dual_max_f32 v2, v2, v2 :: v_dual_add_nc_u32 v5, s16, v5
	v_add_nc_u32_e32 v1, s17, v1
	s_delay_alu instid0(VALU_DEP_2) | instskip(NEXT) | instid1(VALU_DEP_1)
	v_cmp_le_i32_e64 s3, s12, v5
	s_or_b32 s5, s3, s5
	s_waitcnt lgkmcnt(0)
	v_max_f32_e32 v6, v6, v6
	s_delay_alu instid0(VALU_DEP_1)
	v_max_f32_e32 v2, v2, v6
	s_and_not1_b32 exec_lo, exec_lo, s5
	s_cbranch_execnz .LBB152_8
; %bb.9:
	s_or_b32 exec_lo, exec_lo, s5
.LBB152_10:
	s_delay_alu instid0(SALU_CYCLE_1)
	s_or_b32 exec_lo, exec_lo, s4
	v_mov_b32_e32 v1, 0
	;;#ASMSTART
	v_max_f32 v5, v2, v2 quad_perm:[1,0,3,2] row_mask:0xf bank_mask:0xf bound_ctrl:1
	;;#ASMEND
	;;#ASMSTART
	v_max_f32 v2, v5, v5 quad_perm:[2,3,0,1] row_mask:0xf bank_mask:0xf bound_ctrl:1
	;;#ASMEND
	;;#ASMSTART
	v_max_f32 v5, v2, v2 row_half_mirror row_mask:0xf bank_mask:0xf bound_ctrl:1
	;;#ASMEND
	;;#ASMSTART
	v_max_f32 v2, v5, v5 row_mirror row_mask:0xf bank_mask:0xf bound_ctrl:1
	;;#ASMEND
	s_and_saveexec_b32 s4, vcc_lo
	s_cbranch_execz .LBB152_14
; %bb.11:
	s_load_b32 s3, s[0:1], 0x44
	s_mov_b32 s5, 0x76543210
	v_lshl_add_u32 v5, v0, 2, 0
	v_permlanex16_b32 v1, v2, s5, 0xfedcba98 op_sel:[1,1]
	v_mov_b32_e32 v6, v0
	s_mov_b32 s5, 0
	s_delay_alu instid0(VALU_DEP_2) | instskip(NEXT) | instid1(VALU_DEP_1)
	v_dual_max_f32 v2, v2, v2 :: v_dual_max_f32 v1, v1, v1
	v_dual_max_f32 v2, v2, v1 :: v_dual_mov_b32 v1, 0
	s_waitcnt lgkmcnt(0)
	s_and_b32 s16, s3, 0xffff
	s_delay_alu instid0(SALU_CYCLE_1)
	s_lshl_b32 s17, s16, 2
	.p2align	6
.LBB152_12:                             ; =>This Inner Loop Header: Depth=1
	ds_load_b32 v7, v5
	s_waitcnt lgkmcnt(0)
	v_sub_f32_e32 v7, v7, v2
	s_delay_alu instid0(VALU_DEP_1) | instskip(NEXT) | instid1(VALU_DEP_1)
	v_mul_f32_e32 v8, 0x3fb8aa3b, v7
	v_cmp_gt_f32_e64 s3, 0xc2fc0000, v8
	s_delay_alu instid0(VALU_DEP_1) | instskip(NEXT) | instid1(VALU_DEP_1)
	v_cndmask_b32_e64 v8, 0, 0x42800000, s3
	v_fmac_f32_e32 v8, 0x3fb8aa3b, v7
	s_delay_alu instid0(VALU_DEP_1) | instskip(SKIP_3) | instid1(VALU_DEP_1)
	v_exp_f32_e32 v7, v8
	v_cndmask_b32_e64 v8, 1.0, 0x1f800000, s3
	s_waitcnt_depctr 0xfff
	v_dual_mul_f32 v9, v7, v8 :: v_dual_add_nc_u32 v6, s16, v6
	v_cmp_le_i32_e64 s3, s12, v6
	v_fmac_f32_e32 v1, v7, v8
	ds_store_b32 v5, v9
	v_add_nc_u32_e32 v5, s17, v5
	s_or_b32 s5, s3, s5
	s_delay_alu instid0(SALU_CYCLE_1)
	s_and_not1_b32 exec_lo, exec_lo, s5
	s_cbranch_execnz .LBB152_12
; %bb.13:
	s_or_b32 exec_lo, exec_lo, s5
.LBB152_14:
	s_delay_alu instid0(SALU_CYCLE_1) | instskip(SKIP_1) | instid1(VALU_DEP_1)
	s_or_b32 exec_lo, exec_lo, s4
	v_mov_b32_dpp v2, v1 quad_perm:[1,0,3,2] row_mask:0xf bank_mask:0xf
	v_add_f32_e32 v1, v1, v2
	s_delay_alu instid0(VALU_DEP_1) | instskip(NEXT) | instid1(VALU_DEP_1)
	v_mov_b32_dpp v2, v1 quad_perm:[2,3,0,1] row_mask:0xf bank_mask:0xf
	v_add_f32_e32 v1, v1, v2
	s_delay_alu instid0(VALU_DEP_1) | instskip(NEXT) | instid1(VALU_DEP_1)
	v_mov_b32_dpp v2, v1 row_xmask:7 row_mask:0xf bank_mask:0xf
	v_add_f32_e32 v1, v1, v2
	s_delay_alu instid0(VALU_DEP_1)
	v_mov_b32_dpp v2, v1 row_xmask:15 row_mask:0xf bank_mask:0xf
	s_and_saveexec_b32 s3, vcc_lo
	s_cbranch_execz .LBB152_19
; %bb.15:
	s_delay_alu instid0(VALU_DEP_1)
	v_add_f32_e32 v1, v1, v2
	s_load_b32 s5, s[0:1], 0x44
	s_mov_b32 s4, 0x76543210
	s_cmp_lg_u64 s[6:7], 0
	v_lshl_add_u32 v6, v0, 2, 0
	v_permlanex16_b32 v2, v1, s4, 0xfedcba98 op_sel:[1,1]
	s_cselect_b32 s4, -1, 0
	s_mov_b32 s16, 0
	s_delay_alu instid0(VALU_DEP_1) | instskip(NEXT) | instid1(VALU_DEP_1)
	v_add_f32_e32 v1, v1, v2
	v_rcp_f32_e32 v5, v1
	v_mov_b32_e32 v1, v0
	s_waitcnt lgkmcnt(0)
	s_and_b32 s5, s5, 0xffff
	s_delay_alu instid0(SALU_CYCLE_1)
	s_lshl_b32 s17, s5, 2
	s_set_inst_prefetch_distance 0x1
	s_branch .LBB152_17
	.p2align	6
.LBB152_16:                             ;   in Loop: Header=BB152_17 Depth=1
	v_add_nc_u32_e32 v1, s5, v1
	v_add_nc_u32_e32 v6, s17, v6
	s_delay_alu instid0(VALU_DEP_2) | instskip(SKIP_1) | instid1(SALU_CYCLE_1)
	v_cmp_le_i32_e32 vcc_lo, s12, v1
	s_or_b32 s16, vcc_lo, s16
	s_and_not1_b32 exec_lo, exec_lo, s16
	s_cbranch_execz .LBB152_19
.LBB152_17:                             ; =>This Inner Loop Header: Depth=1
	ds_load_b32 v2, v6
	s_and_not1_b32 vcc_lo, exec_lo, s4
	s_waitcnt lgkmcnt(0)
	v_mul_f32_e32 v7, v5, v2
	ds_store_b32 v6, v7
	s_cbranch_vccnz .LBB152_16
; %bb.18:                               ;   in Loop: Header=BB152_17 Depth=1
	v_ashrrev_i32_e32 v2, 31, v1
	s_delay_alu instid0(VALU_DEP_1) | instskip(NEXT) | instid1(VALU_DEP_1)
	v_lshlrev_b64 v[8:9], 1, v[1:2]
	v_add_co_u32 v8, vcc_lo, s6, v8
	s_delay_alu instid0(VALU_DEP_2) | instskip(SKIP_3) | instid1(VALU_DEP_1)
	v_add_co_ci_u32_e32 v9, vcc_lo, s7, v9, vcc_lo
	global_load_u16 v2, v[8:9], off
	s_waitcnt vmcnt(0)
	v_cvt_f32_f16_e32 v2, v2
	v_add_f32_e32 v2, v7, v2
	ds_store_b32 v6, v2
	s_branch .LBB152_16
.LBB152_19:
	s_set_inst_prefetch_distance 0x2
	s_or_b32 exec_lo, exec_lo, s3
	s_cmp_lt_i32 s13, 1
	s_waitcnt lgkmcnt(0)
	s_barrier
	buffer_gl0_inv
	s_cbranch_scc1 .LBB152_28
; %bb.20:
	s_add_u32 s4, s0, 56
	s_addc_u32 s5, s1, 0
	v_dual_mov_b32 v5, 0 :: v_dual_mov_b32 v6, 0xff800000
	v_dual_mov_b32 v1, 0 :: v_dual_mov_b32 v2, 0
	s_cmp_lg_u64 s[6:7], 0
	s_mov_b32 s18, 0
	s_cselect_b32 s12, -1, 0
	s_mov_b32 s19, 0x76543210
	s_branch .LBB152_22
.LBB152_21:                             ;   in Loop: Header=BB152_22 Depth=1
	v_cmp_eq_u32_e32 vcc_lo, s18, v0
	s_delay_alu instid0(VALU_DEP_2)
	s_lshl_b32 s3, s16, 2
	s_add_i32 s18, s18, 1
	s_add_i32 s3, s3, 0
	s_cmp_eq_u32 s18, s13
	v_cndmask_b32_e64 v1, v1, s16, vcc_lo
	v_dual_mov_b32 v7, s3 :: v_dual_cndmask_b32 v2, v2, v9
	ds_store_b32 v7, v6
	s_cbranch_scc1 .LBB152_29
.LBB152_22:                             ; =>This Loop Header: Depth=1
                                        ;     Child Loop BB152_24 Depth 2
	v_dual_mov_b32 v7, s18 :: v_dual_mov_b32 v8, 0xff800000
	s_and_saveexec_b32 s16, s2
	s_cbranch_execz .LBB152_26
; %bb.23:                               ;   in Loop: Header=BB152_22 Depth=1
	s_load_b32 s3, s[4:5], 0xc
	v_dual_mov_b32 v7, s18 :: v_dual_mov_b32 v8, 0xff800000
	v_dual_mov_b32 v9, v3 :: v_dual_mov_b32 v10, v4
	v_mov_b32_e32 v11, v0
	s_mov_b32 s21, 0
	s_waitcnt lgkmcnt(0)
	s_and_b32 s17, s3, 0xffff
	s_delay_alu instid0(SALU_CYCLE_1)
	s_lshl_b32 s20, s17, 2
	s_lshl_b32 s22, s17, 4
	.p2align	6
.LBB152_24:                             ;   Parent Loop BB152_22 Depth=1
                                        ; =>  This Inner Loop Header: Depth=2
	ds_load_b128 v[12:15], v9
	v_add_nc_u32_e32 v11, s17, v11
	s_delay_alu instid0(VALU_DEP_1) | instskip(NEXT) | instid1(VALU_DEP_1)
	v_cmp_le_i32_e64 s3, s14, v11
	s_or_b32 s21, s3, s21
	s_waitcnt lgkmcnt(0)
	v_cmp_gt_f32_e32 vcc_lo, v12, v8
	v_dual_cndmask_b32 v8, v8, v12 :: v_dual_cndmask_b32 v7, v7, v10
	s_delay_alu instid0(VALU_DEP_1) | instskip(SKIP_2) | instid1(VALU_DEP_1)
	v_cmp_gt_f32_e32 vcc_lo, v13, v8
	v_dual_cndmask_b32 v8, v8, v13 :: v_dual_add_nc_u32 v13, 2, v10
	v_add_nc_u32_e32 v12, 1, v10
	v_cndmask_b32_e32 v7, v7, v12, vcc_lo
	s_delay_alu instid0(VALU_DEP_3) | instskip(SKIP_1) | instid1(VALU_DEP_3)
	v_cmp_gt_f32_e32 vcc_lo, v14, v8
	v_add_nc_u32_e32 v12, 3, v10
	v_dual_cndmask_b32 v8, v8, v14 :: v_dual_cndmask_b32 v7, v7, v13
	s_delay_alu instid0(VALU_DEP_1) | instskip(SKIP_1) | instid1(VALU_DEP_3)
	v_cmp_gt_f32_e32 vcc_lo, v15, v8
	v_add_nc_u32_e32 v9, s22, v9
	v_dual_cndmask_b32 v7, v7, v12 :: v_dual_add_nc_u32 v10, s20, v10
	v_cndmask_b32_e32 v8, v8, v15, vcc_lo
	s_and_not1_b32 exec_lo, exec_lo, s21
	s_cbranch_execnz .LBB152_24
; %bb.25:                               ;   in Loop: Header=BB152_22 Depth=1
	s_or_b32 exec_lo, exec_lo, s21
.LBB152_26:                             ;   in Loop: Header=BB152_22 Depth=1
	s_delay_alu instid0(SALU_CYCLE_1)
	s_or_b32 exec_lo, exec_lo, s16
	;;#ASMSTART
	v_max_f32 v9, v8, v8 quad_perm:[1,0,3,2] row_mask:0xf bank_mask:0xf bound_ctrl:1
	;;#ASMEND
	;;#ASMSTART
	v_max_f32 v10, v9, v9 quad_perm:[2,3,0,1] row_mask:0xf bank_mask:0xf bound_ctrl:1
	;;#ASMEND
	;;#ASMSTART
	v_max_f32 v9, v10, v10 row_half_mirror row_mask:0xf bank_mask:0xf bound_ctrl:1
	;;#ASMEND
	;;#ASMSTART
	v_max_f32 v10, v9, v9 row_mirror row_mask:0xf bank_mask:0xf bound_ctrl:1
	;;#ASMEND
	v_permlanex16_b32 v9, v10, s19, 0xfedcba98 op_sel:[1,1]
	s_delay_alu instid0(VALU_DEP_1) | instskip(NEXT) | instid1(VALU_DEP_1)
	v_dual_max_f32 v10, v10, v10 :: v_dual_max_f32 v9, v9, v9
	v_max_f32_e32 v9, v10, v9
	s_delay_alu instid0(VALU_DEP_1)
	v_cmp_eq_f32_e32 vcc_lo, v8, v9
	s_ctz_i32_b32 s3, vcc_lo
	s_cmp_lg_u32 vcc_lo, 0
	s_cselect_b32 s3, s3, 0
	s_and_b32 vcc_lo, exec_lo, s12
	v_readlane_b32 s16, v7, s3
	s_cbranch_vccz .LBB152_21
; %bb.27:                               ;   in Loop: Header=BB152_22 Depth=1
	s_delay_alu instid0(VALU_DEP_1) | instskip(NEXT) | instid1(SALU_CYCLE_1)
	s_ashr_i32 s17, s16, 31
	s_lshl_b64 s[20:21], s[16:17], 1
	s_delay_alu instid0(SALU_CYCLE_1) | instskip(SKIP_4) | instid1(VALU_DEP_1)
	s_add_u32 s20, s6, s20
	s_addc_u32 s21, s7, s21
	global_load_u16 v7, v5, s[20:21]
	s_waitcnt vmcnt(0)
	v_cvt_f32_f16_e32 v7, v7
	v_sub_f32_e32 v9, v9, v7
	s_branch .LBB152_21
.LBB152_28:
	v_dual_mov_b32 v2, 0 :: v_dual_mov_b32 v1, 0
.LBB152_29:
	s_mov_b32 s2, exec_lo
	v_cmpx_gt_i32_e64 s13, v0
	s_cbranch_execz .LBB152_32
; %bb.30:
	s_clause 0x2
	s_load_b32 s4, s[0:1], 0x34
	s_load_b64 s[2:3], s[0:1], 0x20
	s_load_b32 s0, s[0:1], 0x44
	s_ashr_i32 s1, s15, 31
	s_waitcnt lgkmcnt(0)
	v_mul_f32_e32 v2, s4, v2
	s_mul_i32 s3, s15, s3
	s_mul_hi_u32 s4, s15, s2
	s_mul_i32 s5, s1, s2
	s_add_i32 s3, s4, s3
	s_mul_i32 s1, s15, s2
	s_and_b32 s2, s0, 0xffff
	s_add_i32 s3, s3, s5
	s_mov_b32 s4, 0
	.p2align	6
.LBB152_31:                             ; =>This Inner Loop Header: Depth=1
	v_ashrrev_i32_e32 v4, 31, v0
	v_add_co_u32 v3, vcc_lo, s1, v0
	v_add_nc_u32_e32 v0, s2, v0
	s_delay_alu instid0(VALU_DEP_3) | instskip(NEXT) | instid1(VALU_DEP_2)
	v_add_co_ci_u32_e32 v4, vcc_lo, s3, v4, vcc_lo
	v_cmp_le_i32_e32 vcc_lo, s13, v0
	s_delay_alu instid0(VALU_DEP_2) | instskip(SKIP_1) | instid1(VALU_DEP_1)
	v_lshlrev_b64 v[3:4], 2, v[3:4]
	s_or_b32 s4, vcc_lo, s4
	v_add_co_u32 v5, s0, s8, v3
	s_delay_alu instid0(VALU_DEP_1) | instskip(SKIP_1) | instid1(VALU_DEP_1)
	v_add_co_ci_u32_e64 v6, s0, s9, v4, s0
	v_add_co_u32 v3, s0, s10, v3
	v_add_co_ci_u32_e64 v4, s0, s11, v4, s0
	global_store_b32 v[5:6], v2, off
	global_store_b32 v[3:4], v1, off
	s_and_not1_b32 exec_lo, exec_lo, s4
	s_cbranch_execnz .LBB152_31
.LBB152_32:
	s_nop 0
	s_sendmsg sendmsg(MSG_DEALLOC_VGPRS)
	s_endpgm
	.section	.rodata,"a",@progbits
	.p2align	6, 0x0
	.amdhsa_kernel _ZN5aiter20topk_softplus_kernelI6__halfS1_Dv4_fLb0ELi2EEEvPKT_PKT0_PfPimiiif
		.amdhsa_group_segment_fixed_size 0
		.amdhsa_private_segment_fixed_size 0
		.amdhsa_kernarg_size 312
		.amdhsa_user_sgpr_count 15
		.amdhsa_user_sgpr_dispatch_ptr 0
		.amdhsa_user_sgpr_queue_ptr 0
		.amdhsa_user_sgpr_kernarg_segment_ptr 1
		.amdhsa_user_sgpr_dispatch_id 0
		.amdhsa_user_sgpr_private_segment_size 0
		.amdhsa_wavefront_size32 1
		.amdhsa_uses_dynamic_stack 0
		.amdhsa_enable_private_segment 0
		.amdhsa_system_sgpr_workgroup_id_x 1
		.amdhsa_system_sgpr_workgroup_id_y 0
		.amdhsa_system_sgpr_workgroup_id_z 0
		.amdhsa_system_sgpr_workgroup_info 0
		.amdhsa_system_vgpr_workitem_id 0
		.amdhsa_next_free_vgpr 16
		.amdhsa_next_free_sgpr 23
		.amdhsa_reserve_vcc 1
		.amdhsa_float_round_mode_32 0
		.amdhsa_float_round_mode_16_64 0
		.amdhsa_float_denorm_mode_32 3
		.amdhsa_float_denorm_mode_16_64 3
		.amdhsa_dx10_clamp 1
		.amdhsa_ieee_mode 1
		.amdhsa_fp16_overflow 0
		.amdhsa_workgroup_processor_mode 1
		.amdhsa_memory_ordered 1
		.amdhsa_forward_progress 0
		.amdhsa_shared_vgpr_count 0
		.amdhsa_exception_fp_ieee_invalid_op 0
		.amdhsa_exception_fp_denorm_src 0
		.amdhsa_exception_fp_ieee_div_zero 0
		.amdhsa_exception_fp_ieee_overflow 0
		.amdhsa_exception_fp_ieee_underflow 0
		.amdhsa_exception_fp_ieee_inexact 0
		.amdhsa_exception_int_div_zero 0
	.end_amdhsa_kernel
	.section	.text._ZN5aiter20topk_softplus_kernelI6__halfS1_Dv4_fLb0ELi2EEEvPKT_PKT0_PfPimiiif,"axG",@progbits,_ZN5aiter20topk_softplus_kernelI6__halfS1_Dv4_fLb0ELi2EEEvPKT_PKT0_PfPimiiif,comdat
.Lfunc_end152:
	.size	_ZN5aiter20topk_softplus_kernelI6__halfS1_Dv4_fLb0ELi2EEEvPKT_PKT0_PfPimiiif, .Lfunc_end152-_ZN5aiter20topk_softplus_kernelI6__halfS1_Dv4_fLb0ELi2EEEvPKT_PKT0_PfPimiiif
                                        ; -- End function
	.section	.AMDGPU.csdata,"",@progbits
; Kernel info:
; codeLenInByte = 1960
; NumSgprs: 25
; NumVgprs: 16
; ScratchSize: 0
; MemoryBound: 0
; FloatMode: 240
; IeeeMode: 1
; LDSByteSize: 0 bytes/workgroup (compile time only)
; SGPRBlocks: 3
; VGPRBlocks: 1
; NumSGPRsForWavesPerEU: 25
; NumVGPRsForWavesPerEU: 16
; Occupancy: 16
; WaveLimiterHint : 0
; COMPUTE_PGM_RSRC2:SCRATCH_EN: 0
; COMPUTE_PGM_RSRC2:USER_SGPR: 15
; COMPUTE_PGM_RSRC2:TRAP_HANDLER: 0
; COMPUTE_PGM_RSRC2:TGID_X_EN: 1
; COMPUTE_PGM_RSRC2:TGID_Y_EN: 0
; COMPUTE_PGM_RSRC2:TGID_Z_EN: 0
; COMPUTE_PGM_RSRC2:TIDIG_COMP_CNT: 0
	.section	.text._ZN5aiter20topk_softplus_kernelI6__halfS1_Dv2_fLb1ELi2EEEvPKT_PKT0_PfPimiiif,"axG",@progbits,_ZN5aiter20topk_softplus_kernelI6__halfS1_Dv2_fLb1ELi2EEEvPKT_PKT0_PfPimiiif,comdat
	.protected	_ZN5aiter20topk_softplus_kernelI6__halfS1_Dv2_fLb1ELi2EEEvPKT_PKT0_PfPimiiif ; -- Begin function _ZN5aiter20topk_softplus_kernelI6__halfS1_Dv2_fLb1ELi2EEEvPKT_PKT0_PfPimiiif
	.globl	_ZN5aiter20topk_softplus_kernelI6__halfS1_Dv2_fLb1ELi2EEEvPKT_PKT0_PfPimiiif
	.p2align	8
	.type	_ZN5aiter20topk_softplus_kernelI6__halfS1_Dv2_fLb1ELi2EEEvPKT_PKT0_PfPimiiif,@function
_ZN5aiter20topk_softplus_kernelI6__halfS1_Dv2_fLb1ELi2EEEvPKT_PKT0_PfPimiiif: ; @_ZN5aiter20topk_softplus_kernelI6__halfS1_Dv2_fLb1ELi2EEEvPKT_PKT0_PfPimiiif
; %bb.0:
	s_clause 0x1
	s_load_b64 s[12:13], s[0:1], 0x28
	s_load_b256 s[4:11], s[0:1], 0x0
	v_lshl_add_u32 v3, v0, 3, 0
	s_waitcnt lgkmcnt(0)
	s_lshr_b32 s2, s12, 31
	s_mul_i32 s16, s15, s12
	s_add_i32 s2, s12, s2
	s_ashr_i32 s17, s16, 31
	s_ashr_i32 s14, s2, 1
	s_delay_alu instid0(SALU_CYCLE_1) | instskip(NEXT) | instid1(VALU_DEP_1)
	v_cmp_gt_i32_e64 s2, s14, v0
	s_and_saveexec_b32 s18, s2
	s_cbranch_execz .LBB153_3
; %bb.1:
	s_load_b32 s3, s[0:1], 0x44
	v_lshlrev_b32_e32 v1, 2, v0
	s_lshl_b64 s[20:21], s[16:17], 1
	v_lshl_add_u32 v4, v0, 3, 0
	v_mov_b32_e32 v5, v0
	s_waitcnt lgkmcnt(0)
	s_and_b32 s19, s3, 0xffff
	s_add_u32 s3, s4, s20
	s_addc_u32 s20, s5, s21
	v_add_co_u32 v1, s3, s3, v1
	s_delay_alu instid0(VALU_DEP_1)
	v_add_co_ci_u32_e64 v2, null, s20, 0, s3
	s_mov_b32 s20, 0
	s_lshl_b32 s21, s19, 2
	s_lshl_b32 s22, s19, 3
	.p2align	6
.LBB153_2:                              ; =>This Inner Loop Header: Depth=1
	global_load_b32 v6, v[1:2], off
	v_add_nc_u32_e32 v5, s19, v5
	v_add_co_u32 v1, vcc_lo, v1, s21
	v_add_co_ci_u32_e32 v2, vcc_lo, 0, v2, vcc_lo
	s_delay_alu instid0(VALU_DEP_3) | instskip(NEXT) | instid1(VALU_DEP_1)
	v_cmp_le_i32_e64 s3, s14, v5
	s_or_b32 s20, s3, s20
	s_waitcnt vmcnt(0)
	v_lshrrev_b32_e32 v7, 16, v6
	v_cvt_f32_f16_e32 v6, v6
	s_delay_alu instid0(VALU_DEP_2)
	v_cvt_f32_f16_e32 v7, v7
	ds_store_b64 v4, v[6:7]
	v_add_nc_u32_e32 v4, s22, v4
	s_and_not1_b32 exec_lo, exec_lo, s20
	s_cbranch_execnz .LBB153_2
.LBB153_3:
	s_or_b32 exec_lo, exec_lo, s18
	v_lshl_add_u32 v1, s14, 1, v0
	s_mov_b32 s3, exec_lo
	s_delay_alu instid0(VALU_DEP_1)
	v_cmpx_gt_i32_e64 s12, v1
	s_cbranch_execz .LBB153_6
; %bb.4:
	s_load_b32 s18, s[0:1], 0x44
	s_lshl_b64 s[16:17], s[16:17], 1
	v_lshlrev_b32_e32 v2, 2, v0
	s_add_u32 s4, s4, s16
	s_addc_u32 s5, s5, s17
	s_lshl_b32 s16, s14, 3
	s_mov_b32 s17, 0
	v_add3_u32 v4, 0, s16, v2
	s_waitcnt lgkmcnt(0)
	s_and_b32 s16, s18, 0xffff
	s_delay_alu instid0(SALU_CYCLE_1)
	s_lshl_b32 s18, s16, 2
	.p2align	6
.LBB153_5:                              ; =>This Inner Loop Header: Depth=1
	v_ashrrev_i32_e32 v2, 31, v1
	s_delay_alu instid0(VALU_DEP_1) | instskip(SKIP_1) | instid1(VALU_DEP_2)
	v_lshlrev_b64 v[5:6], 1, v[1:2]
	v_add_nc_u32_e32 v1, s16, v1
	v_add_co_u32 v5, vcc_lo, s4, v5
	s_delay_alu instid0(VALU_DEP_3) | instskip(NEXT) | instid1(VALU_DEP_3)
	v_add_co_ci_u32_e32 v6, vcc_lo, s5, v6, vcc_lo
	v_cmp_le_i32_e32 vcc_lo, s12, v1
	global_load_u16 v2, v[5:6], off
	s_or_b32 s17, vcc_lo, s17
	s_waitcnt vmcnt(0)
	v_cvt_f32_f16_e32 v2, v2
	ds_store_b32 v4, v2
	v_add_nc_u32_e32 v4, s18, v4
	s_and_not1_b32 exec_lo, exec_lo, s17
	s_cbranch_execnz .LBB153_5
.LBB153_6:
	s_or_b32 exec_lo, exec_lo, s3
	v_cmp_gt_i32_e32 vcc_lo, s12, v0
	v_mov_b32_e32 v2, 0xff800000
	s_waitcnt lgkmcnt(0)
	s_barrier
	buffer_gl0_inv
	s_and_saveexec_b32 s4, vcc_lo
	s_cbranch_execz .LBB153_10
; %bb.7:
	s_load_b32 s3, s[0:1], 0x44
	v_lshl_add_u32 v1, v0, 2, 0
	v_mov_b32_e32 v2, 0xff800000
	v_mov_b32_e32 v4, v0
	s_mov_b32 s5, 0
	s_waitcnt lgkmcnt(0)
	s_and_b32 s16, s3, 0xffff
	s_delay_alu instid0(SALU_CYCLE_1)
	s_lshl_b32 s17, s16, 2
.LBB153_8:                              ; =>This Inner Loop Header: Depth=1
	ds_load_b32 v5, v1
	v_add_nc_u32_e32 v4, s16, v4
	v_dual_max_f32 v2, v2, v2 :: v_dual_add_nc_u32 v1, s17, v1
	s_waitcnt lgkmcnt(0)
	v_max_f32_e32 v5, v5, v5
	s_delay_alu instid0(VALU_DEP_3) | instskip(NEXT) | instid1(VALU_DEP_2)
	v_cmp_le_i32_e64 s3, s12, v4
	v_max_f32_e32 v2, v2, v5
	s_delay_alu instid0(VALU_DEP_2) | instskip(NEXT) | instid1(SALU_CYCLE_1)
	s_or_b32 s5, s3, s5
	s_and_not1_b32 exec_lo, exec_lo, s5
	s_cbranch_execnz .LBB153_8
; %bb.9:
	s_or_b32 exec_lo, exec_lo, s5
.LBB153_10:
	s_delay_alu instid0(SALU_CYCLE_1)
	s_or_b32 exec_lo, exec_lo, s4
	v_mov_b32_e32 v1, 0
	;;#ASMSTART
	v_max_f32 v4, v2, v2 quad_perm:[1,0,3,2] row_mask:0xf bank_mask:0xf bound_ctrl:1
	;;#ASMEND
	;;#ASMSTART
	v_max_f32 v2, v4, v4 quad_perm:[2,3,0,1] row_mask:0xf bank_mask:0xf bound_ctrl:1
	;;#ASMEND
	;;#ASMSTART
	v_max_f32 v4, v2, v2 row_half_mirror row_mask:0xf bank_mask:0xf bound_ctrl:1
	;;#ASMEND
	;;#ASMSTART
	v_max_f32 v2, v4, v4 row_mirror row_mask:0xf bank_mask:0xf bound_ctrl:1
	;;#ASMEND
	s_and_saveexec_b32 s4, vcc_lo
	s_cbranch_execz .LBB153_14
; %bb.11:
	s_load_b32 s3, s[0:1], 0x44
	s_mov_b32 s5, 0x76543210
	v_lshl_add_u32 v4, v0, 2, 0
	v_permlanex16_b32 v1, v2, s5, 0xfedcba98 op_sel:[1,1]
	v_mov_b32_e32 v5, v0
	s_mov_b32 s5, 0
	s_delay_alu instid0(VALU_DEP_2) | instskip(NEXT) | instid1(VALU_DEP_1)
	v_dual_max_f32 v2, v2, v2 :: v_dual_max_f32 v1, v1, v1
	v_dual_max_f32 v2, v2, v1 :: v_dual_mov_b32 v1, 0
	s_waitcnt lgkmcnt(0)
	s_and_b32 s16, s3, 0xffff
	s_delay_alu instid0(SALU_CYCLE_1)
	s_lshl_b32 s17, s16, 2
	.p2align	6
.LBB153_12:                             ; =>This Inner Loop Header: Depth=1
	ds_load_b32 v6, v4
	s_waitcnt lgkmcnt(0)
	v_dual_sub_f32 v6, v6, v2 :: v_dual_add_nc_u32 v5, s16, v5
	s_delay_alu instid0(VALU_DEP_1) | instskip(NEXT) | instid1(VALU_DEP_1)
	v_mul_f32_e32 v7, 0x3fb8aa3b, v6
	v_cmp_gt_f32_e64 s3, 0xc2fc0000, v7
	s_delay_alu instid0(VALU_DEP_1) | instskip(NEXT) | instid1(VALU_DEP_1)
	v_cndmask_b32_e64 v7, 0, 0x42800000, s3
	v_fmac_f32_e32 v7, 0x3fb8aa3b, v6
	s_delay_alu instid0(VALU_DEP_1) | instskip(SKIP_2) | instid1(VALU_DEP_1)
	v_exp_f32_e32 v6, v7
	v_cndmask_b32_e64 v7, 1.0, 0x1f800000, s3
	v_cmp_le_i32_e64 s3, s12, v5
	s_or_b32 s5, s3, s5
	s_waitcnt_depctr 0xfff
	v_mul_f32_e32 v8, v6, v7
	v_fmac_f32_e32 v1, v6, v7
	ds_store_b32 v4, v8
	v_add_nc_u32_e32 v4, s17, v4
	s_and_not1_b32 exec_lo, exec_lo, s5
	s_cbranch_execnz .LBB153_12
; %bb.13:
	s_or_b32 exec_lo, exec_lo, s5
.LBB153_14:
	s_delay_alu instid0(SALU_CYCLE_1) | instskip(SKIP_1) | instid1(VALU_DEP_1)
	s_or_b32 exec_lo, exec_lo, s4
	v_mov_b32_dpp v2, v1 quad_perm:[1,0,3,2] row_mask:0xf bank_mask:0xf
	v_add_f32_e32 v1, v1, v2
	s_delay_alu instid0(VALU_DEP_1) | instskip(NEXT) | instid1(VALU_DEP_1)
	v_mov_b32_dpp v2, v1 quad_perm:[2,3,0,1] row_mask:0xf bank_mask:0xf
	v_add_f32_e32 v1, v1, v2
	s_delay_alu instid0(VALU_DEP_1) | instskip(NEXT) | instid1(VALU_DEP_1)
	v_mov_b32_dpp v2, v1 row_xmask:7 row_mask:0xf bank_mask:0xf
	v_add_f32_e32 v1, v1, v2
	s_delay_alu instid0(VALU_DEP_1)
	v_mov_b32_dpp v2, v1 row_xmask:15 row_mask:0xf bank_mask:0xf
	s_and_saveexec_b32 s3, vcc_lo
	s_cbranch_execz .LBB153_19
; %bb.15:
	s_delay_alu instid0(VALU_DEP_1)
	v_add_f32_e32 v1, v1, v2
	s_load_b32 s5, s[0:1], 0x44
	s_mov_b32 s4, 0x76543210
	s_cmp_lg_u64 s[6:7], 0
	v_lshl_add_u32 v5, v0, 2, 0
	v_permlanex16_b32 v2, v1, s4, 0xfedcba98 op_sel:[1,1]
	s_cselect_b32 s4, -1, 0
	s_mov_b32 s16, 0
	s_delay_alu instid0(VALU_DEP_1) | instskip(NEXT) | instid1(VALU_DEP_1)
	v_add_f32_e32 v1, v1, v2
	v_rcp_f32_e32 v4, v1
	v_mov_b32_e32 v1, v0
	s_waitcnt lgkmcnt(0)
	s_and_b32 s5, s5, 0xffff
	s_delay_alu instid0(SALU_CYCLE_1)
	s_lshl_b32 s17, s5, 2
	s_set_inst_prefetch_distance 0x1
	s_branch .LBB153_17
	.p2align	6
.LBB153_16:                             ;   in Loop: Header=BB153_17 Depth=1
	v_add_nc_u32_e32 v1, s5, v1
	v_add_nc_u32_e32 v5, s17, v5
	s_delay_alu instid0(VALU_DEP_2) | instskip(SKIP_1) | instid1(SALU_CYCLE_1)
	v_cmp_le_i32_e32 vcc_lo, s12, v1
	s_or_b32 s16, vcc_lo, s16
	s_and_not1_b32 exec_lo, exec_lo, s16
	s_cbranch_execz .LBB153_19
.LBB153_17:                             ; =>This Inner Loop Header: Depth=1
	ds_load_b32 v2, v5
	s_and_not1_b32 vcc_lo, exec_lo, s4
	s_waitcnt lgkmcnt(0)
	v_mul_f32_e32 v6, v4, v2
	ds_store_b32 v5, v6
	s_cbranch_vccnz .LBB153_16
; %bb.18:                               ;   in Loop: Header=BB153_17 Depth=1
	v_ashrrev_i32_e32 v2, 31, v1
	s_delay_alu instid0(VALU_DEP_1) | instskip(NEXT) | instid1(VALU_DEP_1)
	v_lshlrev_b64 v[7:8], 1, v[1:2]
	v_add_co_u32 v7, vcc_lo, s6, v7
	s_delay_alu instid0(VALU_DEP_2) | instskip(SKIP_3) | instid1(VALU_DEP_1)
	v_add_co_ci_u32_e32 v8, vcc_lo, s7, v8, vcc_lo
	global_load_u16 v2, v[7:8], off
	s_waitcnt vmcnt(0)
	v_cvt_f32_f16_e32 v2, v2
	v_add_f32_e32 v2, v6, v2
	ds_store_b32 v5, v2
	s_branch .LBB153_16
.LBB153_19:
	s_set_inst_prefetch_distance 0x2
	s_or_b32 exec_lo, exec_lo, s3
	v_mov_b32_e32 v2, 0
	s_cmp_lt_i32 s13, 1
	s_waitcnt lgkmcnt(0)
	s_barrier
	buffer_gl0_inv
	s_cbranch_scc1 .LBB153_28
; %bb.20:
	s_add_u32 s4, s0, 56
	s_addc_u32 s5, s1, 0
	v_dual_mov_b32 v2, 0 :: v_dual_lshlrev_b32 v5, 1, v0
	v_dual_mov_b32 v6, 0 :: v_dual_mov_b32 v7, 0xff800000
	v_dual_mov_b32 v1, 0 :: v_dual_mov_b32 v4, 0
	s_cmp_lg_u64 s[6:7], 0
	s_mov_b32 s18, 0
	s_cselect_b32 s12, -1, 0
	s_mov_b32 s19, 0x76543210
	s_branch .LBB153_22
.LBB153_21:                             ;   in Loop: Header=BB153_22 Depth=1
	v_cmp_eq_u32_e32 vcc_lo, s18, v0
	s_delay_alu instid0(VALU_DEP_2) | instskip(NEXT) | instid1(VALU_DEP_2)
	s_lshl_b32 s3, s16, 2
	v_add_f32_e32 v4, v4, v10
	s_add_i32 s3, s3, 0
	s_add_i32 s18, s18, 1
	v_cndmask_b32_e64 v1, v1, s16, vcc_lo
	v_mov_b32_e32 v8, s3
	v_cndmask_b32_e32 v2, v2, v10, vcc_lo
	s_cmp_eq_u32 s18, s13
	ds_store_b32 v8, v7
	s_cbranch_scc1 .LBB153_29
.LBB153_22:                             ; =>This Loop Header: Depth=1
                                        ;     Child Loop BB153_24 Depth 2
	v_dual_mov_b32 v8, s18 :: v_dual_mov_b32 v9, 0xff800000
	s_and_saveexec_b32 s16, s2
	s_cbranch_execz .LBB153_26
; %bb.23:                               ;   in Loop: Header=BB153_22 Depth=1
	s_load_b32 s3, s[4:5], 0xc
	v_dual_mov_b32 v8, s18 :: v_dual_mov_b32 v9, 0xff800000
	v_dual_mov_b32 v10, v3 :: v_dual_mov_b32 v11, v5
	v_mov_b32_e32 v12, v0
	s_mov_b32 s21, 0
	s_waitcnt lgkmcnt(0)
	s_and_b32 s17, s3, 0xffff
	s_delay_alu instid0(SALU_CYCLE_1)
	s_lshl_b32 s20, s17, 1
	s_lshl_b32 s22, s17, 3
	.p2align	6
.LBB153_24:                             ;   Parent Loop BB153_22 Depth=1
                                        ; =>  This Inner Loop Header: Depth=2
	ds_load_b64 v[13:14], v10
	v_add_nc_u32_e32 v10, s22, v10
	v_add_nc_u32_e32 v12, s17, v12
	s_delay_alu instid0(VALU_DEP_1) | instskip(NEXT) | instid1(VALU_DEP_1)
	v_cmp_le_i32_e64 s3, s14, v12
	s_or_b32 s21, s3, s21
	s_waitcnt lgkmcnt(0)
	v_cmp_gt_f32_e32 vcc_lo, v13, v9
	v_cndmask_b32_e32 v9, v9, v13, vcc_lo
	v_add_nc_u32_e32 v13, 1, v11
	v_cndmask_b32_e32 v8, v8, v11, vcc_lo
	s_delay_alu instid0(VALU_DEP_3) | instskip(SKIP_1) | instid1(VALU_DEP_3)
	v_cmp_gt_f32_e32 vcc_lo, v14, v9
	v_cndmask_b32_e32 v9, v9, v14, vcc_lo
	v_dual_cndmask_b32 v8, v8, v13 :: v_dual_add_nc_u32 v11, s20, v11
	s_and_not1_b32 exec_lo, exec_lo, s21
	s_cbranch_execnz .LBB153_24
; %bb.25:                               ;   in Loop: Header=BB153_22 Depth=1
	s_or_b32 exec_lo, exec_lo, s21
.LBB153_26:                             ;   in Loop: Header=BB153_22 Depth=1
	s_delay_alu instid0(SALU_CYCLE_1)
	s_or_b32 exec_lo, exec_lo, s16
	;;#ASMSTART
	v_max_f32 v10, v9, v9 quad_perm:[1,0,3,2] row_mask:0xf bank_mask:0xf bound_ctrl:1
	;;#ASMEND
	;;#ASMSTART
	v_max_f32 v11, v10, v10 quad_perm:[2,3,0,1] row_mask:0xf bank_mask:0xf bound_ctrl:1
	;;#ASMEND
	;;#ASMSTART
	v_max_f32 v10, v11, v11 row_half_mirror row_mask:0xf bank_mask:0xf bound_ctrl:1
	;;#ASMEND
	;;#ASMSTART
	v_max_f32 v11, v10, v10 row_mirror row_mask:0xf bank_mask:0xf bound_ctrl:1
	;;#ASMEND
	v_permlanex16_b32 v10, v11, s19, 0xfedcba98 op_sel:[1,1]
	s_delay_alu instid0(VALU_DEP_1) | instskip(NEXT) | instid1(VALU_DEP_1)
	v_dual_max_f32 v11, v11, v11 :: v_dual_max_f32 v10, v10, v10
	v_max_f32_e32 v10, v11, v10
	s_delay_alu instid0(VALU_DEP_1)
	v_cmp_eq_f32_e32 vcc_lo, v9, v10
	s_ctz_i32_b32 s3, vcc_lo
	s_cmp_lg_u32 vcc_lo, 0
	s_cselect_b32 s3, s3, 0
	s_and_b32 vcc_lo, exec_lo, s12
	v_readlane_b32 s16, v8, s3
	s_cbranch_vccz .LBB153_21
; %bb.27:                               ;   in Loop: Header=BB153_22 Depth=1
	s_delay_alu instid0(VALU_DEP_1) | instskip(NEXT) | instid1(SALU_CYCLE_1)
	s_ashr_i32 s17, s16, 31
	s_lshl_b64 s[20:21], s[16:17], 1
	s_delay_alu instid0(SALU_CYCLE_1) | instskip(SKIP_4) | instid1(VALU_DEP_1)
	s_add_u32 s20, s6, s20
	s_addc_u32 s21, s7, s21
	global_load_u16 v8, v6, s[20:21]
	s_waitcnt vmcnt(0)
	v_cvt_f32_f16_e32 v8, v8
	v_sub_f32_e32 v10, v10, v8
	s_branch .LBB153_21
.LBB153_28:
	v_dual_mov_b32 v1, 0 :: v_dual_mov_b32 v4, 0
.LBB153_29:
	s_mov_b32 s2, exec_lo
	v_cmpx_gt_i32_e64 s13, v0
	s_cbranch_execz .LBB153_32
; %bb.30:
	s_clause 0x1
	s_load_b32 s2, s[0:1], 0x34
	s_load_b32 s3, s[0:1], 0x44
	v_max_f32_e32 v3, v4, v4
	s_load_b64 s[0:1], s[0:1], 0x20
	s_ashr_i32 s4, s15, 31
	s_delay_alu instid0(VALU_DEP_1) | instskip(SKIP_1) | instid1(VALU_DEP_1)
	v_max_f32_e32 v3, 0x1e3ce508, v3
	s_waitcnt lgkmcnt(0)
	v_div_scale_f32 v4, null, v3, v3, s2
	v_div_scale_f32 v7, vcc_lo, s2, v3, s2
	s_mul_i32 s1, s15, s1
	s_delay_alu instid0(VALU_DEP_2) | instskip(SKIP_4) | instid1(VALU_DEP_1)
	v_rcp_f32_e32 v5, v4
	s_mul_i32 s4, s4, s0
	s_and_b32 s3, s3, 0xffff
	s_waitcnt_depctr 0xfff
	v_fma_f32 v6, -v4, v5, 1.0
	v_fmac_f32_e32 v5, v6, v5
	s_delay_alu instid0(VALU_DEP_1) | instskip(NEXT) | instid1(VALU_DEP_1)
	v_mul_f32_e32 v6, v7, v5
	v_fma_f32 v8, -v4, v6, v7
	s_delay_alu instid0(VALU_DEP_1) | instskip(NEXT) | instid1(VALU_DEP_1)
	v_fmac_f32_e32 v6, v8, v5
	v_fma_f32 v4, -v4, v6, v7
	s_delay_alu instid0(VALU_DEP_1) | instskip(NEXT) | instid1(VALU_DEP_1)
	v_div_fmas_f32 v4, v4, v5, v6
	v_div_fixup_f32 v3, v4, v3, s2
	s_mul_hi_u32 s2, s15, s0
	s_delay_alu instid0(SALU_CYCLE_1) | instskip(SKIP_1) | instid1(VALU_DEP_1)
	s_add_i32 s1, s2, s1
	s_mul_i32 s2, s15, s0
	v_mul_f32_e32 v2, v2, v3
	s_add_i32 s1, s1, s4
	s_mov_b32 s4, 0
	.p2align	6
.LBB153_31:                             ; =>This Inner Loop Header: Depth=1
	v_ashrrev_i32_e32 v4, 31, v0
	v_add_co_u32 v3, vcc_lo, s2, v0
	v_add_nc_u32_e32 v0, s3, v0
	s_delay_alu instid0(VALU_DEP_3) | instskip(NEXT) | instid1(VALU_DEP_2)
	v_add_co_ci_u32_e32 v4, vcc_lo, s1, v4, vcc_lo
	v_cmp_le_i32_e32 vcc_lo, s13, v0
	s_delay_alu instid0(VALU_DEP_2) | instskip(SKIP_1) | instid1(VALU_DEP_1)
	v_lshlrev_b64 v[3:4], 2, v[3:4]
	s_or_b32 s4, vcc_lo, s4
	v_add_co_u32 v5, s0, s8, v3
	s_delay_alu instid0(VALU_DEP_1) | instskip(SKIP_1) | instid1(VALU_DEP_1)
	v_add_co_ci_u32_e64 v6, s0, s9, v4, s0
	v_add_co_u32 v3, s0, s10, v3
	v_add_co_ci_u32_e64 v4, s0, s11, v4, s0
	global_store_b32 v[5:6], v2, off
	global_store_b32 v[3:4], v1, off
	s_and_not1_b32 exec_lo, exec_lo, s4
	s_cbranch_execnz .LBB153_31
.LBB153_32:
	s_nop 0
	s_sendmsg sendmsg(MSG_DEALLOC_VGPRS)
	s_endpgm
	.section	.rodata,"a",@progbits
	.p2align	6, 0x0
	.amdhsa_kernel _ZN5aiter20topk_softplus_kernelI6__halfS1_Dv2_fLb1ELi2EEEvPKT_PKT0_PfPimiiif
		.amdhsa_group_segment_fixed_size 0
		.amdhsa_private_segment_fixed_size 0
		.amdhsa_kernarg_size 312
		.amdhsa_user_sgpr_count 15
		.amdhsa_user_sgpr_dispatch_ptr 0
		.amdhsa_user_sgpr_queue_ptr 0
		.amdhsa_user_sgpr_kernarg_segment_ptr 1
		.amdhsa_user_sgpr_dispatch_id 0
		.amdhsa_user_sgpr_private_segment_size 0
		.amdhsa_wavefront_size32 1
		.amdhsa_uses_dynamic_stack 0
		.amdhsa_enable_private_segment 0
		.amdhsa_system_sgpr_workgroup_id_x 1
		.amdhsa_system_sgpr_workgroup_id_y 0
		.amdhsa_system_sgpr_workgroup_id_z 0
		.amdhsa_system_sgpr_workgroup_info 0
		.amdhsa_system_vgpr_workitem_id 0
		.amdhsa_next_free_vgpr 15
		.amdhsa_next_free_sgpr 23
		.amdhsa_reserve_vcc 1
		.amdhsa_float_round_mode_32 0
		.amdhsa_float_round_mode_16_64 0
		.amdhsa_float_denorm_mode_32 3
		.amdhsa_float_denorm_mode_16_64 3
		.amdhsa_dx10_clamp 1
		.amdhsa_ieee_mode 1
		.amdhsa_fp16_overflow 0
		.amdhsa_workgroup_processor_mode 1
		.amdhsa_memory_ordered 1
		.amdhsa_forward_progress 0
		.amdhsa_shared_vgpr_count 0
		.amdhsa_exception_fp_ieee_invalid_op 0
		.amdhsa_exception_fp_denorm_src 0
		.amdhsa_exception_fp_ieee_div_zero 0
		.amdhsa_exception_fp_ieee_overflow 0
		.amdhsa_exception_fp_ieee_underflow 0
		.amdhsa_exception_fp_ieee_inexact 0
		.amdhsa_exception_int_div_zero 0
	.end_amdhsa_kernel
	.section	.text._ZN5aiter20topk_softplus_kernelI6__halfS1_Dv2_fLb1ELi2EEEvPKT_PKT0_PfPimiiif,"axG",@progbits,_ZN5aiter20topk_softplus_kernelI6__halfS1_Dv2_fLb1ELi2EEEvPKT_PKT0_PfPimiiif,comdat
.Lfunc_end153:
	.size	_ZN5aiter20topk_softplus_kernelI6__halfS1_Dv2_fLb1ELi2EEEvPKT_PKT0_PfPimiiif, .Lfunc_end153-_ZN5aiter20topk_softplus_kernelI6__halfS1_Dv2_fLb1ELi2EEEvPKT_PKT0_PfPimiiif
                                        ; -- End function
	.section	.AMDGPU.csdata,"",@progbits
; Kernel info:
; codeLenInByte = 2020
; NumSgprs: 25
; NumVgprs: 15
; ScratchSize: 0
; MemoryBound: 0
; FloatMode: 240
; IeeeMode: 1
; LDSByteSize: 0 bytes/workgroup (compile time only)
; SGPRBlocks: 3
; VGPRBlocks: 1
; NumSGPRsForWavesPerEU: 25
; NumVGPRsForWavesPerEU: 15
; Occupancy: 16
; WaveLimiterHint : 0
; COMPUTE_PGM_RSRC2:SCRATCH_EN: 0
; COMPUTE_PGM_RSRC2:USER_SGPR: 15
; COMPUTE_PGM_RSRC2:TRAP_HANDLER: 0
; COMPUTE_PGM_RSRC2:TGID_X_EN: 1
; COMPUTE_PGM_RSRC2:TGID_Y_EN: 0
; COMPUTE_PGM_RSRC2:TGID_Z_EN: 0
; COMPUTE_PGM_RSRC2:TIDIG_COMP_CNT: 0
	.section	.text._ZN5aiter20topk_softplus_kernelI6__halfS1_Dv2_fLb0ELi2EEEvPKT_PKT0_PfPimiiif,"axG",@progbits,_ZN5aiter20topk_softplus_kernelI6__halfS1_Dv2_fLb0ELi2EEEvPKT_PKT0_PfPimiiif,comdat
	.protected	_ZN5aiter20topk_softplus_kernelI6__halfS1_Dv2_fLb0ELi2EEEvPKT_PKT0_PfPimiiif ; -- Begin function _ZN5aiter20topk_softplus_kernelI6__halfS1_Dv2_fLb0ELi2EEEvPKT_PKT0_PfPimiiif
	.globl	_ZN5aiter20topk_softplus_kernelI6__halfS1_Dv2_fLb0ELi2EEEvPKT_PKT0_PfPimiiif
	.p2align	8
	.type	_ZN5aiter20topk_softplus_kernelI6__halfS1_Dv2_fLb0ELi2EEEvPKT_PKT0_PfPimiiif,@function
_ZN5aiter20topk_softplus_kernelI6__halfS1_Dv2_fLb0ELi2EEEvPKT_PKT0_PfPimiiif: ; @_ZN5aiter20topk_softplus_kernelI6__halfS1_Dv2_fLb0ELi2EEEvPKT_PKT0_PfPimiiif
; %bb.0:
	s_clause 0x1
	s_load_b64 s[12:13], s[0:1], 0x28
	s_load_b256 s[4:11], s[0:1], 0x0
	v_lshl_add_u32 v3, v0, 3, 0
	s_waitcnt lgkmcnt(0)
	s_lshr_b32 s2, s12, 31
	s_mul_i32 s16, s15, s12
	s_add_i32 s2, s12, s2
	s_ashr_i32 s17, s16, 31
	s_ashr_i32 s14, s2, 1
	s_delay_alu instid0(SALU_CYCLE_1) | instskip(NEXT) | instid1(VALU_DEP_1)
	v_cmp_gt_i32_e64 s2, s14, v0
	s_and_saveexec_b32 s18, s2
	s_cbranch_execz .LBB154_3
; %bb.1:
	s_load_b32 s3, s[0:1], 0x44
	v_lshlrev_b32_e32 v1, 2, v0
	s_lshl_b64 s[20:21], s[16:17], 1
	v_lshl_add_u32 v4, v0, 3, 0
	v_mov_b32_e32 v5, v0
	s_waitcnt lgkmcnt(0)
	s_and_b32 s19, s3, 0xffff
	s_add_u32 s3, s4, s20
	s_addc_u32 s20, s5, s21
	v_add_co_u32 v1, s3, s3, v1
	s_delay_alu instid0(VALU_DEP_1)
	v_add_co_ci_u32_e64 v2, null, s20, 0, s3
	s_mov_b32 s20, 0
	s_lshl_b32 s21, s19, 2
	s_lshl_b32 s22, s19, 3
	.p2align	6
.LBB154_2:                              ; =>This Inner Loop Header: Depth=1
	global_load_b32 v6, v[1:2], off
	v_add_nc_u32_e32 v5, s19, v5
	v_add_co_u32 v1, vcc_lo, v1, s21
	v_add_co_ci_u32_e32 v2, vcc_lo, 0, v2, vcc_lo
	s_delay_alu instid0(VALU_DEP_3) | instskip(NEXT) | instid1(VALU_DEP_1)
	v_cmp_le_i32_e64 s3, s14, v5
	s_or_b32 s20, s3, s20
	s_waitcnt vmcnt(0)
	v_lshrrev_b32_e32 v7, 16, v6
	v_cvt_f32_f16_e32 v6, v6
	s_delay_alu instid0(VALU_DEP_2)
	v_cvt_f32_f16_e32 v7, v7
	ds_store_b64 v4, v[6:7]
	v_add_nc_u32_e32 v4, s22, v4
	s_and_not1_b32 exec_lo, exec_lo, s20
	s_cbranch_execnz .LBB154_2
.LBB154_3:
	s_or_b32 exec_lo, exec_lo, s18
	v_lshl_add_u32 v1, s14, 1, v0
	s_mov_b32 s3, exec_lo
	s_delay_alu instid0(VALU_DEP_1)
	v_cmpx_gt_i32_e64 s12, v1
	s_cbranch_execz .LBB154_6
; %bb.4:
	s_load_b32 s18, s[0:1], 0x44
	s_lshl_b64 s[16:17], s[16:17], 1
	v_lshlrev_b32_e32 v2, 2, v0
	s_add_u32 s4, s4, s16
	s_addc_u32 s5, s5, s17
	s_lshl_b32 s16, s14, 3
	s_mov_b32 s17, 0
	v_add3_u32 v4, 0, s16, v2
	s_waitcnt lgkmcnt(0)
	s_and_b32 s16, s18, 0xffff
	s_delay_alu instid0(SALU_CYCLE_1)
	s_lshl_b32 s18, s16, 2
	.p2align	6
.LBB154_5:                              ; =>This Inner Loop Header: Depth=1
	v_ashrrev_i32_e32 v2, 31, v1
	s_delay_alu instid0(VALU_DEP_1) | instskip(SKIP_1) | instid1(VALU_DEP_2)
	v_lshlrev_b64 v[5:6], 1, v[1:2]
	v_add_nc_u32_e32 v1, s16, v1
	v_add_co_u32 v5, vcc_lo, s4, v5
	s_delay_alu instid0(VALU_DEP_3) | instskip(NEXT) | instid1(VALU_DEP_3)
	v_add_co_ci_u32_e32 v6, vcc_lo, s5, v6, vcc_lo
	v_cmp_le_i32_e32 vcc_lo, s12, v1
	global_load_u16 v2, v[5:6], off
	s_or_b32 s17, vcc_lo, s17
	s_waitcnt vmcnt(0)
	v_cvt_f32_f16_e32 v2, v2
	ds_store_b32 v4, v2
	v_add_nc_u32_e32 v4, s18, v4
	s_and_not1_b32 exec_lo, exec_lo, s17
	s_cbranch_execnz .LBB154_5
.LBB154_6:
	s_or_b32 exec_lo, exec_lo, s3
	v_cmp_gt_i32_e32 vcc_lo, s12, v0
	v_mov_b32_e32 v2, 0xff800000
	s_waitcnt lgkmcnt(0)
	s_barrier
	buffer_gl0_inv
	s_and_saveexec_b32 s4, vcc_lo
	s_cbranch_execz .LBB154_10
; %bb.7:
	s_load_b32 s3, s[0:1], 0x44
	v_lshl_add_u32 v1, v0, 2, 0
	v_mov_b32_e32 v2, 0xff800000
	v_mov_b32_e32 v4, v0
	s_mov_b32 s5, 0
	s_waitcnt lgkmcnt(0)
	s_and_b32 s16, s3, 0xffff
	s_delay_alu instid0(SALU_CYCLE_1)
	s_lshl_b32 s17, s16, 2
.LBB154_8:                              ; =>This Inner Loop Header: Depth=1
	ds_load_b32 v5, v1
	v_add_nc_u32_e32 v4, s16, v4
	v_dual_max_f32 v2, v2, v2 :: v_dual_add_nc_u32 v1, s17, v1
	s_waitcnt lgkmcnt(0)
	v_max_f32_e32 v5, v5, v5
	s_delay_alu instid0(VALU_DEP_3) | instskip(NEXT) | instid1(VALU_DEP_2)
	v_cmp_le_i32_e64 s3, s12, v4
	v_max_f32_e32 v2, v2, v5
	s_delay_alu instid0(VALU_DEP_2) | instskip(NEXT) | instid1(SALU_CYCLE_1)
	s_or_b32 s5, s3, s5
	s_and_not1_b32 exec_lo, exec_lo, s5
	s_cbranch_execnz .LBB154_8
; %bb.9:
	s_or_b32 exec_lo, exec_lo, s5
.LBB154_10:
	s_delay_alu instid0(SALU_CYCLE_1)
	s_or_b32 exec_lo, exec_lo, s4
	v_mov_b32_e32 v1, 0
	;;#ASMSTART
	v_max_f32 v4, v2, v2 quad_perm:[1,0,3,2] row_mask:0xf bank_mask:0xf bound_ctrl:1
	;;#ASMEND
	;;#ASMSTART
	v_max_f32 v2, v4, v4 quad_perm:[2,3,0,1] row_mask:0xf bank_mask:0xf bound_ctrl:1
	;;#ASMEND
	;;#ASMSTART
	v_max_f32 v4, v2, v2 row_half_mirror row_mask:0xf bank_mask:0xf bound_ctrl:1
	;;#ASMEND
	;;#ASMSTART
	v_max_f32 v2, v4, v4 row_mirror row_mask:0xf bank_mask:0xf bound_ctrl:1
	;;#ASMEND
	s_and_saveexec_b32 s4, vcc_lo
	s_cbranch_execz .LBB154_14
; %bb.11:
	s_load_b32 s3, s[0:1], 0x44
	s_mov_b32 s5, 0x76543210
	v_lshl_add_u32 v4, v0, 2, 0
	v_permlanex16_b32 v1, v2, s5, 0xfedcba98 op_sel:[1,1]
	v_mov_b32_e32 v5, v0
	s_mov_b32 s5, 0
	s_delay_alu instid0(VALU_DEP_2) | instskip(NEXT) | instid1(VALU_DEP_1)
	v_dual_max_f32 v2, v2, v2 :: v_dual_max_f32 v1, v1, v1
	v_dual_max_f32 v2, v2, v1 :: v_dual_mov_b32 v1, 0
	s_waitcnt lgkmcnt(0)
	s_and_b32 s16, s3, 0xffff
	s_delay_alu instid0(SALU_CYCLE_1)
	s_lshl_b32 s17, s16, 2
	.p2align	6
.LBB154_12:                             ; =>This Inner Loop Header: Depth=1
	ds_load_b32 v6, v4
	s_waitcnt lgkmcnt(0)
	v_dual_sub_f32 v6, v6, v2 :: v_dual_add_nc_u32 v5, s16, v5
	s_delay_alu instid0(VALU_DEP_1) | instskip(NEXT) | instid1(VALU_DEP_1)
	v_mul_f32_e32 v7, 0x3fb8aa3b, v6
	v_cmp_gt_f32_e64 s3, 0xc2fc0000, v7
	s_delay_alu instid0(VALU_DEP_1) | instskip(NEXT) | instid1(VALU_DEP_1)
	v_cndmask_b32_e64 v7, 0, 0x42800000, s3
	v_fmac_f32_e32 v7, 0x3fb8aa3b, v6
	s_delay_alu instid0(VALU_DEP_1) | instskip(SKIP_2) | instid1(VALU_DEP_1)
	v_exp_f32_e32 v6, v7
	v_cndmask_b32_e64 v7, 1.0, 0x1f800000, s3
	v_cmp_le_i32_e64 s3, s12, v5
	s_or_b32 s5, s3, s5
	s_waitcnt_depctr 0xfff
	v_mul_f32_e32 v8, v6, v7
	v_fmac_f32_e32 v1, v6, v7
	ds_store_b32 v4, v8
	v_add_nc_u32_e32 v4, s17, v4
	s_and_not1_b32 exec_lo, exec_lo, s5
	s_cbranch_execnz .LBB154_12
; %bb.13:
	s_or_b32 exec_lo, exec_lo, s5
.LBB154_14:
	s_delay_alu instid0(SALU_CYCLE_1) | instskip(SKIP_1) | instid1(VALU_DEP_1)
	s_or_b32 exec_lo, exec_lo, s4
	v_mov_b32_dpp v2, v1 quad_perm:[1,0,3,2] row_mask:0xf bank_mask:0xf
	v_add_f32_e32 v1, v1, v2
	s_delay_alu instid0(VALU_DEP_1) | instskip(NEXT) | instid1(VALU_DEP_1)
	v_mov_b32_dpp v2, v1 quad_perm:[2,3,0,1] row_mask:0xf bank_mask:0xf
	v_add_f32_e32 v1, v1, v2
	s_delay_alu instid0(VALU_DEP_1) | instskip(NEXT) | instid1(VALU_DEP_1)
	v_mov_b32_dpp v2, v1 row_xmask:7 row_mask:0xf bank_mask:0xf
	v_add_f32_e32 v1, v1, v2
	s_delay_alu instid0(VALU_DEP_1)
	v_mov_b32_dpp v2, v1 row_xmask:15 row_mask:0xf bank_mask:0xf
	s_and_saveexec_b32 s3, vcc_lo
	s_cbranch_execz .LBB154_19
; %bb.15:
	s_delay_alu instid0(VALU_DEP_1)
	v_add_f32_e32 v1, v1, v2
	s_load_b32 s5, s[0:1], 0x44
	s_mov_b32 s4, 0x76543210
	s_cmp_lg_u64 s[6:7], 0
	v_lshl_add_u32 v5, v0, 2, 0
	v_permlanex16_b32 v2, v1, s4, 0xfedcba98 op_sel:[1,1]
	s_cselect_b32 s4, -1, 0
	s_mov_b32 s16, 0
	s_delay_alu instid0(VALU_DEP_1) | instskip(NEXT) | instid1(VALU_DEP_1)
	v_add_f32_e32 v1, v1, v2
	v_rcp_f32_e32 v4, v1
	v_mov_b32_e32 v1, v0
	s_waitcnt lgkmcnt(0)
	s_and_b32 s5, s5, 0xffff
	s_delay_alu instid0(SALU_CYCLE_1)
	s_lshl_b32 s17, s5, 2
	s_set_inst_prefetch_distance 0x1
	s_branch .LBB154_17
	.p2align	6
.LBB154_16:                             ;   in Loop: Header=BB154_17 Depth=1
	v_add_nc_u32_e32 v1, s5, v1
	v_add_nc_u32_e32 v5, s17, v5
	s_delay_alu instid0(VALU_DEP_2) | instskip(SKIP_1) | instid1(SALU_CYCLE_1)
	v_cmp_le_i32_e32 vcc_lo, s12, v1
	s_or_b32 s16, vcc_lo, s16
	s_and_not1_b32 exec_lo, exec_lo, s16
	s_cbranch_execz .LBB154_19
.LBB154_17:                             ; =>This Inner Loop Header: Depth=1
	ds_load_b32 v2, v5
	s_and_not1_b32 vcc_lo, exec_lo, s4
	s_waitcnt lgkmcnt(0)
	v_mul_f32_e32 v6, v4, v2
	ds_store_b32 v5, v6
	s_cbranch_vccnz .LBB154_16
; %bb.18:                               ;   in Loop: Header=BB154_17 Depth=1
	v_ashrrev_i32_e32 v2, 31, v1
	s_delay_alu instid0(VALU_DEP_1) | instskip(NEXT) | instid1(VALU_DEP_1)
	v_lshlrev_b64 v[7:8], 1, v[1:2]
	v_add_co_u32 v7, vcc_lo, s6, v7
	s_delay_alu instid0(VALU_DEP_2) | instskip(SKIP_3) | instid1(VALU_DEP_1)
	v_add_co_ci_u32_e32 v8, vcc_lo, s7, v8, vcc_lo
	global_load_u16 v2, v[7:8], off
	s_waitcnt vmcnt(0)
	v_cvt_f32_f16_e32 v2, v2
	v_add_f32_e32 v2, v6, v2
	ds_store_b32 v5, v2
	s_branch .LBB154_16
.LBB154_19:
	s_set_inst_prefetch_distance 0x2
	s_or_b32 exec_lo, exec_lo, s3
	s_cmp_lt_i32 s13, 1
	s_waitcnt lgkmcnt(0)
	s_barrier
	buffer_gl0_inv
	s_cbranch_scc1 .LBB154_28
; %bb.20:
	s_add_u32 s4, s0, 56
	s_addc_u32 s5, s1, 0
	v_dual_mov_b32 v5, 0 :: v_dual_lshlrev_b32 v4, 1, v0
	v_dual_mov_b32 v1, 0 :: v_dual_mov_b32 v6, 0xff800000
	v_mov_b32_e32 v2, 0
	s_cmp_lg_u64 s[6:7], 0
	s_mov_b32 s18, 0
	s_cselect_b32 s12, -1, 0
	s_mov_b32 s19, 0x76543210
	s_branch .LBB154_22
.LBB154_21:                             ;   in Loop: Header=BB154_22 Depth=1
	v_cmp_eq_u32_e32 vcc_lo, s18, v0
	s_delay_alu instid0(VALU_DEP_2)
	s_lshl_b32 s3, s16, 2
	s_add_i32 s18, s18, 1
	s_add_i32 s3, s3, 0
	s_cmp_eq_u32 s18, s13
	v_cndmask_b32_e64 v1, v1, s16, vcc_lo
	v_dual_mov_b32 v7, s3 :: v_dual_cndmask_b32 v2, v2, v9
	ds_store_b32 v7, v6
	s_cbranch_scc1 .LBB154_29
.LBB154_22:                             ; =>This Loop Header: Depth=1
                                        ;     Child Loop BB154_24 Depth 2
	v_dual_mov_b32 v7, s18 :: v_dual_mov_b32 v8, 0xff800000
	s_and_saveexec_b32 s16, s2
	s_cbranch_execz .LBB154_26
; %bb.23:                               ;   in Loop: Header=BB154_22 Depth=1
	s_load_b32 s3, s[4:5], 0xc
	v_dual_mov_b32 v7, s18 :: v_dual_mov_b32 v8, 0xff800000
	v_dual_mov_b32 v9, v3 :: v_dual_mov_b32 v10, v4
	v_mov_b32_e32 v11, v0
	s_mov_b32 s21, 0
	s_waitcnt lgkmcnt(0)
	s_and_b32 s17, s3, 0xffff
	s_delay_alu instid0(SALU_CYCLE_1)
	s_lshl_b32 s20, s17, 1
	s_lshl_b32 s22, s17, 3
	.p2align	6
.LBB154_24:                             ;   Parent Loop BB154_22 Depth=1
                                        ; =>  This Inner Loop Header: Depth=2
	ds_load_b64 v[12:13], v9
	v_add_nc_u32_e32 v9, s22, v9
	v_add_nc_u32_e32 v11, s17, v11
	s_delay_alu instid0(VALU_DEP_1) | instskip(NEXT) | instid1(VALU_DEP_1)
	v_cmp_le_i32_e64 s3, s14, v11
	s_or_b32 s21, s3, s21
	s_waitcnt lgkmcnt(0)
	v_cmp_gt_f32_e32 vcc_lo, v12, v8
	v_cndmask_b32_e32 v8, v8, v12, vcc_lo
	v_add_nc_u32_e32 v12, 1, v10
	v_cndmask_b32_e32 v7, v7, v10, vcc_lo
	s_delay_alu instid0(VALU_DEP_3) | instskip(SKIP_1) | instid1(VALU_DEP_3)
	v_cmp_gt_f32_e32 vcc_lo, v13, v8
	v_cndmask_b32_e32 v8, v8, v13, vcc_lo
	v_dual_cndmask_b32 v7, v7, v12 :: v_dual_add_nc_u32 v10, s20, v10
	s_and_not1_b32 exec_lo, exec_lo, s21
	s_cbranch_execnz .LBB154_24
; %bb.25:                               ;   in Loop: Header=BB154_22 Depth=1
	s_or_b32 exec_lo, exec_lo, s21
.LBB154_26:                             ;   in Loop: Header=BB154_22 Depth=1
	s_delay_alu instid0(SALU_CYCLE_1)
	s_or_b32 exec_lo, exec_lo, s16
	;;#ASMSTART
	v_max_f32 v9, v8, v8 quad_perm:[1,0,3,2] row_mask:0xf bank_mask:0xf bound_ctrl:1
	;;#ASMEND
	;;#ASMSTART
	v_max_f32 v10, v9, v9 quad_perm:[2,3,0,1] row_mask:0xf bank_mask:0xf bound_ctrl:1
	;;#ASMEND
	;;#ASMSTART
	v_max_f32 v9, v10, v10 row_half_mirror row_mask:0xf bank_mask:0xf bound_ctrl:1
	;;#ASMEND
	;;#ASMSTART
	v_max_f32 v10, v9, v9 row_mirror row_mask:0xf bank_mask:0xf bound_ctrl:1
	;;#ASMEND
	v_permlanex16_b32 v9, v10, s19, 0xfedcba98 op_sel:[1,1]
	s_delay_alu instid0(VALU_DEP_1) | instskip(NEXT) | instid1(VALU_DEP_1)
	v_dual_max_f32 v10, v10, v10 :: v_dual_max_f32 v9, v9, v9
	v_max_f32_e32 v9, v10, v9
	s_delay_alu instid0(VALU_DEP_1)
	v_cmp_eq_f32_e32 vcc_lo, v8, v9
	s_ctz_i32_b32 s3, vcc_lo
	s_cmp_lg_u32 vcc_lo, 0
	s_cselect_b32 s3, s3, 0
	s_and_b32 vcc_lo, exec_lo, s12
	v_readlane_b32 s16, v7, s3
	s_cbranch_vccz .LBB154_21
; %bb.27:                               ;   in Loop: Header=BB154_22 Depth=1
	s_delay_alu instid0(VALU_DEP_1) | instskip(NEXT) | instid1(SALU_CYCLE_1)
	s_ashr_i32 s17, s16, 31
	s_lshl_b64 s[20:21], s[16:17], 1
	s_delay_alu instid0(SALU_CYCLE_1) | instskip(SKIP_4) | instid1(VALU_DEP_1)
	s_add_u32 s20, s6, s20
	s_addc_u32 s21, s7, s21
	global_load_u16 v7, v5, s[20:21]
	s_waitcnt vmcnt(0)
	v_cvt_f32_f16_e32 v7, v7
	v_sub_f32_e32 v9, v9, v7
	s_branch .LBB154_21
.LBB154_28:
	v_dual_mov_b32 v2, 0 :: v_dual_mov_b32 v1, 0
.LBB154_29:
	s_mov_b32 s2, exec_lo
	v_cmpx_gt_i32_e64 s13, v0
	s_cbranch_execz .LBB154_32
; %bb.30:
	s_clause 0x2
	s_load_b32 s4, s[0:1], 0x34
	s_load_b64 s[2:3], s[0:1], 0x20
	s_load_b32 s0, s[0:1], 0x44
	s_ashr_i32 s1, s15, 31
	s_waitcnt lgkmcnt(0)
	v_mul_f32_e32 v2, s4, v2
	s_mul_i32 s3, s15, s3
	s_mul_hi_u32 s4, s15, s2
	s_mul_i32 s5, s1, s2
	s_add_i32 s3, s4, s3
	s_mul_i32 s1, s15, s2
	s_and_b32 s2, s0, 0xffff
	s_add_i32 s3, s3, s5
	s_mov_b32 s4, 0
	.p2align	6
.LBB154_31:                             ; =>This Inner Loop Header: Depth=1
	v_ashrrev_i32_e32 v4, 31, v0
	v_add_co_u32 v3, vcc_lo, s1, v0
	v_add_nc_u32_e32 v0, s2, v0
	s_delay_alu instid0(VALU_DEP_3) | instskip(NEXT) | instid1(VALU_DEP_2)
	v_add_co_ci_u32_e32 v4, vcc_lo, s3, v4, vcc_lo
	v_cmp_le_i32_e32 vcc_lo, s13, v0
	s_delay_alu instid0(VALU_DEP_2) | instskip(SKIP_1) | instid1(VALU_DEP_1)
	v_lshlrev_b64 v[3:4], 2, v[3:4]
	s_or_b32 s4, vcc_lo, s4
	v_add_co_u32 v5, s0, s8, v3
	s_delay_alu instid0(VALU_DEP_1) | instskip(SKIP_1) | instid1(VALU_DEP_1)
	v_add_co_ci_u32_e64 v6, s0, s9, v4, s0
	v_add_co_u32 v3, s0, s10, v3
	v_add_co_ci_u32_e64 v4, s0, s11, v4, s0
	global_store_b32 v[5:6], v2, off
	global_store_b32 v[3:4], v1, off
	s_and_not1_b32 exec_lo, exec_lo, s4
	s_cbranch_execnz .LBB154_31
.LBB154_32:
	s_nop 0
	s_sendmsg sendmsg(MSG_DEALLOC_VGPRS)
	s_endpgm
	.section	.rodata,"a",@progbits
	.p2align	6, 0x0
	.amdhsa_kernel _ZN5aiter20topk_softplus_kernelI6__halfS1_Dv2_fLb0ELi2EEEvPKT_PKT0_PfPimiiif
		.amdhsa_group_segment_fixed_size 0
		.amdhsa_private_segment_fixed_size 0
		.amdhsa_kernarg_size 312
		.amdhsa_user_sgpr_count 15
		.amdhsa_user_sgpr_dispatch_ptr 0
		.amdhsa_user_sgpr_queue_ptr 0
		.amdhsa_user_sgpr_kernarg_segment_ptr 1
		.amdhsa_user_sgpr_dispatch_id 0
		.amdhsa_user_sgpr_private_segment_size 0
		.amdhsa_wavefront_size32 1
		.amdhsa_uses_dynamic_stack 0
		.amdhsa_enable_private_segment 0
		.amdhsa_system_sgpr_workgroup_id_x 1
		.amdhsa_system_sgpr_workgroup_id_y 0
		.amdhsa_system_sgpr_workgroup_id_z 0
		.amdhsa_system_sgpr_workgroup_info 0
		.amdhsa_system_vgpr_workitem_id 0
		.amdhsa_next_free_vgpr 14
		.amdhsa_next_free_sgpr 23
		.amdhsa_reserve_vcc 1
		.amdhsa_float_round_mode_32 0
		.amdhsa_float_round_mode_16_64 0
		.amdhsa_float_denorm_mode_32 3
		.amdhsa_float_denorm_mode_16_64 3
		.amdhsa_dx10_clamp 1
		.amdhsa_ieee_mode 1
		.amdhsa_fp16_overflow 0
		.amdhsa_workgroup_processor_mode 1
		.amdhsa_memory_ordered 1
		.amdhsa_forward_progress 0
		.amdhsa_shared_vgpr_count 0
		.amdhsa_exception_fp_ieee_invalid_op 0
		.amdhsa_exception_fp_denorm_src 0
		.amdhsa_exception_fp_ieee_div_zero 0
		.amdhsa_exception_fp_ieee_overflow 0
		.amdhsa_exception_fp_ieee_underflow 0
		.amdhsa_exception_fp_ieee_inexact 0
		.amdhsa_exception_int_div_zero 0
	.end_amdhsa_kernel
	.section	.text._ZN5aiter20topk_softplus_kernelI6__halfS1_Dv2_fLb0ELi2EEEvPKT_PKT0_PfPimiiif,"axG",@progbits,_ZN5aiter20topk_softplus_kernelI6__halfS1_Dv2_fLb0ELi2EEEvPKT_PKT0_PfPimiiif,comdat
.Lfunc_end154:
	.size	_ZN5aiter20topk_softplus_kernelI6__halfS1_Dv2_fLb0ELi2EEEvPKT_PKT0_PfPimiiif, .Lfunc_end154-_ZN5aiter20topk_softplus_kernelI6__halfS1_Dv2_fLb0ELi2EEEvPKT_PKT0_PfPimiiif
                                        ; -- End function
	.section	.AMDGPU.csdata,"",@progbits
; Kernel info:
; codeLenInByte = 1896
; NumSgprs: 25
; NumVgprs: 14
; ScratchSize: 0
; MemoryBound: 0
; FloatMode: 240
; IeeeMode: 1
; LDSByteSize: 0 bytes/workgroup (compile time only)
; SGPRBlocks: 3
; VGPRBlocks: 1
; NumSGPRsForWavesPerEU: 25
; NumVGPRsForWavesPerEU: 14
; Occupancy: 16
; WaveLimiterHint : 0
; COMPUTE_PGM_RSRC2:SCRATCH_EN: 0
; COMPUTE_PGM_RSRC2:USER_SGPR: 15
; COMPUTE_PGM_RSRC2:TRAP_HANDLER: 0
; COMPUTE_PGM_RSRC2:TGID_X_EN: 1
; COMPUTE_PGM_RSRC2:TGID_Y_EN: 0
; COMPUTE_PGM_RSRC2:TGID_Z_EN: 0
; COMPUTE_PGM_RSRC2:TIDIG_COMP_CNT: 0
	.section	.text._ZN5aiter20topk_softplus_kernelI6__halfS1_Dv1_fLb1ELi2EEEvPKT_PKT0_PfPimiiif,"axG",@progbits,_ZN5aiter20topk_softplus_kernelI6__halfS1_Dv1_fLb1ELi2EEEvPKT_PKT0_PfPimiiif,comdat
	.protected	_ZN5aiter20topk_softplus_kernelI6__halfS1_Dv1_fLb1ELi2EEEvPKT_PKT0_PfPimiiif ; -- Begin function _ZN5aiter20topk_softplus_kernelI6__halfS1_Dv1_fLb1ELi2EEEvPKT_PKT0_PfPimiiif
	.globl	_ZN5aiter20topk_softplus_kernelI6__halfS1_Dv1_fLb1ELi2EEEvPKT_PKT0_PfPimiiif
	.p2align	8
	.type	_ZN5aiter20topk_softplus_kernelI6__halfS1_Dv1_fLb1ELi2EEEvPKT_PKT0_PfPimiiif,@function
_ZN5aiter20topk_softplus_kernelI6__halfS1_Dv1_fLb1ELi2EEEvPKT_PKT0_PfPimiiif: ; @_ZN5aiter20topk_softplus_kernelI6__halfS1_Dv1_fLb1ELi2EEEvPKT_PKT0_PfPimiiif
; %bb.0:
	s_clause 0x1
	s_load_b64 s[12:13], s[0:1], 0x28
	s_load_b256 s[4:11], s[0:1], 0x0
	v_lshl_add_u32 v3, v0, 2, 0
	s_waitcnt lgkmcnt(0)
	s_mul_i32 s16, s15, s12
	v_cmp_gt_i32_e64 s2, s12, v0
	s_ashr_i32 s17, s16, 31
	s_delay_alu instid0(SALU_CYCLE_1) | instskip(NEXT) | instid1(SALU_CYCLE_1)
	s_lshl_b64 s[16:17], s[16:17], 1
	s_add_u32 s3, s4, s16
	s_addc_u32 s4, s5, s17
	s_and_saveexec_b32 s5, s2
	s_cbranch_execz .LBB155_3
; %bb.1:
	s_load_b32 s14, s[0:1], 0x44
	v_lshl_add_u32 v4, v0, 2, 0
	v_mov_b32_e32 v1, v0
	s_mov_b32 s16, 0
	s_waitcnt lgkmcnt(0)
	s_and_b32 s14, s14, 0xffff
	s_delay_alu instid0(SALU_CYCLE_1)
	s_lshl_b32 s17, s14, 2
	.p2align	6
.LBB155_2:                              ; =>This Inner Loop Header: Depth=1
	v_ashrrev_i32_e32 v2, 31, v1
	s_delay_alu instid0(VALU_DEP_1) | instskip(SKIP_1) | instid1(VALU_DEP_2)
	v_lshlrev_b64 v[5:6], 1, v[1:2]
	v_add_nc_u32_e32 v1, s14, v1
	v_add_co_u32 v5, vcc_lo, s3, v5
	s_delay_alu instid0(VALU_DEP_3) | instskip(NEXT) | instid1(VALU_DEP_3)
	v_add_co_ci_u32_e32 v6, vcc_lo, s4, v6, vcc_lo
	v_cmp_le_i32_e32 vcc_lo, s12, v1
	global_load_u16 v2, v[5:6], off
	s_or_b32 s16, vcc_lo, s16
	s_waitcnt vmcnt(0)
	v_cvt_f32_f16_e32 v2, v2
	ds_store_b32 v4, v2
	v_add_nc_u32_e32 v4, s17, v4
	s_and_not1_b32 exec_lo, exec_lo, s16
	s_cbranch_execnz .LBB155_2
.LBB155_3:
	s_or_b32 exec_lo, exec_lo, s5
	v_add_nc_u32_e32 v1, s12, v0
	s_mov_b32 s5, exec_lo
	s_delay_alu instid0(VALU_DEP_1)
	v_cmpx_gt_i32_e64 s12, v1
	s_cbranch_execz .LBB155_6
; %bb.4:
	s_load_b32 s14, s[0:1], 0x44
	v_lshl_add_u32 v4, v1, 2, 0
	s_mov_b32 s16, 0
	s_waitcnt lgkmcnt(0)
	s_and_b32 s14, s14, 0xffff
	s_delay_alu instid0(SALU_CYCLE_1)
	s_lshl_b32 s17, s14, 2
	.p2align	6
.LBB155_5:                              ; =>This Inner Loop Header: Depth=1
	v_ashrrev_i32_e32 v2, 31, v1
	s_delay_alu instid0(VALU_DEP_1) | instskip(SKIP_1) | instid1(VALU_DEP_2)
	v_lshlrev_b64 v[5:6], 1, v[1:2]
	v_add_nc_u32_e32 v1, s14, v1
	v_add_co_u32 v5, vcc_lo, s3, v5
	s_delay_alu instid0(VALU_DEP_3) | instskip(NEXT) | instid1(VALU_DEP_3)
	v_add_co_ci_u32_e32 v6, vcc_lo, s4, v6, vcc_lo
	v_cmp_le_i32_e32 vcc_lo, s12, v1
	global_load_u16 v2, v[5:6], off
	s_or_b32 s16, vcc_lo, s16
	s_waitcnt vmcnt(0)
	v_cvt_f32_f16_e32 v2, v2
	ds_store_b32 v4, v2
	v_add_nc_u32_e32 v4, s17, v4
	s_and_not1_b32 exec_lo, exec_lo, s16
	s_cbranch_execnz .LBB155_5
.LBB155_6:
	s_or_b32 exec_lo, exec_lo, s5
	v_mov_b32_e32 v2, 0xff800000
	s_waitcnt lgkmcnt(0)
	s_barrier
	buffer_gl0_inv
	s_and_saveexec_b32 s3, s2
	s_cbranch_execz .LBB155_10
; %bb.7:
	s_load_b32 s4, s[0:1], 0x44
	v_lshl_add_u32 v1, v0, 2, 0
	v_mov_b32_e32 v2, 0xff800000
	v_mov_b32_e32 v4, v0
	s_waitcnt lgkmcnt(0)
	s_and_b32 s5, s4, 0xffff
	s_mov_b32 s4, 0
	s_lshl_b32 s14, s5, 2
.LBB155_8:                              ; =>This Inner Loop Header: Depth=1
	ds_load_b32 v5, v1
	v_add_nc_u32_e32 v4, s5, v4
	v_dual_max_f32 v2, v2, v2 :: v_dual_add_nc_u32 v1, s14, v1
	s_waitcnt lgkmcnt(0)
	v_max_f32_e32 v5, v5, v5
	s_delay_alu instid0(VALU_DEP_3) | instskip(NEXT) | instid1(VALU_DEP_2)
	v_cmp_le_i32_e32 vcc_lo, s12, v4
	v_max_f32_e32 v2, v2, v5
	s_or_b32 s4, vcc_lo, s4
	s_delay_alu instid0(SALU_CYCLE_1)
	s_and_not1_b32 exec_lo, exec_lo, s4
	s_cbranch_execnz .LBB155_8
; %bb.9:
	s_or_b32 exec_lo, exec_lo, s4
.LBB155_10:
	s_delay_alu instid0(SALU_CYCLE_1)
	s_or_b32 exec_lo, exec_lo, s3
	v_mov_b32_e32 v1, 0
	;;#ASMSTART
	v_max_f32 v4, v2, v2 quad_perm:[1,0,3,2] row_mask:0xf bank_mask:0xf bound_ctrl:1
	;;#ASMEND
	;;#ASMSTART
	v_max_f32 v2, v4, v4 quad_perm:[2,3,0,1] row_mask:0xf bank_mask:0xf bound_ctrl:1
	;;#ASMEND
	;;#ASMSTART
	v_max_f32 v4, v2, v2 row_half_mirror row_mask:0xf bank_mask:0xf bound_ctrl:1
	;;#ASMEND
	;;#ASMSTART
	v_max_f32 v2, v4, v4 row_mirror row_mask:0xf bank_mask:0xf bound_ctrl:1
	;;#ASMEND
	s_and_saveexec_b32 s3, s2
	s_cbranch_execz .LBB155_14
; %bb.11:
	s_load_b32 s4, s[0:1], 0x44
	s_mov_b32 s5, 0x76543210
	v_lshl_add_u32 v4, v0, 2, 0
	v_permlanex16_b32 v1, v2, s5, 0xfedcba98 op_sel:[1,1]
	v_dual_mov_b32 v5, v0 :: v_dual_max_f32 v2, v2, v2
	s_delay_alu instid0(VALU_DEP_2) | instskip(NEXT) | instid1(VALU_DEP_1)
	v_max_f32_e32 v1, v1, v1
	v_dual_max_f32 v2, v2, v1 :: v_dual_mov_b32 v1, 0
	s_waitcnt lgkmcnt(0)
	s_and_b32 s5, s4, 0xffff
	s_mov_b32 s4, 0
	s_lshl_b32 s14, s5, 2
	.p2align	6
.LBB155_12:                             ; =>This Inner Loop Header: Depth=1
	ds_load_b32 v6, v4
	s_waitcnt lgkmcnt(0)
	v_dual_sub_f32 v6, v6, v2 :: v_dual_add_nc_u32 v5, s5, v5
	s_delay_alu instid0(VALU_DEP_1) | instskip(NEXT) | instid1(VALU_DEP_1)
	v_mul_f32_e32 v7, 0x3fb8aa3b, v6
	v_cmp_gt_f32_e32 vcc_lo, 0xc2fc0000, v7
	v_cndmask_b32_e64 v7, 0, 0x42800000, vcc_lo
	s_delay_alu instid0(VALU_DEP_1) | instskip(NEXT) | instid1(VALU_DEP_1)
	v_fmac_f32_e32 v7, 0x3fb8aa3b, v6
	v_exp_f32_e32 v6, v7
	v_cndmask_b32_e64 v7, 1.0, 0x1f800000, vcc_lo
	v_cmp_le_i32_e32 vcc_lo, s12, v5
	s_or_b32 s4, vcc_lo, s4
	s_waitcnt_depctr 0xfff
	v_mul_f32_e32 v8, v6, v7
	v_fmac_f32_e32 v1, v6, v7
	ds_store_b32 v4, v8
	v_add_nc_u32_e32 v4, s14, v4
	s_and_not1_b32 exec_lo, exec_lo, s4
	s_cbranch_execnz .LBB155_12
; %bb.13:
	s_or_b32 exec_lo, exec_lo, s4
.LBB155_14:
	s_delay_alu instid0(SALU_CYCLE_1) | instskip(SKIP_1) | instid1(VALU_DEP_1)
	s_or_b32 exec_lo, exec_lo, s3
	v_mov_b32_dpp v2, v1 quad_perm:[1,0,3,2] row_mask:0xf bank_mask:0xf
	v_add_f32_e32 v1, v1, v2
	s_delay_alu instid0(VALU_DEP_1) | instskip(NEXT) | instid1(VALU_DEP_1)
	v_mov_b32_dpp v2, v1 quad_perm:[2,3,0,1] row_mask:0xf bank_mask:0xf
	v_add_f32_e32 v1, v1, v2
	s_delay_alu instid0(VALU_DEP_1) | instskip(NEXT) | instid1(VALU_DEP_1)
	v_mov_b32_dpp v2, v1 row_xmask:7 row_mask:0xf bank_mask:0xf
	v_add_f32_e32 v1, v1, v2
	s_delay_alu instid0(VALU_DEP_1)
	v_mov_b32_dpp v2, v1 row_xmask:15 row_mask:0xf bank_mask:0xf
	s_and_saveexec_b32 s3, s2
	s_cbranch_execz .LBB155_19
; %bb.15:
	s_delay_alu instid0(VALU_DEP_1)
	v_add_f32_e32 v1, v1, v2
	s_load_b32 s5, s[0:1], 0x44
	s_mov_b32 s4, 0x76543210
	s_cmp_lg_u64 s[6:7], 0
	v_lshl_add_u32 v5, v0, 2, 0
	v_permlanex16_b32 v2, v1, s4, 0xfedcba98 op_sel:[1,1]
	s_cselect_b32 s4, -1, 0
	s_mov_b32 s14, 0
	s_delay_alu instid0(VALU_DEP_1) | instskip(NEXT) | instid1(VALU_DEP_1)
	v_add_f32_e32 v1, v1, v2
	v_rcp_f32_e32 v4, v1
	v_mov_b32_e32 v1, v0
	s_waitcnt lgkmcnt(0)
	s_and_b32 s5, s5, 0xffff
	s_delay_alu instid0(SALU_CYCLE_1)
	s_lshl_b32 s16, s5, 2
	s_set_inst_prefetch_distance 0x1
	s_branch .LBB155_17
	.p2align	6
.LBB155_16:                             ;   in Loop: Header=BB155_17 Depth=1
	v_add_nc_u32_e32 v1, s5, v1
	v_add_nc_u32_e32 v5, s16, v5
	s_delay_alu instid0(VALU_DEP_2) | instskip(SKIP_1) | instid1(SALU_CYCLE_1)
	v_cmp_le_i32_e32 vcc_lo, s12, v1
	s_or_b32 s14, vcc_lo, s14
	s_and_not1_b32 exec_lo, exec_lo, s14
	s_cbranch_execz .LBB155_19
.LBB155_17:                             ; =>This Inner Loop Header: Depth=1
	ds_load_b32 v2, v5
	s_and_not1_b32 vcc_lo, exec_lo, s4
	s_waitcnt lgkmcnt(0)
	v_mul_f32_e32 v6, v4, v2
	ds_store_b32 v5, v6
	s_cbranch_vccnz .LBB155_16
; %bb.18:                               ;   in Loop: Header=BB155_17 Depth=1
	v_ashrrev_i32_e32 v2, 31, v1
	s_delay_alu instid0(VALU_DEP_1) | instskip(NEXT) | instid1(VALU_DEP_1)
	v_lshlrev_b64 v[7:8], 1, v[1:2]
	v_add_co_u32 v7, vcc_lo, s6, v7
	s_delay_alu instid0(VALU_DEP_2) | instskip(SKIP_3) | instid1(VALU_DEP_1)
	v_add_co_ci_u32_e32 v8, vcc_lo, s7, v8, vcc_lo
	global_load_u16 v2, v[7:8], off
	s_waitcnt vmcnt(0)
	v_cvt_f32_f16_e32 v2, v2
	v_add_f32_e32 v2, v6, v2
	ds_store_b32 v5, v2
	s_branch .LBB155_16
.LBB155_19:
	s_set_inst_prefetch_distance 0x2
	s_or_b32 exec_lo, exec_lo, s3
	v_mov_b32_e32 v2, 0
	s_cmp_lt_i32 s13, 1
	s_waitcnt lgkmcnt(0)
	s_barrier
	buffer_gl0_inv
	s_cbranch_scc1 .LBB155_28
; %bb.20:
	s_add_u32 s4, s0, 56
	s_addc_u32 s5, s1, 0
	v_dual_mov_b32 v2, 0 :: v_dual_mov_b32 v5, 0
	v_dual_mov_b32 v6, 0xff800000 :: v_dual_mov_b32 v1, 0
	v_mov_b32_e32 v4, 0
	s_cmp_lg_u64 s[6:7], 0
	s_mov_b32 s14, 0
	s_cselect_b32 s3, -1, 0
	s_mov_b32 s18, 0x76543210
	s_branch .LBB155_22
.LBB155_21:                             ;   in Loop: Header=BB155_22 Depth=1
	v_cmp_eq_u32_e32 vcc_lo, s14, v0
	s_delay_alu instid0(VALU_DEP_2) | instskip(NEXT) | instid1(VALU_DEP_2)
	s_lshl_b32 s17, s16, 2
	v_add_f32_e32 v4, v4, v9
	s_add_i32 s17, s17, 0
	s_add_i32 s14, s14, 1
	v_cndmask_b32_e64 v1, v1, s16, vcc_lo
	v_dual_mov_b32 v7, s17 :: v_dual_cndmask_b32 v2, v2, v9
	s_cmp_eq_u32 s14, s13
	ds_store_b32 v7, v6
	s_cbranch_scc1 .LBB155_29
.LBB155_22:                             ; =>This Loop Header: Depth=1
                                        ;     Child Loop BB155_24 Depth 2
	v_dual_mov_b32 v7, s14 :: v_dual_mov_b32 v8, 0xff800000
	s_and_saveexec_b32 s16, s2
	s_cbranch_execz .LBB155_26
; %bb.23:                               ;   in Loop: Header=BB155_22 Depth=1
	s_load_b32 s17, s[4:5], 0xc
	v_dual_mov_b32 v7, s14 :: v_dual_mov_b32 v8, 0xff800000
	v_dual_mov_b32 v9, v3 :: v_dual_mov_b32 v10, v0
	s_mov_b32 s19, 0
	s_waitcnt lgkmcnt(0)
	s_and_b32 s17, s17, 0xffff
	s_delay_alu instid0(SALU_CYCLE_1)
	s_lshl_b32 s20, s17, 2
.LBB155_24:                             ;   Parent Loop BB155_22 Depth=1
                                        ; =>  This Inner Loop Header: Depth=2
	ds_load_b32 v11, v9
	v_add_nc_u32_e32 v9, s20, v9
	s_waitcnt lgkmcnt(0)
	v_cmp_gt_f32_e32 vcc_lo, v11, v8
	v_dual_cndmask_b32 v8, v8, v11 :: v_dual_cndmask_b32 v7, v7, v10
	v_add_nc_u32_e32 v10, s17, v10
	s_delay_alu instid0(VALU_DEP_1) | instskip(SKIP_1) | instid1(SALU_CYCLE_1)
	v_cmp_le_i32_e32 vcc_lo, s12, v10
	s_or_b32 s19, vcc_lo, s19
	s_and_not1_b32 exec_lo, exec_lo, s19
	s_cbranch_execnz .LBB155_24
; %bb.25:                               ;   in Loop: Header=BB155_22 Depth=1
	s_or_b32 exec_lo, exec_lo, s19
.LBB155_26:                             ;   in Loop: Header=BB155_22 Depth=1
	s_delay_alu instid0(SALU_CYCLE_1)
	s_or_b32 exec_lo, exec_lo, s16
	;;#ASMSTART
	v_max_f32 v9, v8, v8 quad_perm:[1,0,3,2] row_mask:0xf bank_mask:0xf bound_ctrl:1
	;;#ASMEND
	;;#ASMSTART
	v_max_f32 v10, v9, v9 quad_perm:[2,3,0,1] row_mask:0xf bank_mask:0xf bound_ctrl:1
	;;#ASMEND
	;;#ASMSTART
	v_max_f32 v9, v10, v10 row_half_mirror row_mask:0xf bank_mask:0xf bound_ctrl:1
	;;#ASMEND
	;;#ASMSTART
	v_max_f32 v10, v9, v9 row_mirror row_mask:0xf bank_mask:0xf bound_ctrl:1
	;;#ASMEND
	v_permlanex16_b32 v9, v10, s18, 0xfedcba98 op_sel:[1,1]
	s_delay_alu instid0(VALU_DEP_1) | instskip(NEXT) | instid1(VALU_DEP_1)
	v_dual_max_f32 v10, v10, v10 :: v_dual_max_f32 v9, v9, v9
	v_max_f32_e32 v9, v10, v9
	s_delay_alu instid0(VALU_DEP_1)
	v_cmp_eq_f32_e32 vcc_lo, v8, v9
	s_ctz_i32_b32 s16, vcc_lo
	s_cmp_lg_u32 vcc_lo, 0
	s_cselect_b32 s16, s16, 0
	s_and_b32 vcc_lo, exec_lo, s3
	v_readlane_b32 s16, v7, s16
	s_cbranch_vccz .LBB155_21
; %bb.27:                               ;   in Loop: Header=BB155_22 Depth=1
	s_delay_alu instid0(VALU_DEP_1) | instskip(NEXT) | instid1(SALU_CYCLE_1)
	s_ashr_i32 s17, s16, 31
	s_lshl_b64 s[20:21], s[16:17], 1
	s_delay_alu instid0(SALU_CYCLE_1) | instskip(SKIP_4) | instid1(VALU_DEP_1)
	s_add_u32 s20, s6, s20
	s_addc_u32 s21, s7, s21
	global_load_u16 v7, v5, s[20:21]
	s_waitcnt vmcnt(0)
	v_cvt_f32_f16_e32 v7, v7
	v_sub_f32_e32 v9, v9, v7
	s_branch .LBB155_21
.LBB155_28:
	v_dual_mov_b32 v1, 0 :: v_dual_mov_b32 v4, 0
.LBB155_29:
	s_mov_b32 s2, exec_lo
	v_cmpx_gt_i32_e64 s13, v0
	s_cbranch_execz .LBB155_32
; %bb.30:
	s_clause 0x1
	s_load_b32 s2, s[0:1], 0x34
	s_load_b32 s3, s[0:1], 0x44
	v_max_f32_e32 v3, v4, v4
	s_load_b64 s[0:1], s[0:1], 0x20
	s_ashr_i32 s4, s15, 31
	s_delay_alu instid0(VALU_DEP_1) | instskip(SKIP_1) | instid1(VALU_DEP_1)
	v_max_f32_e32 v3, 0x1e3ce508, v3
	s_waitcnt lgkmcnt(0)
	v_div_scale_f32 v4, null, v3, v3, s2
	v_div_scale_f32 v7, vcc_lo, s2, v3, s2
	s_mul_i32 s1, s15, s1
	s_delay_alu instid0(VALU_DEP_2) | instskip(SKIP_4) | instid1(VALU_DEP_1)
	v_rcp_f32_e32 v5, v4
	s_mul_i32 s4, s4, s0
	s_and_b32 s3, s3, 0xffff
	s_waitcnt_depctr 0xfff
	v_fma_f32 v6, -v4, v5, 1.0
	v_fmac_f32_e32 v5, v6, v5
	s_delay_alu instid0(VALU_DEP_1) | instskip(NEXT) | instid1(VALU_DEP_1)
	v_mul_f32_e32 v6, v7, v5
	v_fma_f32 v8, -v4, v6, v7
	s_delay_alu instid0(VALU_DEP_1) | instskip(NEXT) | instid1(VALU_DEP_1)
	v_fmac_f32_e32 v6, v8, v5
	v_fma_f32 v4, -v4, v6, v7
	s_delay_alu instid0(VALU_DEP_1) | instskip(NEXT) | instid1(VALU_DEP_1)
	v_div_fmas_f32 v4, v4, v5, v6
	v_div_fixup_f32 v3, v4, v3, s2
	s_mul_hi_u32 s2, s15, s0
	s_delay_alu instid0(SALU_CYCLE_1) | instskip(SKIP_1) | instid1(VALU_DEP_1)
	s_add_i32 s1, s2, s1
	s_mul_i32 s2, s15, s0
	v_mul_f32_e32 v2, v2, v3
	s_add_i32 s1, s1, s4
	s_mov_b32 s4, 0
	.p2align	6
.LBB155_31:                             ; =>This Inner Loop Header: Depth=1
	v_ashrrev_i32_e32 v4, 31, v0
	v_add_co_u32 v3, vcc_lo, s2, v0
	v_add_nc_u32_e32 v0, s3, v0
	s_delay_alu instid0(VALU_DEP_3) | instskip(NEXT) | instid1(VALU_DEP_2)
	v_add_co_ci_u32_e32 v4, vcc_lo, s1, v4, vcc_lo
	v_cmp_le_i32_e32 vcc_lo, s13, v0
	s_delay_alu instid0(VALU_DEP_2) | instskip(SKIP_1) | instid1(VALU_DEP_1)
	v_lshlrev_b64 v[3:4], 2, v[3:4]
	s_or_b32 s4, vcc_lo, s4
	v_add_co_u32 v5, s0, s8, v3
	s_delay_alu instid0(VALU_DEP_1) | instskip(SKIP_1) | instid1(VALU_DEP_1)
	v_add_co_ci_u32_e64 v6, s0, s9, v4, s0
	v_add_co_u32 v3, s0, s10, v3
	v_add_co_ci_u32_e64 v4, s0, s11, v4, s0
	global_store_b32 v[5:6], v2, off
	global_store_b32 v[3:4], v1, off
	s_and_not1_b32 exec_lo, exec_lo, s4
	s_cbranch_execnz .LBB155_31
.LBB155_32:
	s_nop 0
	s_sendmsg sendmsg(MSG_DEALLOC_VGPRS)
	s_endpgm
	.section	.rodata,"a",@progbits
	.p2align	6, 0x0
	.amdhsa_kernel _ZN5aiter20topk_softplus_kernelI6__halfS1_Dv1_fLb1ELi2EEEvPKT_PKT0_PfPimiiif
		.amdhsa_group_segment_fixed_size 0
		.amdhsa_private_segment_fixed_size 0
		.amdhsa_kernarg_size 312
		.amdhsa_user_sgpr_count 15
		.amdhsa_user_sgpr_dispatch_ptr 0
		.amdhsa_user_sgpr_queue_ptr 0
		.amdhsa_user_sgpr_kernarg_segment_ptr 1
		.amdhsa_user_sgpr_dispatch_id 0
		.amdhsa_user_sgpr_private_segment_size 0
		.amdhsa_wavefront_size32 1
		.amdhsa_uses_dynamic_stack 0
		.amdhsa_enable_private_segment 0
		.amdhsa_system_sgpr_workgroup_id_x 1
		.amdhsa_system_sgpr_workgroup_id_y 0
		.amdhsa_system_sgpr_workgroup_id_z 0
		.amdhsa_system_sgpr_workgroup_info 0
		.amdhsa_system_vgpr_workitem_id 0
		.amdhsa_next_free_vgpr 12
		.amdhsa_next_free_sgpr 22
		.amdhsa_reserve_vcc 1
		.amdhsa_float_round_mode_32 0
		.amdhsa_float_round_mode_16_64 0
		.amdhsa_float_denorm_mode_32 3
		.amdhsa_float_denorm_mode_16_64 3
		.amdhsa_dx10_clamp 1
		.amdhsa_ieee_mode 1
		.amdhsa_fp16_overflow 0
		.amdhsa_workgroup_processor_mode 1
		.amdhsa_memory_ordered 1
		.amdhsa_forward_progress 0
		.amdhsa_shared_vgpr_count 0
		.amdhsa_exception_fp_ieee_invalid_op 0
		.amdhsa_exception_fp_denorm_src 0
		.amdhsa_exception_fp_ieee_div_zero 0
		.amdhsa_exception_fp_ieee_overflow 0
		.amdhsa_exception_fp_ieee_underflow 0
		.amdhsa_exception_fp_ieee_inexact 0
		.amdhsa_exception_int_div_zero 0
	.end_amdhsa_kernel
	.section	.text._ZN5aiter20topk_softplus_kernelI6__halfS1_Dv1_fLb1ELi2EEEvPKT_PKT0_PfPimiiif,"axG",@progbits,_ZN5aiter20topk_softplus_kernelI6__halfS1_Dv1_fLb1ELi2EEEvPKT_PKT0_PfPimiiif,comdat
.Lfunc_end155:
	.size	_ZN5aiter20topk_softplus_kernelI6__halfS1_Dv1_fLb1ELi2EEEvPKT_PKT0_PfPimiiif, .Lfunc_end155-_ZN5aiter20topk_softplus_kernelI6__halfS1_Dv1_fLb1ELi2EEEvPKT_PKT0_PfPimiiif
                                        ; -- End function
	.section	.AMDGPU.csdata,"",@progbits
; Kernel info:
; codeLenInByte = 1892
; NumSgprs: 24
; NumVgprs: 12
; ScratchSize: 0
; MemoryBound: 0
; FloatMode: 240
; IeeeMode: 1
; LDSByteSize: 0 bytes/workgroup (compile time only)
; SGPRBlocks: 2
; VGPRBlocks: 1
; NumSGPRsForWavesPerEU: 24
; NumVGPRsForWavesPerEU: 12
; Occupancy: 16
; WaveLimiterHint : 0
; COMPUTE_PGM_RSRC2:SCRATCH_EN: 0
; COMPUTE_PGM_RSRC2:USER_SGPR: 15
; COMPUTE_PGM_RSRC2:TRAP_HANDLER: 0
; COMPUTE_PGM_RSRC2:TGID_X_EN: 1
; COMPUTE_PGM_RSRC2:TGID_Y_EN: 0
; COMPUTE_PGM_RSRC2:TGID_Z_EN: 0
; COMPUTE_PGM_RSRC2:TIDIG_COMP_CNT: 0
	.section	.text._ZN5aiter20topk_softplus_kernelI6__halfS1_Dv1_fLb0ELi2EEEvPKT_PKT0_PfPimiiif,"axG",@progbits,_ZN5aiter20topk_softplus_kernelI6__halfS1_Dv1_fLb0ELi2EEEvPKT_PKT0_PfPimiiif,comdat
	.protected	_ZN5aiter20topk_softplus_kernelI6__halfS1_Dv1_fLb0ELi2EEEvPKT_PKT0_PfPimiiif ; -- Begin function _ZN5aiter20topk_softplus_kernelI6__halfS1_Dv1_fLb0ELi2EEEvPKT_PKT0_PfPimiiif
	.globl	_ZN5aiter20topk_softplus_kernelI6__halfS1_Dv1_fLb0ELi2EEEvPKT_PKT0_PfPimiiif
	.p2align	8
	.type	_ZN5aiter20topk_softplus_kernelI6__halfS1_Dv1_fLb0ELi2EEEvPKT_PKT0_PfPimiiif,@function
_ZN5aiter20topk_softplus_kernelI6__halfS1_Dv1_fLb0ELi2EEEvPKT_PKT0_PfPimiiif: ; @_ZN5aiter20topk_softplus_kernelI6__halfS1_Dv1_fLb0ELi2EEEvPKT_PKT0_PfPimiiif
; %bb.0:
	s_clause 0x1
	s_load_b64 s[12:13], s[0:1], 0x28
	s_load_b256 s[4:11], s[0:1], 0x0
	v_lshl_add_u32 v3, v0, 2, 0
	s_waitcnt lgkmcnt(0)
	s_mul_i32 s16, s15, s12
	v_cmp_gt_i32_e64 s2, s12, v0
	s_ashr_i32 s17, s16, 31
	s_delay_alu instid0(SALU_CYCLE_1) | instskip(NEXT) | instid1(SALU_CYCLE_1)
	s_lshl_b64 s[16:17], s[16:17], 1
	s_add_u32 s3, s4, s16
	s_addc_u32 s4, s5, s17
	s_and_saveexec_b32 s5, s2
	s_cbranch_execz .LBB156_3
; %bb.1:
	s_load_b32 s14, s[0:1], 0x44
	v_lshl_add_u32 v4, v0, 2, 0
	v_mov_b32_e32 v1, v0
	s_mov_b32 s16, 0
	s_waitcnt lgkmcnt(0)
	s_and_b32 s14, s14, 0xffff
	s_delay_alu instid0(SALU_CYCLE_1)
	s_lshl_b32 s17, s14, 2
	.p2align	6
.LBB156_2:                              ; =>This Inner Loop Header: Depth=1
	v_ashrrev_i32_e32 v2, 31, v1
	s_delay_alu instid0(VALU_DEP_1) | instskip(SKIP_1) | instid1(VALU_DEP_2)
	v_lshlrev_b64 v[5:6], 1, v[1:2]
	v_add_nc_u32_e32 v1, s14, v1
	v_add_co_u32 v5, vcc_lo, s3, v5
	s_delay_alu instid0(VALU_DEP_3) | instskip(NEXT) | instid1(VALU_DEP_3)
	v_add_co_ci_u32_e32 v6, vcc_lo, s4, v6, vcc_lo
	v_cmp_le_i32_e32 vcc_lo, s12, v1
	global_load_u16 v2, v[5:6], off
	s_or_b32 s16, vcc_lo, s16
	s_waitcnt vmcnt(0)
	v_cvt_f32_f16_e32 v2, v2
	ds_store_b32 v4, v2
	v_add_nc_u32_e32 v4, s17, v4
	s_and_not1_b32 exec_lo, exec_lo, s16
	s_cbranch_execnz .LBB156_2
.LBB156_3:
	s_or_b32 exec_lo, exec_lo, s5
	v_add_nc_u32_e32 v1, s12, v0
	s_mov_b32 s5, exec_lo
	s_delay_alu instid0(VALU_DEP_1)
	v_cmpx_gt_i32_e64 s12, v1
	s_cbranch_execz .LBB156_6
; %bb.4:
	s_load_b32 s14, s[0:1], 0x44
	v_lshl_add_u32 v4, v1, 2, 0
	s_mov_b32 s16, 0
	s_waitcnt lgkmcnt(0)
	s_and_b32 s14, s14, 0xffff
	s_delay_alu instid0(SALU_CYCLE_1)
	s_lshl_b32 s17, s14, 2
	.p2align	6
.LBB156_5:                              ; =>This Inner Loop Header: Depth=1
	v_ashrrev_i32_e32 v2, 31, v1
	s_delay_alu instid0(VALU_DEP_1) | instskip(SKIP_1) | instid1(VALU_DEP_2)
	v_lshlrev_b64 v[5:6], 1, v[1:2]
	v_add_nc_u32_e32 v1, s14, v1
	v_add_co_u32 v5, vcc_lo, s3, v5
	s_delay_alu instid0(VALU_DEP_3) | instskip(NEXT) | instid1(VALU_DEP_3)
	v_add_co_ci_u32_e32 v6, vcc_lo, s4, v6, vcc_lo
	v_cmp_le_i32_e32 vcc_lo, s12, v1
	global_load_u16 v2, v[5:6], off
	s_or_b32 s16, vcc_lo, s16
	s_waitcnt vmcnt(0)
	v_cvt_f32_f16_e32 v2, v2
	ds_store_b32 v4, v2
	v_add_nc_u32_e32 v4, s17, v4
	s_and_not1_b32 exec_lo, exec_lo, s16
	s_cbranch_execnz .LBB156_5
.LBB156_6:
	s_or_b32 exec_lo, exec_lo, s5
	v_mov_b32_e32 v2, 0xff800000
	s_waitcnt lgkmcnt(0)
	s_barrier
	buffer_gl0_inv
	s_and_saveexec_b32 s3, s2
	s_cbranch_execz .LBB156_10
; %bb.7:
	s_load_b32 s4, s[0:1], 0x44
	v_lshl_add_u32 v1, v0, 2, 0
	v_mov_b32_e32 v2, 0xff800000
	v_mov_b32_e32 v4, v0
	s_waitcnt lgkmcnt(0)
	s_and_b32 s5, s4, 0xffff
	s_mov_b32 s4, 0
	s_lshl_b32 s14, s5, 2
.LBB156_8:                              ; =>This Inner Loop Header: Depth=1
	ds_load_b32 v5, v1
	v_add_nc_u32_e32 v4, s5, v4
	v_dual_max_f32 v2, v2, v2 :: v_dual_add_nc_u32 v1, s14, v1
	s_waitcnt lgkmcnt(0)
	v_max_f32_e32 v5, v5, v5
	s_delay_alu instid0(VALU_DEP_3) | instskip(NEXT) | instid1(VALU_DEP_2)
	v_cmp_le_i32_e32 vcc_lo, s12, v4
	v_max_f32_e32 v2, v2, v5
	s_or_b32 s4, vcc_lo, s4
	s_delay_alu instid0(SALU_CYCLE_1)
	s_and_not1_b32 exec_lo, exec_lo, s4
	s_cbranch_execnz .LBB156_8
; %bb.9:
	s_or_b32 exec_lo, exec_lo, s4
.LBB156_10:
	s_delay_alu instid0(SALU_CYCLE_1)
	s_or_b32 exec_lo, exec_lo, s3
	v_mov_b32_e32 v1, 0
	;;#ASMSTART
	v_max_f32 v4, v2, v2 quad_perm:[1,0,3,2] row_mask:0xf bank_mask:0xf bound_ctrl:1
	;;#ASMEND
	;;#ASMSTART
	v_max_f32 v2, v4, v4 quad_perm:[2,3,0,1] row_mask:0xf bank_mask:0xf bound_ctrl:1
	;;#ASMEND
	;;#ASMSTART
	v_max_f32 v4, v2, v2 row_half_mirror row_mask:0xf bank_mask:0xf bound_ctrl:1
	;;#ASMEND
	;;#ASMSTART
	v_max_f32 v2, v4, v4 row_mirror row_mask:0xf bank_mask:0xf bound_ctrl:1
	;;#ASMEND
	s_and_saveexec_b32 s3, s2
	s_cbranch_execz .LBB156_14
; %bb.11:
	s_load_b32 s4, s[0:1], 0x44
	s_mov_b32 s5, 0x76543210
	v_lshl_add_u32 v4, v0, 2, 0
	v_permlanex16_b32 v1, v2, s5, 0xfedcba98 op_sel:[1,1]
	v_dual_mov_b32 v5, v0 :: v_dual_max_f32 v2, v2, v2
	s_delay_alu instid0(VALU_DEP_2) | instskip(NEXT) | instid1(VALU_DEP_1)
	v_max_f32_e32 v1, v1, v1
	v_dual_max_f32 v2, v2, v1 :: v_dual_mov_b32 v1, 0
	s_waitcnt lgkmcnt(0)
	s_and_b32 s5, s4, 0xffff
	s_mov_b32 s4, 0
	s_lshl_b32 s14, s5, 2
	.p2align	6
.LBB156_12:                             ; =>This Inner Loop Header: Depth=1
	ds_load_b32 v6, v4
	s_waitcnt lgkmcnt(0)
	v_dual_sub_f32 v6, v6, v2 :: v_dual_add_nc_u32 v5, s5, v5
	s_delay_alu instid0(VALU_DEP_1) | instskip(NEXT) | instid1(VALU_DEP_1)
	v_mul_f32_e32 v7, 0x3fb8aa3b, v6
	v_cmp_gt_f32_e32 vcc_lo, 0xc2fc0000, v7
	v_cndmask_b32_e64 v7, 0, 0x42800000, vcc_lo
	s_delay_alu instid0(VALU_DEP_1) | instskip(NEXT) | instid1(VALU_DEP_1)
	v_fmac_f32_e32 v7, 0x3fb8aa3b, v6
	v_exp_f32_e32 v6, v7
	v_cndmask_b32_e64 v7, 1.0, 0x1f800000, vcc_lo
	v_cmp_le_i32_e32 vcc_lo, s12, v5
	s_or_b32 s4, vcc_lo, s4
	s_waitcnt_depctr 0xfff
	v_mul_f32_e32 v8, v6, v7
	v_fmac_f32_e32 v1, v6, v7
	ds_store_b32 v4, v8
	v_add_nc_u32_e32 v4, s14, v4
	s_and_not1_b32 exec_lo, exec_lo, s4
	s_cbranch_execnz .LBB156_12
; %bb.13:
	s_or_b32 exec_lo, exec_lo, s4
.LBB156_14:
	s_delay_alu instid0(SALU_CYCLE_1) | instskip(SKIP_1) | instid1(VALU_DEP_1)
	s_or_b32 exec_lo, exec_lo, s3
	v_mov_b32_dpp v2, v1 quad_perm:[1,0,3,2] row_mask:0xf bank_mask:0xf
	v_add_f32_e32 v1, v1, v2
	s_delay_alu instid0(VALU_DEP_1) | instskip(NEXT) | instid1(VALU_DEP_1)
	v_mov_b32_dpp v2, v1 quad_perm:[2,3,0,1] row_mask:0xf bank_mask:0xf
	v_add_f32_e32 v1, v1, v2
	s_delay_alu instid0(VALU_DEP_1) | instskip(NEXT) | instid1(VALU_DEP_1)
	v_mov_b32_dpp v2, v1 row_xmask:7 row_mask:0xf bank_mask:0xf
	v_add_f32_e32 v1, v1, v2
	s_delay_alu instid0(VALU_DEP_1)
	v_mov_b32_dpp v2, v1 row_xmask:15 row_mask:0xf bank_mask:0xf
	s_and_saveexec_b32 s3, s2
	s_cbranch_execz .LBB156_19
; %bb.15:
	s_delay_alu instid0(VALU_DEP_1)
	v_add_f32_e32 v1, v1, v2
	s_load_b32 s5, s[0:1], 0x44
	s_mov_b32 s4, 0x76543210
	s_cmp_lg_u64 s[6:7], 0
	v_lshl_add_u32 v5, v0, 2, 0
	v_permlanex16_b32 v2, v1, s4, 0xfedcba98 op_sel:[1,1]
	s_cselect_b32 s4, -1, 0
	s_mov_b32 s14, 0
	s_delay_alu instid0(VALU_DEP_1) | instskip(NEXT) | instid1(VALU_DEP_1)
	v_add_f32_e32 v1, v1, v2
	v_rcp_f32_e32 v4, v1
	v_mov_b32_e32 v1, v0
	s_waitcnt lgkmcnt(0)
	s_and_b32 s5, s5, 0xffff
	s_delay_alu instid0(SALU_CYCLE_1)
	s_lshl_b32 s16, s5, 2
	s_set_inst_prefetch_distance 0x1
	s_branch .LBB156_17
	.p2align	6
.LBB156_16:                             ;   in Loop: Header=BB156_17 Depth=1
	v_add_nc_u32_e32 v1, s5, v1
	v_add_nc_u32_e32 v5, s16, v5
	s_delay_alu instid0(VALU_DEP_2) | instskip(SKIP_1) | instid1(SALU_CYCLE_1)
	v_cmp_le_i32_e32 vcc_lo, s12, v1
	s_or_b32 s14, vcc_lo, s14
	s_and_not1_b32 exec_lo, exec_lo, s14
	s_cbranch_execz .LBB156_19
.LBB156_17:                             ; =>This Inner Loop Header: Depth=1
	ds_load_b32 v2, v5
	s_and_not1_b32 vcc_lo, exec_lo, s4
	s_waitcnt lgkmcnt(0)
	v_mul_f32_e32 v6, v4, v2
	ds_store_b32 v5, v6
	s_cbranch_vccnz .LBB156_16
; %bb.18:                               ;   in Loop: Header=BB156_17 Depth=1
	v_ashrrev_i32_e32 v2, 31, v1
	s_delay_alu instid0(VALU_DEP_1) | instskip(NEXT) | instid1(VALU_DEP_1)
	v_lshlrev_b64 v[7:8], 1, v[1:2]
	v_add_co_u32 v7, vcc_lo, s6, v7
	s_delay_alu instid0(VALU_DEP_2) | instskip(SKIP_3) | instid1(VALU_DEP_1)
	v_add_co_ci_u32_e32 v8, vcc_lo, s7, v8, vcc_lo
	global_load_u16 v2, v[7:8], off
	s_waitcnt vmcnt(0)
	v_cvt_f32_f16_e32 v2, v2
	v_add_f32_e32 v2, v6, v2
	ds_store_b32 v5, v2
	s_branch .LBB156_16
.LBB156_19:
	s_set_inst_prefetch_distance 0x2
	s_or_b32 exec_lo, exec_lo, s3
	s_cmp_lt_i32 s13, 1
	s_waitcnt lgkmcnt(0)
	s_barrier
	buffer_gl0_inv
	s_cbranch_scc1 .LBB156_28
; %bb.20:
	s_add_u32 s4, s0, 56
	s_addc_u32 s5, s1, 0
	v_dual_mov_b32 v4, 0 :: v_dual_mov_b32 v1, 0
	v_dual_mov_b32 v5, 0xff800000 :: v_dual_mov_b32 v2, 0
	s_cmp_lg_u64 s[6:7], 0
	s_mov_b32 s14, 0
	s_cselect_b32 s3, -1, 0
	s_mov_b32 s18, 0x76543210
	s_branch .LBB156_22
.LBB156_21:                             ;   in Loop: Header=BB156_22 Depth=1
	v_cmp_eq_u32_e32 vcc_lo, s14, v0
	s_delay_alu instid0(VALU_DEP_2)
	s_lshl_b32 s17, s16, 2
	s_add_i32 s14, s14, 1
	s_add_i32 s17, s17, 0
	s_cmp_eq_u32 s14, s13
	v_cndmask_b32_e64 v1, v1, s16, vcc_lo
	v_mov_b32_e32 v6, s17
	v_cndmask_b32_e32 v2, v2, v8, vcc_lo
	ds_store_b32 v6, v5
	s_cbranch_scc1 .LBB156_29
.LBB156_22:                             ; =>This Loop Header: Depth=1
                                        ;     Child Loop BB156_24 Depth 2
	v_dual_mov_b32 v6, s14 :: v_dual_mov_b32 v7, 0xff800000
	s_and_saveexec_b32 s16, s2
	s_cbranch_execz .LBB156_26
; %bb.23:                               ;   in Loop: Header=BB156_22 Depth=1
	s_load_b32 s17, s[4:5], 0xc
	v_dual_mov_b32 v6, s14 :: v_dual_mov_b32 v7, 0xff800000
	v_dual_mov_b32 v8, v3 :: v_dual_mov_b32 v9, v0
	s_mov_b32 s19, 0
	s_waitcnt lgkmcnt(0)
	s_and_b32 s17, s17, 0xffff
	s_delay_alu instid0(SALU_CYCLE_1)
	s_lshl_b32 s20, s17, 2
.LBB156_24:                             ;   Parent Loop BB156_22 Depth=1
                                        ; =>  This Inner Loop Header: Depth=2
	ds_load_b32 v10, v8
	v_add_nc_u32_e32 v8, s20, v8
	s_waitcnt lgkmcnt(0)
	v_cmp_gt_f32_e32 vcc_lo, v10, v7
	v_dual_cndmask_b32 v7, v7, v10 :: v_dual_cndmask_b32 v6, v6, v9
	v_add_nc_u32_e32 v9, s17, v9
	s_delay_alu instid0(VALU_DEP_1) | instskip(SKIP_1) | instid1(SALU_CYCLE_1)
	v_cmp_le_i32_e32 vcc_lo, s12, v9
	s_or_b32 s19, vcc_lo, s19
	s_and_not1_b32 exec_lo, exec_lo, s19
	s_cbranch_execnz .LBB156_24
; %bb.25:                               ;   in Loop: Header=BB156_22 Depth=1
	s_or_b32 exec_lo, exec_lo, s19
.LBB156_26:                             ;   in Loop: Header=BB156_22 Depth=1
	s_delay_alu instid0(SALU_CYCLE_1)
	s_or_b32 exec_lo, exec_lo, s16
	;;#ASMSTART
	v_max_f32 v8, v7, v7 quad_perm:[1,0,3,2] row_mask:0xf bank_mask:0xf bound_ctrl:1
	;;#ASMEND
	;;#ASMSTART
	v_max_f32 v9, v8, v8 quad_perm:[2,3,0,1] row_mask:0xf bank_mask:0xf bound_ctrl:1
	;;#ASMEND
	;;#ASMSTART
	v_max_f32 v8, v9, v9 row_half_mirror row_mask:0xf bank_mask:0xf bound_ctrl:1
	;;#ASMEND
	;;#ASMSTART
	v_max_f32 v9, v8, v8 row_mirror row_mask:0xf bank_mask:0xf bound_ctrl:1
	;;#ASMEND
	v_permlanex16_b32 v8, v9, s18, 0xfedcba98 op_sel:[1,1]
	s_delay_alu instid0(VALU_DEP_1) | instskip(NEXT) | instid1(VALU_DEP_1)
	v_dual_max_f32 v9, v9, v9 :: v_dual_max_f32 v8, v8, v8
	v_max_f32_e32 v8, v9, v8
	s_delay_alu instid0(VALU_DEP_1)
	v_cmp_eq_f32_e32 vcc_lo, v7, v8
	s_ctz_i32_b32 s16, vcc_lo
	s_cmp_lg_u32 vcc_lo, 0
	s_cselect_b32 s16, s16, 0
	s_and_b32 vcc_lo, exec_lo, s3
	v_readlane_b32 s16, v6, s16
	s_cbranch_vccz .LBB156_21
; %bb.27:                               ;   in Loop: Header=BB156_22 Depth=1
	s_delay_alu instid0(VALU_DEP_1) | instskip(NEXT) | instid1(SALU_CYCLE_1)
	s_ashr_i32 s17, s16, 31
	s_lshl_b64 s[20:21], s[16:17], 1
	s_delay_alu instid0(SALU_CYCLE_1) | instskip(SKIP_4) | instid1(VALU_DEP_1)
	s_add_u32 s20, s6, s20
	s_addc_u32 s21, s7, s21
	global_load_u16 v6, v4, s[20:21]
	s_waitcnt vmcnt(0)
	v_cvt_f32_f16_e32 v6, v6
	v_sub_f32_e32 v8, v8, v6
	s_branch .LBB156_21
.LBB156_28:
	v_dual_mov_b32 v2, 0 :: v_dual_mov_b32 v1, 0
.LBB156_29:
	s_mov_b32 s2, exec_lo
	v_cmpx_gt_i32_e64 s13, v0
	s_cbranch_execz .LBB156_32
; %bb.30:
	s_clause 0x2
	s_load_b32 s4, s[0:1], 0x34
	s_load_b64 s[2:3], s[0:1], 0x20
	s_load_b32 s0, s[0:1], 0x44
	s_ashr_i32 s1, s15, 31
	s_waitcnt lgkmcnt(0)
	v_mul_f32_e32 v2, s4, v2
	s_mul_i32 s3, s15, s3
	s_mul_hi_u32 s4, s15, s2
	s_mul_i32 s5, s1, s2
	s_add_i32 s3, s4, s3
	s_mul_i32 s1, s15, s2
	s_and_b32 s2, s0, 0xffff
	s_add_i32 s3, s3, s5
	s_mov_b32 s4, 0
	.p2align	6
.LBB156_31:                             ; =>This Inner Loop Header: Depth=1
	v_ashrrev_i32_e32 v4, 31, v0
	v_add_co_u32 v3, vcc_lo, s1, v0
	v_add_nc_u32_e32 v0, s2, v0
	s_delay_alu instid0(VALU_DEP_3) | instskip(NEXT) | instid1(VALU_DEP_2)
	v_add_co_ci_u32_e32 v4, vcc_lo, s3, v4, vcc_lo
	v_cmp_le_i32_e32 vcc_lo, s13, v0
	s_delay_alu instid0(VALU_DEP_2) | instskip(SKIP_1) | instid1(VALU_DEP_1)
	v_lshlrev_b64 v[3:4], 2, v[3:4]
	s_or_b32 s4, vcc_lo, s4
	v_add_co_u32 v5, s0, s8, v3
	s_delay_alu instid0(VALU_DEP_1) | instskip(SKIP_1) | instid1(VALU_DEP_1)
	v_add_co_ci_u32_e64 v6, s0, s9, v4, s0
	v_add_co_u32 v3, s0, s10, v3
	v_add_co_ci_u32_e64 v4, s0, s11, v4, s0
	global_store_b32 v[5:6], v2, off
	global_store_b32 v[3:4], v1, off
	s_and_not1_b32 exec_lo, exec_lo, s4
	s_cbranch_execnz .LBB156_31
.LBB156_32:
	s_nop 0
	s_sendmsg sendmsg(MSG_DEALLOC_VGPRS)
	s_endpgm
	.section	.rodata,"a",@progbits
	.p2align	6, 0x0
	.amdhsa_kernel _ZN5aiter20topk_softplus_kernelI6__halfS1_Dv1_fLb0ELi2EEEvPKT_PKT0_PfPimiiif
		.amdhsa_group_segment_fixed_size 0
		.amdhsa_private_segment_fixed_size 0
		.amdhsa_kernarg_size 312
		.amdhsa_user_sgpr_count 15
		.amdhsa_user_sgpr_dispatch_ptr 0
		.amdhsa_user_sgpr_queue_ptr 0
		.amdhsa_user_sgpr_kernarg_segment_ptr 1
		.amdhsa_user_sgpr_dispatch_id 0
		.amdhsa_user_sgpr_private_segment_size 0
		.amdhsa_wavefront_size32 1
		.amdhsa_uses_dynamic_stack 0
		.amdhsa_enable_private_segment 0
		.amdhsa_system_sgpr_workgroup_id_x 1
		.amdhsa_system_sgpr_workgroup_id_y 0
		.amdhsa_system_sgpr_workgroup_id_z 0
		.amdhsa_system_sgpr_workgroup_info 0
		.amdhsa_system_vgpr_workitem_id 0
		.amdhsa_next_free_vgpr 11
		.amdhsa_next_free_sgpr 22
		.amdhsa_reserve_vcc 1
		.amdhsa_float_round_mode_32 0
		.amdhsa_float_round_mode_16_64 0
		.amdhsa_float_denorm_mode_32 3
		.amdhsa_float_denorm_mode_16_64 3
		.amdhsa_dx10_clamp 1
		.amdhsa_ieee_mode 1
		.amdhsa_fp16_overflow 0
		.amdhsa_workgroup_processor_mode 1
		.amdhsa_memory_ordered 1
		.amdhsa_forward_progress 0
		.amdhsa_shared_vgpr_count 0
		.amdhsa_exception_fp_ieee_invalid_op 0
		.amdhsa_exception_fp_denorm_src 0
		.amdhsa_exception_fp_ieee_div_zero 0
		.amdhsa_exception_fp_ieee_overflow 0
		.amdhsa_exception_fp_ieee_underflow 0
		.amdhsa_exception_fp_ieee_inexact 0
		.amdhsa_exception_int_div_zero 0
	.end_amdhsa_kernel
	.section	.text._ZN5aiter20topk_softplus_kernelI6__halfS1_Dv1_fLb0ELi2EEEvPKT_PKT0_PfPimiiif,"axG",@progbits,_ZN5aiter20topk_softplus_kernelI6__halfS1_Dv1_fLb0ELi2EEEvPKT_PKT0_PfPimiiif,comdat
.Lfunc_end156:
	.size	_ZN5aiter20topk_softplus_kernelI6__halfS1_Dv1_fLb0ELi2EEEvPKT_PKT0_PfPimiiif, .Lfunc_end156-_ZN5aiter20topk_softplus_kernelI6__halfS1_Dv1_fLb0ELi2EEEvPKT_PKT0_PfPimiiif
                                        ; -- End function
	.section	.AMDGPU.csdata,"",@progbits
; Kernel info:
; codeLenInByte = 1768
; NumSgprs: 24
; NumVgprs: 11
; ScratchSize: 0
; MemoryBound: 0
; FloatMode: 240
; IeeeMode: 1
; LDSByteSize: 0 bytes/workgroup (compile time only)
; SGPRBlocks: 2
; VGPRBlocks: 1
; NumSGPRsForWavesPerEU: 24
; NumVGPRsForWavesPerEU: 11
; Occupancy: 16
; WaveLimiterHint : 0
; COMPUTE_PGM_RSRC2:SCRATCH_EN: 0
; COMPUTE_PGM_RSRC2:USER_SGPR: 15
; COMPUTE_PGM_RSRC2:TRAP_HANDLER: 0
; COMPUTE_PGM_RSRC2:TGID_X_EN: 1
; COMPUTE_PGM_RSRC2:TGID_Y_EN: 0
; COMPUTE_PGM_RSRC2:TGID_Z_EN: 0
; COMPUTE_PGM_RSRC2:TIDIG_COMP_CNT: 0
	.section	.text._ZN5aiter24topk_softplus_kernel_optI6__halfS1_Li64ELb1ELi0EEEvPKT_PKT0_PfPimiif,"axG",@progbits,_ZN5aiter24topk_softplus_kernel_optI6__halfS1_Li64ELb1ELi0EEEvPKT_PKT0_PfPimiif,comdat
	.protected	_ZN5aiter24topk_softplus_kernel_optI6__halfS1_Li64ELb1ELi0EEEvPKT_PKT0_PfPimiif ; -- Begin function _ZN5aiter24topk_softplus_kernel_optI6__halfS1_Li64ELb1ELi0EEEvPKT_PKT0_PfPimiif
	.globl	_ZN5aiter24topk_softplus_kernel_optI6__halfS1_Li64ELb1ELi0EEEvPKT_PKT0_PfPimiif
	.p2align	8
	.type	_ZN5aiter24topk_softplus_kernel_optI6__halfS1_Li64ELb1ELi0EEEvPKT_PKT0_PfPimiif,@function
_ZN5aiter24topk_softplus_kernel_optI6__halfS1_Li64ELb1ELi0EEEvPKT_PKT0_PfPimiif: ; @_ZN5aiter24topk_softplus_kernel_optI6__halfS1_Li64ELb1ELi0EEEvPKT_PKT0_PfPimiif
; %bb.0:
	s_load_b128 s[4:7], s[0:1], 0x0
	s_lshl_b32 s2, s15, 6
	v_lshlrev_b32_e32 v3, 1, v0
	s_ashr_i32 s3, s2, 31
	s_delay_alu instid0(SALU_CYCLE_1)
	s_lshl_b64 s[2:3], s[2:3], 1
	s_waitcnt lgkmcnt(0)
	s_add_u32 s8, s4, s2
	s_addc_u32 s9, s5, s3
	s_mov_b32 s4, 0x3fb8aa3b
	global_load_u16 v1, v3, s[8:9]
	s_cmp_lg_u64 s[6:7], 0
	s_cselect_b32 s3, -1, 0
	s_waitcnt vmcnt(0)
	v_cvt_f32_f16_e32 v2, v1
	s_delay_alu instid0(VALU_DEP_1) | instskip(NEXT) | instid1(VALU_DEP_1)
	v_mul_f32_e32 v4, 0x3fb8aa3b, v2
	v_cmp_gt_f32_e32 vcc_lo, 0xc2fc0000, v4
	v_cndmask_b32_e64 v4, 0, 0x42800000, vcc_lo
	v_cndmask_b32_e64 v5, 1.0, 0x1f800000, vcc_lo
	s_delay_alu instid0(VALU_DEP_2) | instskip(NEXT) | instid1(VALU_DEP_1)
	v_fma_mix_f32 v4, v1, s4, v4 op_sel_hi:[1,0,0]
	v_exp_f32_e32 v4, v4
	s_waitcnt_depctr 0xfff
	v_fma_f32 v4, v4, v5, 1.0
	s_delay_alu instid0(VALU_DEP_1) | instskip(SKIP_1) | instid1(VALU_DEP_1)
	v_cmp_gt_f32_e32 vcc_lo, 0x800000, v4
	v_cndmask_b32_e64 v5, 1.0, 0x4f800000, vcc_lo
	v_mul_f32_e32 v4, v4, v5
	v_cndmask_b32_e64 v5, 0, 0x42000000, vcc_lo
	v_cmp_lt_f16_e32 vcc_lo, 0x4d00, v1
	s_delay_alu instid0(VALU_DEP_3) | instskip(SKIP_2) | instid1(VALU_DEP_1)
	v_log_f32_e32 v4, v4
	s_waitcnt_depctr 0xfff
	v_sub_f32_e32 v4, v4, v5
	v_mul_f32_e32 v4, 0x3f317218, v4
	s_delay_alu instid0(VALU_DEP_1) | instskip(NEXT) | instid1(VALU_DEP_1)
	v_cndmask_b32_e32 v1, v4, v2, vcc_lo
	v_mul_f32_e32 v2, 0x4f800000, v1
	v_cmp_gt_f32_e32 vcc_lo, 0xf800000, v1
	s_delay_alu instid0(VALU_DEP_2) | instskip(NEXT) | instid1(VALU_DEP_1)
	v_cndmask_b32_e32 v1, v1, v2, vcc_lo
	v_sqrt_f32_e32 v2, v1
	s_waitcnt_depctr 0xfff
	v_add_nc_u32_e32 v4, -1, v2
	v_add_nc_u32_e32 v5, 1, v2
	s_delay_alu instid0(VALU_DEP_2) | instskip(NEXT) | instid1(VALU_DEP_2)
	v_fma_f32 v6, -v4, v2, v1
	v_fma_f32 v7, -v5, v2, v1
	s_delay_alu instid0(VALU_DEP_2) | instskip(NEXT) | instid1(VALU_DEP_1)
	v_cmp_ge_f32_e64 s2, 0, v6
	v_cndmask_b32_e64 v2, v2, v4, s2
	s_delay_alu instid0(VALU_DEP_3) | instskip(NEXT) | instid1(VALU_DEP_1)
	v_cmp_lt_f32_e64 s2, 0, v7
	v_cndmask_b32_e64 v2, v2, v5, s2
	s_delay_alu instid0(VALU_DEP_1) | instskip(NEXT) | instid1(VALU_DEP_1)
	v_mul_f32_e32 v4, 0x37800000, v2
	v_cndmask_b32_e32 v2, v2, v4, vcc_lo
	v_cmp_class_f32_e64 vcc_lo, v1, 0x260
	s_delay_alu instid0(VALU_DEP_2) | instskip(SKIP_1) | instid1(VALU_DEP_1)
	v_cndmask_b32_e32 v4, v2, v1, vcc_lo
	v_add_co_u32 v1, s2, s8, v3
	v_add_co_ci_u32_e64 v2, null, s9, 0, s2
	s_delay_alu instid0(VALU_DEP_3)
	v_mov_b32_e32 v5, v4
	s_and_b32 vcc_lo, exec_lo, s3
	s_cbranch_vccz .LBB157_2
; %bb.1:
	global_load_u16 v5, v3, s[6:7]
	s_waitcnt vmcnt(0)
	v_cvt_f32_f16_e32 v5, v5
	s_delay_alu instid0(VALU_DEP_1)
	v_add_f32_e32 v5, v4, v5
.LBB157_2:
	global_load_u16 v1, v[1:2], off offset:64
	s_waitcnt vmcnt(0)
	v_cvt_f32_f16_e32 v2, v1
	s_delay_alu instid0(VALU_DEP_1) | instskip(NEXT) | instid1(VALU_DEP_1)
	v_mul_f32_e32 v6, 0x3fb8aa3b, v2
	v_cmp_gt_f32_e32 vcc_lo, 0xc2fc0000, v6
	v_cndmask_b32_e64 v7, 0, 0x42800000, vcc_lo
	v_cndmask_b32_e64 v6, 1.0, 0x1f800000, vcc_lo
	s_delay_alu instid0(VALU_DEP_2) | instskip(NEXT) | instid1(VALU_DEP_1)
	v_fma_mix_f32 v7, v1, s4, v7 op_sel_hi:[1,0,0]
	v_exp_f32_e32 v7, v7
	s_waitcnt_depctr 0xfff
	v_fma_f32 v6, v7, v6, 1.0
	s_delay_alu instid0(VALU_DEP_1) | instskip(SKIP_1) | instid1(VALU_DEP_1)
	v_cmp_gt_f32_e32 vcc_lo, 0x800000, v6
	v_cndmask_b32_e64 v7, 1.0, 0x4f800000, vcc_lo
	v_mul_f32_e32 v6, v6, v7
	v_cndmask_b32_e64 v7, 0, 0x42000000, vcc_lo
	v_cmp_lt_f16_e32 vcc_lo, 0x4d00, v1
	s_delay_alu instid0(VALU_DEP_3) | instskip(SKIP_2) | instid1(VALU_DEP_1)
	v_log_f32_e32 v6, v6
	s_waitcnt_depctr 0xfff
	v_sub_f32_e32 v6, v6, v7
	v_mul_f32_e32 v6, 0x3f317218, v6
	s_delay_alu instid0(VALU_DEP_1) | instskip(NEXT) | instid1(VALU_DEP_1)
	v_cndmask_b32_e32 v1, v6, v2, vcc_lo
	v_mul_f32_e32 v2, 0x4f800000, v1
	v_cmp_gt_f32_e32 vcc_lo, 0xf800000, v1
	s_delay_alu instid0(VALU_DEP_2) | instskip(NEXT) | instid1(VALU_DEP_1)
	v_cndmask_b32_e32 v1, v1, v2, vcc_lo
	v_sqrt_f32_e32 v2, v1
	s_waitcnt_depctr 0xfff
	v_add_nc_u32_e32 v7, 1, v2
	v_add_nc_u32_e32 v6, -1, v2
	s_delay_alu instid0(VALU_DEP_2) | instskip(NEXT) | instid1(VALU_DEP_2)
	v_fma_f32 v9, -v7, v2, v1
	v_fma_f32 v8, -v6, v2, v1
	s_delay_alu instid0(VALU_DEP_1) | instskip(NEXT) | instid1(VALU_DEP_1)
	v_cmp_ge_f32_e64 s2, 0, v8
	v_cndmask_b32_e64 v2, v2, v6, s2
	s_delay_alu instid0(VALU_DEP_4) | instskip(NEXT) | instid1(VALU_DEP_1)
	v_cmp_lt_f32_e64 s2, 0, v9
	v_cndmask_b32_e64 v2, v2, v7, s2
	s_delay_alu instid0(VALU_DEP_1) | instskip(NEXT) | instid1(VALU_DEP_1)
	v_mul_f32_e32 v6, 0x37800000, v2
	v_cndmask_b32_e32 v2, v2, v6, vcc_lo
	v_cmp_class_f32_e64 vcc_lo, v1, 0x260
	s_delay_alu instid0(VALU_DEP_2) | instskip(SKIP_1) | instid1(VALU_DEP_1)
	v_cndmask_b32_e32 v10, v2, v1, vcc_lo
	s_and_not1_b32 vcc_lo, exec_lo, s3
	v_mov_b32_e32 v9, v10
	s_cbranch_vccnz .LBB157_4
; %bb.3:
	global_load_u16 v1, v3, s[6:7] offset:64
	s_waitcnt vmcnt(0)
	v_cvt_f32_f16_e32 v1, v1
	s_delay_alu instid0(VALU_DEP_1)
	v_add_f32_e32 v9, v10, v1
.LBB157_4:
	s_clause 0x1
	s_load_b32 s8, s[0:1], 0x28
	s_load_b128 s[4:7], s[0:1], 0x10
	v_dual_mov_b32 v3, 0 :: v_dual_mov_b32 v2, 0
	v_mov_b32_e32 v1, 0
	s_waitcnt lgkmcnt(0)
	s_cmp_gt_i32 s8, 0
	s_cbranch_scc0 .LBB157_7
; %bb.5:
	v_cmp_lt_f32_e32 vcc_lo, v5, v9
	v_add_nc_u32_e32 v1, 32, v0
	v_dual_mov_b32 v3, 0 :: v_dual_mov_b32 v2, 0
	v_dual_mov_b32 v11, v0 :: v_dual_cndmask_b32 v8, v9, v5
	s_delay_alu instid0(VALU_DEP_3)
	v_dual_cndmask_b32 v6, v1, v0 :: v_dual_cndmask_b32 v7, v0, v1
	v_cndmask_b32_e32 v5, v5, v9, vcc_lo
	v_dual_cndmask_b32 v9, v10, v4 :: v_dual_cndmask_b32 v4, v4, v10
	v_dual_mov_b32 v10, 0 :: v_dual_mov_b32 v1, 0
	s_mov_b32 s9, 0x76543210
	s_mov_b32 s10, s8
.LBB157_6:                              ; =>This Inner Loop Header: Depth=1
	s_delay_alu instid0(VALU_DEP_1) | instskip(SKIP_2) | instid1(VALU_DEP_1)
	v_cmp_eq_u32_e32 vcc_lo, 1, v10
	v_cmp_gt_u32_e64 s2, 2, v10
	v_dual_cndmask_b32 v12, v5, v8 :: v_dual_cndmask_b32 v13, v7, v6
	v_cndmask_b32_e64 v12, 0xff800000, v12, s2
	;;#ASMSTART
	v_max_f32 v15, v12, v12 quad_perm:[1,0,3,2] row_mask:0xf bank_mask:0xf bound_ctrl:1
	;;#ASMEND
	;;#ASMSTART
	v_max_f32 v16, v15, v15 quad_perm:[2,3,0,1] row_mask:0xf bank_mask:0xf bound_ctrl:1
	;;#ASMEND
	;;#ASMSTART
	v_max_f32 v15, v16, v16 row_half_mirror row_mask:0xf bank_mask:0xf bound_ctrl:1
	;;#ASMEND
	;;#ASMSTART
	v_max_f32 v16, v15, v15 row_mirror row_mask:0xf bank_mask:0xf bound_ctrl:1
	;;#ASMEND
	v_permlanex16_b32 v15, v16, s9, 0xfedcba98 op_sel:[1,1]
	v_max_f32_e32 v16, v16, v16
	v_cndmask_b32_e64 v14, 0, v13, s2
	s_delay_alu instid0(VALU_DEP_3) | instskip(NEXT) | instid1(VALU_DEP_1)
	v_max_f32_e32 v15, v15, v15
	v_max_f32_e32 v15, v16, v15
	s_delay_alu instid0(VALU_DEP_1) | instskip(SKIP_1) | instid1(VALU_DEP_2)
	v_cmp_eq_f32_e64 s3, v12, v15
	v_cndmask_b32_e32 v12, v4, v9, vcc_lo
	s_ctz_i32_b32 s11, s3
	s_cmp_lg_u32 s3, 0
	s_cselect_b32 s3, s11, 0
	s_add_i32 s10, s10, -1
	v_readlane_b32 s3, v14, s3
	s_delay_alu instid0(VALU_DEP_1)
	v_cmp_eq_u32_e32 vcc_lo, s3, v13
	s_and_b32 vcc_lo, s2, vcc_lo
	s_and_b32 s2, s3, 31
	v_cndmask_b32_e32 v12, 0, v12, vcc_lo
	v_add_co_ci_u32_e32 v10, vcc_lo, 0, v10, vcc_lo
	s_cmp_eq_u32 s10, 0
	s_delay_alu instid0(VALU_DEP_2) | instskip(SKIP_2) | instid1(VALU_DEP_3)
	v_readlane_b32 s11, v12, s2
	v_cmp_eq_u32_e64 s2, 0, v11
	v_add_nc_u32_e32 v11, -1, v11
	v_add_f32_e32 v3, s11, v3
	s_delay_alu instid0(VALU_DEP_3)
	v_cndmask_b32_e64 v2, v2, s11, s2
	v_cndmask_b32_e64 v1, v1, s3, s2
	s_cbranch_scc0 .LBB157_6
.LBB157_7:
	s_mov_b32 s2, exec_lo
	v_cmpx_gt_i32_e64 s8, v0
	s_cbranch_execz .LBB157_9
; %bb.8:
	s_load_b32 s2, s[0:1], 0x30
	v_max_f32_e32 v3, v3, v3
	s_load_b64 s[0:1], s[0:1], 0x20
	s_ashr_i32 s3, s15, 31
	s_delay_alu instid0(VALU_DEP_1) | instskip(SKIP_1) | instid1(VALU_DEP_1)
	v_dual_max_f32 v3, 0x1e3ce508, v3 :: v_dual_lshlrev_b32 v0, 2, v0
	s_waitcnt lgkmcnt(0)
	v_div_scale_f32 v4, null, v3, v3, s2
	v_div_scale_f32 v7, vcc_lo, s2, v3, s2
	s_mul_i32 s1, s15, s1
	s_delay_alu instid0(VALU_DEP_2)
	v_rcp_f32_e32 v5, v4
	s_mul_hi_u32 s8, s15, s0
	s_mul_i32 s3, s3, s0
	s_add_i32 s1, s8, s1
	s_mul_i32 s0, s15, s0
	s_add_i32 s1, s1, s3
	s_delay_alu instid0(SALU_CYCLE_1) | instskip(SKIP_2) | instid1(VALU_DEP_1)
	s_lshl_b64 s[0:1], s[0:1], 2
	s_waitcnt_depctr 0xfff
	v_fma_f32 v6, -v4, v5, 1.0
	v_fmac_f32_e32 v5, v6, v5
	s_delay_alu instid0(VALU_DEP_1) | instskip(NEXT) | instid1(VALU_DEP_1)
	v_mul_f32_e32 v6, v7, v5
	v_fma_f32 v8, -v4, v6, v7
	s_delay_alu instid0(VALU_DEP_1) | instskip(NEXT) | instid1(VALU_DEP_1)
	v_fmac_f32_e32 v6, v8, v5
	v_fma_f32 v4, -v4, v6, v7
	s_delay_alu instid0(VALU_DEP_1) | instskip(NEXT) | instid1(VALU_DEP_1)
	v_div_fmas_f32 v4, v4, v5, v6
	v_div_fixup_f32 v3, v4, v3, s2
	s_add_u32 s2, s4, s0
	s_addc_u32 s3, s5, s1
	s_add_u32 s0, s6, s0
	s_addc_u32 s1, s7, s1
	v_mul_f32_e32 v2, v2, v3
	s_clause 0x1
	global_store_b32 v0, v2, s[2:3]
	global_store_b32 v0, v1, s[0:1]
.LBB157_9:
	s_nop 0
	s_sendmsg sendmsg(MSG_DEALLOC_VGPRS)
	s_endpgm
	.section	.rodata,"a",@progbits
	.p2align	6, 0x0
	.amdhsa_kernel _ZN5aiter24topk_softplus_kernel_optI6__halfS1_Li64ELb1ELi0EEEvPKT_PKT0_PfPimiif
		.amdhsa_group_segment_fixed_size 0
		.amdhsa_private_segment_fixed_size 0
		.amdhsa_kernarg_size 52
		.amdhsa_user_sgpr_count 15
		.amdhsa_user_sgpr_dispatch_ptr 0
		.amdhsa_user_sgpr_queue_ptr 0
		.amdhsa_user_sgpr_kernarg_segment_ptr 1
		.amdhsa_user_sgpr_dispatch_id 0
		.amdhsa_user_sgpr_private_segment_size 0
		.amdhsa_wavefront_size32 1
		.amdhsa_uses_dynamic_stack 0
		.amdhsa_enable_private_segment 0
		.amdhsa_system_sgpr_workgroup_id_x 1
		.amdhsa_system_sgpr_workgroup_id_y 0
		.amdhsa_system_sgpr_workgroup_id_z 0
		.amdhsa_system_sgpr_workgroup_info 0
		.amdhsa_system_vgpr_workitem_id 0
		.amdhsa_next_free_vgpr 17
		.amdhsa_next_free_sgpr 16
		.amdhsa_reserve_vcc 1
		.amdhsa_float_round_mode_32 0
		.amdhsa_float_round_mode_16_64 0
		.amdhsa_float_denorm_mode_32 3
		.amdhsa_float_denorm_mode_16_64 3
		.amdhsa_dx10_clamp 1
		.amdhsa_ieee_mode 1
		.amdhsa_fp16_overflow 0
		.amdhsa_workgroup_processor_mode 1
		.amdhsa_memory_ordered 1
		.amdhsa_forward_progress 0
		.amdhsa_shared_vgpr_count 0
		.amdhsa_exception_fp_ieee_invalid_op 0
		.amdhsa_exception_fp_denorm_src 0
		.amdhsa_exception_fp_ieee_div_zero 0
		.amdhsa_exception_fp_ieee_overflow 0
		.amdhsa_exception_fp_ieee_underflow 0
		.amdhsa_exception_fp_ieee_inexact 0
		.amdhsa_exception_int_div_zero 0
	.end_amdhsa_kernel
	.section	.text._ZN5aiter24topk_softplus_kernel_optI6__halfS1_Li64ELb1ELi0EEEvPKT_PKT0_PfPimiif,"axG",@progbits,_ZN5aiter24topk_softplus_kernel_optI6__halfS1_Li64ELb1ELi0EEEvPKT_PKT0_PfPimiif,comdat
.Lfunc_end157:
	.size	_ZN5aiter24topk_softplus_kernel_optI6__halfS1_Li64ELb1ELi0EEEvPKT_PKT0_PfPimiif, .Lfunc_end157-_ZN5aiter24topk_softplus_kernel_optI6__halfS1_Li64ELb1ELi0EEEvPKT_PKT0_PfPimiif
                                        ; -- End function
	.section	.AMDGPU.csdata,"",@progbits
; Kernel info:
; codeLenInByte = 1376
; NumSgprs: 18
; NumVgprs: 17
; ScratchSize: 0
; MemoryBound: 0
; FloatMode: 240
; IeeeMode: 1
; LDSByteSize: 0 bytes/workgroup (compile time only)
; SGPRBlocks: 2
; VGPRBlocks: 2
; NumSGPRsForWavesPerEU: 18
; NumVGPRsForWavesPerEU: 17
; Occupancy: 16
; WaveLimiterHint : 0
; COMPUTE_PGM_RSRC2:SCRATCH_EN: 0
; COMPUTE_PGM_RSRC2:USER_SGPR: 15
; COMPUTE_PGM_RSRC2:TRAP_HANDLER: 0
; COMPUTE_PGM_RSRC2:TGID_X_EN: 1
; COMPUTE_PGM_RSRC2:TGID_Y_EN: 0
; COMPUTE_PGM_RSRC2:TGID_Z_EN: 0
; COMPUTE_PGM_RSRC2:TIDIG_COMP_CNT: 0
	.section	.text._ZN5aiter24topk_softplus_kernel_optI6__halfS1_Li64ELb0ELi0EEEvPKT_PKT0_PfPimiif,"axG",@progbits,_ZN5aiter24topk_softplus_kernel_optI6__halfS1_Li64ELb0ELi0EEEvPKT_PKT0_PfPimiif,comdat
	.protected	_ZN5aiter24topk_softplus_kernel_optI6__halfS1_Li64ELb0ELi0EEEvPKT_PKT0_PfPimiif ; -- Begin function _ZN5aiter24topk_softplus_kernel_optI6__halfS1_Li64ELb0ELi0EEEvPKT_PKT0_PfPimiif
	.globl	_ZN5aiter24topk_softplus_kernel_optI6__halfS1_Li64ELb0ELi0EEEvPKT_PKT0_PfPimiif
	.p2align	8
	.type	_ZN5aiter24topk_softplus_kernel_optI6__halfS1_Li64ELb0ELi0EEEvPKT_PKT0_PfPimiif,@function
_ZN5aiter24topk_softplus_kernel_optI6__halfS1_Li64ELb0ELi0EEEvPKT_PKT0_PfPimiif: ; @_ZN5aiter24topk_softplus_kernel_optI6__halfS1_Li64ELb0ELi0EEEvPKT_PKT0_PfPimiif
; %bb.0:
	s_load_b128 s[4:7], s[0:1], 0x0
	s_lshl_b32 s2, s15, 6
	v_lshlrev_b32_e32 v3, 1, v0
	s_ashr_i32 s3, s2, 31
	s_delay_alu instid0(SALU_CYCLE_1)
	s_lshl_b64 s[2:3], s[2:3], 1
	s_waitcnt lgkmcnt(0)
	s_add_u32 s8, s4, s2
	s_addc_u32 s9, s5, s3
	s_mov_b32 s4, 0x3fb8aa3b
	global_load_u16 v1, v3, s[8:9]
	s_cmp_lg_u64 s[6:7], 0
	s_cselect_b32 s3, -1, 0
	s_waitcnt vmcnt(0)
	v_cvt_f32_f16_e32 v2, v1
	s_delay_alu instid0(VALU_DEP_1) | instskip(NEXT) | instid1(VALU_DEP_1)
	v_mul_f32_e32 v4, 0x3fb8aa3b, v2
	v_cmp_gt_f32_e32 vcc_lo, 0xc2fc0000, v4
	v_cndmask_b32_e64 v4, 0, 0x42800000, vcc_lo
	v_cndmask_b32_e64 v5, 1.0, 0x1f800000, vcc_lo
	s_delay_alu instid0(VALU_DEP_2) | instskip(NEXT) | instid1(VALU_DEP_1)
	v_fma_mix_f32 v4, v1, s4, v4 op_sel_hi:[1,0,0]
	v_exp_f32_e32 v4, v4
	s_waitcnt_depctr 0xfff
	v_fma_f32 v4, v4, v5, 1.0
	s_delay_alu instid0(VALU_DEP_1) | instskip(SKIP_1) | instid1(VALU_DEP_1)
	v_cmp_gt_f32_e32 vcc_lo, 0x800000, v4
	v_cndmask_b32_e64 v5, 1.0, 0x4f800000, vcc_lo
	v_mul_f32_e32 v4, v4, v5
	v_cndmask_b32_e64 v5, 0, 0x42000000, vcc_lo
	v_cmp_lt_f16_e32 vcc_lo, 0x4d00, v1
	s_delay_alu instid0(VALU_DEP_3) | instskip(SKIP_2) | instid1(VALU_DEP_1)
	v_log_f32_e32 v4, v4
	s_waitcnt_depctr 0xfff
	v_sub_f32_e32 v4, v4, v5
	v_mul_f32_e32 v4, 0x3f317218, v4
	s_delay_alu instid0(VALU_DEP_1) | instskip(NEXT) | instid1(VALU_DEP_1)
	v_cndmask_b32_e32 v1, v4, v2, vcc_lo
	v_mul_f32_e32 v2, 0x4f800000, v1
	v_cmp_gt_f32_e32 vcc_lo, 0xf800000, v1
	s_delay_alu instid0(VALU_DEP_2) | instskip(NEXT) | instid1(VALU_DEP_1)
	v_cndmask_b32_e32 v1, v1, v2, vcc_lo
	v_sqrt_f32_e32 v2, v1
	s_waitcnt_depctr 0xfff
	v_add_nc_u32_e32 v4, -1, v2
	v_add_nc_u32_e32 v5, 1, v2
	s_delay_alu instid0(VALU_DEP_2) | instskip(NEXT) | instid1(VALU_DEP_2)
	v_fma_f32 v6, -v4, v2, v1
	v_fma_f32 v7, -v5, v2, v1
	s_delay_alu instid0(VALU_DEP_2) | instskip(NEXT) | instid1(VALU_DEP_1)
	v_cmp_ge_f32_e64 s2, 0, v6
	v_cndmask_b32_e64 v2, v2, v4, s2
	s_delay_alu instid0(VALU_DEP_3) | instskip(NEXT) | instid1(VALU_DEP_1)
	v_cmp_lt_f32_e64 s2, 0, v7
	v_cndmask_b32_e64 v2, v2, v5, s2
	s_delay_alu instid0(VALU_DEP_1) | instskip(NEXT) | instid1(VALU_DEP_1)
	v_mul_f32_e32 v4, 0x37800000, v2
	v_cndmask_b32_e32 v2, v2, v4, vcc_lo
	v_cmp_class_f32_e64 vcc_lo, v1, 0x260
	s_delay_alu instid0(VALU_DEP_2) | instskip(SKIP_1) | instid1(VALU_DEP_1)
	v_cndmask_b32_e32 v4, v2, v1, vcc_lo
	v_add_co_u32 v1, s2, s8, v3
	v_add_co_ci_u32_e64 v2, null, s9, 0, s2
	s_delay_alu instid0(VALU_DEP_3)
	v_mov_b32_e32 v5, v4
	s_and_b32 vcc_lo, exec_lo, s3
	s_cbranch_vccz .LBB158_2
; %bb.1:
	global_load_u16 v5, v3, s[6:7]
	s_waitcnt vmcnt(0)
	v_cvt_f32_f16_e32 v5, v5
	s_delay_alu instid0(VALU_DEP_1)
	v_add_f32_e32 v5, v4, v5
.LBB158_2:
	global_load_u16 v1, v[1:2], off offset:64
	s_waitcnt vmcnt(0)
	v_cvt_f32_f16_e32 v2, v1
	s_delay_alu instid0(VALU_DEP_1) | instskip(NEXT) | instid1(VALU_DEP_1)
	v_mul_f32_e32 v6, 0x3fb8aa3b, v2
	v_cmp_gt_f32_e32 vcc_lo, 0xc2fc0000, v6
	v_cndmask_b32_e64 v7, 0, 0x42800000, vcc_lo
	v_cndmask_b32_e64 v6, 1.0, 0x1f800000, vcc_lo
	s_delay_alu instid0(VALU_DEP_2) | instskip(NEXT) | instid1(VALU_DEP_1)
	v_fma_mix_f32 v7, v1, s4, v7 op_sel_hi:[1,0,0]
	v_exp_f32_e32 v7, v7
	s_waitcnt_depctr 0xfff
	v_fma_f32 v6, v7, v6, 1.0
	s_delay_alu instid0(VALU_DEP_1) | instskip(SKIP_1) | instid1(VALU_DEP_1)
	v_cmp_gt_f32_e32 vcc_lo, 0x800000, v6
	v_cndmask_b32_e64 v7, 1.0, 0x4f800000, vcc_lo
	v_mul_f32_e32 v6, v6, v7
	v_cndmask_b32_e64 v7, 0, 0x42000000, vcc_lo
	v_cmp_lt_f16_e32 vcc_lo, 0x4d00, v1
	s_delay_alu instid0(VALU_DEP_3) | instskip(SKIP_2) | instid1(VALU_DEP_1)
	v_log_f32_e32 v6, v6
	s_waitcnt_depctr 0xfff
	v_sub_f32_e32 v6, v6, v7
	v_mul_f32_e32 v6, 0x3f317218, v6
	s_delay_alu instid0(VALU_DEP_1) | instskip(NEXT) | instid1(VALU_DEP_1)
	v_cndmask_b32_e32 v1, v6, v2, vcc_lo
	v_mul_f32_e32 v2, 0x4f800000, v1
	v_cmp_gt_f32_e32 vcc_lo, 0xf800000, v1
	s_delay_alu instid0(VALU_DEP_2) | instskip(NEXT) | instid1(VALU_DEP_1)
	v_cndmask_b32_e32 v1, v1, v2, vcc_lo
	v_sqrt_f32_e32 v2, v1
	s_waitcnt_depctr 0xfff
	v_add_nc_u32_e32 v7, 1, v2
	v_add_nc_u32_e32 v6, -1, v2
	s_delay_alu instid0(VALU_DEP_2) | instskip(NEXT) | instid1(VALU_DEP_2)
	v_fma_f32 v9, -v7, v2, v1
	v_fma_f32 v8, -v6, v2, v1
	s_delay_alu instid0(VALU_DEP_1) | instskip(NEXT) | instid1(VALU_DEP_1)
	v_cmp_ge_f32_e64 s2, 0, v8
	v_cndmask_b32_e64 v2, v2, v6, s2
	s_delay_alu instid0(VALU_DEP_4) | instskip(NEXT) | instid1(VALU_DEP_1)
	v_cmp_lt_f32_e64 s2, 0, v9
	v_cndmask_b32_e64 v2, v2, v7, s2
	s_delay_alu instid0(VALU_DEP_1) | instskip(NEXT) | instid1(VALU_DEP_1)
	v_mul_f32_e32 v6, 0x37800000, v2
	v_cndmask_b32_e32 v2, v2, v6, vcc_lo
	v_cmp_class_f32_e64 vcc_lo, v1, 0x260
	s_delay_alu instid0(VALU_DEP_2) | instskip(SKIP_1) | instid1(VALU_DEP_1)
	v_cndmask_b32_e32 v2, v2, v1, vcc_lo
	s_and_not1_b32 vcc_lo, exec_lo, s3
	v_mov_b32_e32 v8, v2
	s_cbranch_vccnz .LBB158_4
; %bb.3:
	global_load_u16 v1, v3, s[6:7] offset:64
	s_waitcnt vmcnt(0)
	v_cvt_f32_f16_e32 v1, v1
	s_delay_alu instid0(VALU_DEP_1)
	v_add_f32_e32 v8, v2, v1
.LBB158_4:
	s_clause 0x1
	s_load_b32 s8, s[0:1], 0x28
	s_load_b128 s[4:7], s[0:1], 0x10
	v_mov_b32_e32 v1, 0
	s_waitcnt lgkmcnt(0)
	s_cmp_gt_i32 s8, 0
	s_cbranch_scc0 .LBB158_10
; %bb.5:
	v_cmp_lt_f32_e32 vcc_lo, v5, v8
	v_add_nc_u32_e32 v1, 32, v0
	v_dual_mov_b32 v9, 0 :: v_dual_mov_b32 v10, v0
	s_mov_b32 s9, 0x76543210
	v_cndmask_b32_e32 v7, v8, v5, vcc_lo
	v_cndmask_b32_e32 v5, v5, v8, vcc_lo
	;; [unrolled: 1-line block ×4, first 2 shown]
	v_dual_mov_b32 v2, 0 :: v_dual_cndmask_b32 v3, v1, v0
	v_dual_cndmask_b32 v6, v0, v1 :: v_dual_mov_b32 v1, 0
	s_mov_b32 s10, s8
.LBB158_6:                              ; =>This Inner Loop Header: Depth=1
	v_cmp_eq_u32_e32 vcc_lo, 1, v9
	v_cmp_gt_u32_e64 s2, 2, v9
	v_cndmask_b32_e32 v11, v5, v7, vcc_lo
	s_delay_alu instid0(VALU_DEP_1)
	v_cndmask_b32_e64 v11, 0xff800000, v11, s2
	;;#ASMSTART
	v_max_f32 v12, v11, v11 quad_perm:[1,0,3,2] row_mask:0xf bank_mask:0xf bound_ctrl:1
	;;#ASMEND
	;;#ASMSTART
	v_max_f32 v13, v12, v12 quad_perm:[2,3,0,1] row_mask:0xf bank_mask:0xf bound_ctrl:1
	;;#ASMEND
	;;#ASMSTART
	v_max_f32 v12, v13, v13 row_half_mirror row_mask:0xf bank_mask:0xf bound_ctrl:1
	;;#ASMEND
	;;#ASMSTART
	v_max_f32 v13, v12, v12 row_mirror row_mask:0xf bank_mask:0xf bound_ctrl:1
	;;#ASMEND
	v_permlanex16_b32 v12, v13, s9, 0xfedcba98 op_sel:[1,1]
	s_delay_alu instid0(VALU_DEP_1) | instskip(NEXT) | instid1(VALU_DEP_1)
	v_dual_max_f32 v13, v13, v13 :: v_dual_max_f32 v12, v12, v12
	v_dual_max_f32 v12, v13, v12 :: v_dual_cndmask_b32 v13, v6, v3
	s_delay_alu instid0(VALU_DEP_1) | instskip(NEXT) | instid1(VALU_DEP_2)
	v_cmp_eq_f32_e64 s3, v11, v12
	v_cndmask_b32_e64 v11, 0, v13, s2
	s_delay_alu instid0(VALU_DEP_2)
	s_ctz_i32_b32 s11, s3
	s_cmp_lg_u32 s3, 0
	s_cselect_b32 s3, s11, 0
	s_add_i32 s10, s10, -1
	v_readlane_b32 s3, v11, s3
	v_cndmask_b32_e32 v11, v4, v8, vcc_lo
	s_delay_alu instid0(VALU_DEP_2) | instskip(SKIP_2) | instid1(VALU_DEP_2)
	v_cmp_eq_u32_e32 vcc_lo, s3, v13
	s_and_b32 vcc_lo, s2, vcc_lo
	s_and_b32 s2, s3, 31
	v_cndmask_b32_e32 v11, 0, v11, vcc_lo
	v_add_co_ci_u32_e32 v9, vcc_lo, 0, v9, vcc_lo
	s_cmp_eq_u32 s10, 0
	s_delay_alu instid0(VALU_DEP_2) | instskip(SKIP_2) | instid1(VALU_DEP_2)
	v_readlane_b32 s11, v11, s2
	v_cmp_eq_u32_e64 s2, 0, v10
	v_add_nc_u32_e32 v10, -1, v10
	v_cndmask_b32_e64 v2, v2, s11, s2
	v_cndmask_b32_e64 v1, v1, s3, s2
	s_cbranch_scc0 .LBB158_6
; %bb.7:
	s_mov_b32 s2, exec_lo
	v_cmpx_gt_i32_e64 s8, v0
	s_cbranch_execz .LBB158_9
.LBB158_8:
	s_clause 0x1
	s_load_b64 s[2:3], s[0:1], 0x20
	s_load_b32 s8, s[0:1], 0x30
	s_ashr_i32 s0, s15, 31
	v_lshlrev_b32_e32 v0, 2, v0
	s_waitcnt lgkmcnt(0)
	s_mul_i32 s1, s15, s3
	s_mul_hi_u32 s3, s15, s2
	s_mul_i32 s0, s0, s2
	s_add_i32 s1, s3, s1
	v_mul_f32_e32 v2, s8, v2
	s_add_i32 s1, s1, s0
	s_mul_i32 s0, s15, s2
	s_delay_alu instid0(SALU_CYCLE_1) | instskip(NEXT) | instid1(SALU_CYCLE_1)
	s_lshl_b64 s[0:1], s[0:1], 2
	s_add_u32 s2, s4, s0
	s_addc_u32 s3, s5, s1
	s_add_u32 s0, s6, s0
	s_addc_u32 s1, s7, s1
	s_clause 0x1
	global_store_b32 v0, v2, s[2:3]
	global_store_b32 v0, v1, s[0:1]
.LBB158_9:
	s_nop 0
	s_sendmsg sendmsg(MSG_DEALLOC_VGPRS)
	s_endpgm
.LBB158_10:
	v_mov_b32_e32 v2, 0
	s_mov_b32 s2, exec_lo
	v_cmpx_gt_i32_e64 s8, v0
	s_cbranch_execnz .LBB158_8
	s_branch .LBB158_9
	.section	.rodata,"a",@progbits
	.p2align	6, 0x0
	.amdhsa_kernel _ZN5aiter24topk_softplus_kernel_optI6__halfS1_Li64ELb0ELi0EEEvPKT_PKT0_PfPimiif
		.amdhsa_group_segment_fixed_size 0
		.amdhsa_private_segment_fixed_size 0
		.amdhsa_kernarg_size 52
		.amdhsa_user_sgpr_count 15
		.amdhsa_user_sgpr_dispatch_ptr 0
		.amdhsa_user_sgpr_queue_ptr 0
		.amdhsa_user_sgpr_kernarg_segment_ptr 1
		.amdhsa_user_sgpr_dispatch_id 0
		.amdhsa_user_sgpr_private_segment_size 0
		.amdhsa_wavefront_size32 1
		.amdhsa_uses_dynamic_stack 0
		.amdhsa_enable_private_segment 0
		.amdhsa_system_sgpr_workgroup_id_x 1
		.amdhsa_system_sgpr_workgroup_id_y 0
		.amdhsa_system_sgpr_workgroup_id_z 0
		.amdhsa_system_sgpr_workgroup_info 0
		.amdhsa_system_vgpr_workitem_id 0
		.amdhsa_next_free_vgpr 14
		.amdhsa_next_free_sgpr 16
		.amdhsa_reserve_vcc 1
		.amdhsa_float_round_mode_32 0
		.amdhsa_float_round_mode_16_64 0
		.amdhsa_float_denorm_mode_32 3
		.amdhsa_float_denorm_mode_16_64 3
		.amdhsa_dx10_clamp 1
		.amdhsa_ieee_mode 1
		.amdhsa_fp16_overflow 0
		.amdhsa_workgroup_processor_mode 1
		.amdhsa_memory_ordered 1
		.amdhsa_forward_progress 0
		.amdhsa_shared_vgpr_count 0
		.amdhsa_exception_fp_ieee_invalid_op 0
		.amdhsa_exception_fp_denorm_src 0
		.amdhsa_exception_fp_ieee_div_zero 0
		.amdhsa_exception_fp_ieee_overflow 0
		.amdhsa_exception_fp_ieee_underflow 0
		.amdhsa_exception_fp_ieee_inexact 0
		.amdhsa_exception_int_div_zero 0
	.end_amdhsa_kernel
	.section	.text._ZN5aiter24topk_softplus_kernel_optI6__halfS1_Li64ELb0ELi0EEEvPKT_PKT0_PfPimiif,"axG",@progbits,_ZN5aiter24topk_softplus_kernel_optI6__halfS1_Li64ELb0ELi0EEEvPKT_PKT0_PfPimiif,comdat
.Lfunc_end158:
	.size	_ZN5aiter24topk_softplus_kernel_optI6__halfS1_Li64ELb0ELi0EEEvPKT_PKT0_PfPimiif, .Lfunc_end158-_ZN5aiter24topk_softplus_kernel_optI6__halfS1_Li64ELb0ELi0EEEvPKT_PKT0_PfPimiif
                                        ; -- End function
	.section	.AMDGPU.csdata,"",@progbits
; Kernel info:
; codeLenInByte = 1276
; NumSgprs: 18
; NumVgprs: 14
; ScratchSize: 0
; MemoryBound: 0
; FloatMode: 240
; IeeeMode: 1
; LDSByteSize: 0 bytes/workgroup (compile time only)
; SGPRBlocks: 2
; VGPRBlocks: 1
; NumSGPRsForWavesPerEU: 18
; NumVGPRsForWavesPerEU: 14
; Occupancy: 16
; WaveLimiterHint : 0
; COMPUTE_PGM_RSRC2:SCRATCH_EN: 0
; COMPUTE_PGM_RSRC2:USER_SGPR: 15
; COMPUTE_PGM_RSRC2:TRAP_HANDLER: 0
; COMPUTE_PGM_RSRC2:TGID_X_EN: 1
; COMPUTE_PGM_RSRC2:TGID_Y_EN: 0
; COMPUTE_PGM_RSRC2:TGID_Z_EN: 0
; COMPUTE_PGM_RSRC2:TIDIG_COMP_CNT: 0
	.section	.text._ZN5aiter24topk_softplus_kernel_optI6__halfS1_Li128ELb1ELi0EEEvPKT_PKT0_PfPimiif,"axG",@progbits,_ZN5aiter24topk_softplus_kernel_optI6__halfS1_Li128ELb1ELi0EEEvPKT_PKT0_PfPimiif,comdat
	.protected	_ZN5aiter24topk_softplus_kernel_optI6__halfS1_Li128ELb1ELi0EEEvPKT_PKT0_PfPimiif ; -- Begin function _ZN5aiter24topk_softplus_kernel_optI6__halfS1_Li128ELb1ELi0EEEvPKT_PKT0_PfPimiif
	.globl	_ZN5aiter24topk_softplus_kernel_optI6__halfS1_Li128ELb1ELi0EEEvPKT_PKT0_PfPimiif
	.p2align	8
	.type	_ZN5aiter24topk_softplus_kernel_optI6__halfS1_Li128ELb1ELi0EEEvPKT_PKT0_PfPimiif,@function
_ZN5aiter24topk_softplus_kernel_optI6__halfS1_Li128ELb1ELi0EEEvPKT_PKT0_PfPimiif: ; @_ZN5aiter24topk_softplus_kernel_optI6__halfS1_Li128ELb1ELi0EEEvPKT_PKT0_PfPimiif
; %bb.0:
	s_load_b128 s[4:7], s[0:1], 0x0
	s_lshl_b32 s2, s15, 7
	v_lshlrev_b32_e32 v3, 1, v0
	s_ashr_i32 s3, s2, 31
	s_delay_alu instid0(SALU_CYCLE_1)
	s_lshl_b64 s[2:3], s[2:3], 1
	s_waitcnt lgkmcnt(0)
	s_add_u32 s8, s4, s2
	s_addc_u32 s9, s5, s3
	s_mov_b32 s4, 0x3fb8aa3b
	global_load_u16 v1, v3, s[8:9]
	s_cmp_lg_u64 s[6:7], 0
	s_cselect_b32 s3, -1, 0
	s_waitcnt vmcnt(0)
	v_cvt_f32_f16_e32 v2, v1
	s_delay_alu instid0(VALU_DEP_1) | instskip(NEXT) | instid1(VALU_DEP_1)
	v_mul_f32_e32 v4, 0x3fb8aa3b, v2
	v_cmp_gt_f32_e32 vcc_lo, 0xc2fc0000, v4
	v_cndmask_b32_e64 v4, 0, 0x42800000, vcc_lo
	v_cndmask_b32_e64 v5, 1.0, 0x1f800000, vcc_lo
	s_delay_alu instid0(VALU_DEP_2) | instskip(NEXT) | instid1(VALU_DEP_1)
	v_fma_mix_f32 v4, v1, s4, v4 op_sel_hi:[1,0,0]
	v_exp_f32_e32 v4, v4
	s_waitcnt_depctr 0xfff
	v_fma_f32 v4, v4, v5, 1.0
	s_delay_alu instid0(VALU_DEP_1) | instskip(SKIP_1) | instid1(VALU_DEP_1)
	v_cmp_gt_f32_e32 vcc_lo, 0x800000, v4
	v_cndmask_b32_e64 v5, 1.0, 0x4f800000, vcc_lo
	v_mul_f32_e32 v4, v4, v5
	v_cndmask_b32_e64 v5, 0, 0x42000000, vcc_lo
	v_cmp_lt_f16_e32 vcc_lo, 0x4d00, v1
	s_delay_alu instid0(VALU_DEP_3) | instskip(SKIP_2) | instid1(VALU_DEP_1)
	v_log_f32_e32 v4, v4
	s_waitcnt_depctr 0xfff
	v_sub_f32_e32 v4, v4, v5
	v_mul_f32_e32 v4, 0x3f317218, v4
	s_delay_alu instid0(VALU_DEP_1) | instskip(NEXT) | instid1(VALU_DEP_1)
	v_cndmask_b32_e32 v1, v4, v2, vcc_lo
	v_mul_f32_e32 v2, 0x4f800000, v1
	v_cmp_gt_f32_e32 vcc_lo, 0xf800000, v1
	s_delay_alu instid0(VALU_DEP_2) | instskip(NEXT) | instid1(VALU_DEP_1)
	v_cndmask_b32_e32 v1, v1, v2, vcc_lo
	v_sqrt_f32_e32 v2, v1
	s_waitcnt_depctr 0xfff
	v_add_nc_u32_e32 v4, -1, v2
	v_add_nc_u32_e32 v5, 1, v2
	s_delay_alu instid0(VALU_DEP_2) | instskip(NEXT) | instid1(VALU_DEP_2)
	v_fma_f32 v6, -v4, v2, v1
	v_fma_f32 v7, -v5, v2, v1
	s_delay_alu instid0(VALU_DEP_2) | instskip(NEXT) | instid1(VALU_DEP_1)
	v_cmp_ge_f32_e64 s2, 0, v6
	v_cndmask_b32_e64 v2, v2, v4, s2
	s_delay_alu instid0(VALU_DEP_3) | instskip(NEXT) | instid1(VALU_DEP_1)
	v_cmp_lt_f32_e64 s2, 0, v7
	v_cndmask_b32_e64 v2, v2, v5, s2
	s_delay_alu instid0(VALU_DEP_1) | instskip(NEXT) | instid1(VALU_DEP_1)
	v_mul_f32_e32 v4, 0x37800000, v2
	v_cndmask_b32_e32 v2, v2, v4, vcc_lo
	v_cmp_class_f32_e64 vcc_lo, v1, 0x260
	s_delay_alu instid0(VALU_DEP_2) | instskip(SKIP_1) | instid1(VALU_DEP_1)
	v_cndmask_b32_e32 v4, v2, v1, vcc_lo
	v_add_co_u32 v1, s2, s8, v3
	v_add_co_ci_u32_e64 v2, null, s9, 0, s2
	s_delay_alu instid0(VALU_DEP_3)
	v_mov_b32_e32 v5, v4
	s_and_b32 vcc_lo, exec_lo, s3
	s_cbranch_vccz .LBB159_2
; %bb.1:
	global_load_u16 v5, v3, s[6:7]
	s_waitcnt vmcnt(0)
	v_cvt_f32_f16_e32 v5, v5
	s_delay_alu instid0(VALU_DEP_1)
	v_add_f32_e32 v5, v4, v5
.LBB159_2:
	global_load_u16 v6, v[1:2], off offset:64
	s_waitcnt vmcnt(0)
	v_cvt_f32_f16_e32 v7, v6
	s_delay_alu instid0(VALU_DEP_1) | instskip(NEXT) | instid1(VALU_DEP_1)
	v_mul_f32_e32 v8, 0x3fb8aa3b, v7
	v_cmp_gt_f32_e32 vcc_lo, 0xc2fc0000, v8
	v_cndmask_b32_e64 v9, 0, 0x42800000, vcc_lo
	v_cndmask_b32_e64 v8, 1.0, 0x1f800000, vcc_lo
	s_delay_alu instid0(VALU_DEP_2) | instskip(NEXT) | instid1(VALU_DEP_1)
	v_fma_mix_f32 v9, v6, s4, v9 op_sel_hi:[1,0,0]
	v_exp_f32_e32 v9, v9
	s_waitcnt_depctr 0xfff
	v_fma_f32 v8, v9, v8, 1.0
	s_delay_alu instid0(VALU_DEP_1) | instskip(SKIP_1) | instid1(VALU_DEP_1)
	v_cmp_gt_f32_e32 vcc_lo, 0x800000, v8
	v_cndmask_b32_e64 v9, 1.0, 0x4f800000, vcc_lo
	v_mul_f32_e32 v8, v8, v9
	v_cndmask_b32_e64 v9, 0, 0x42000000, vcc_lo
	v_cmp_lt_f16_e32 vcc_lo, 0x4d00, v6
	s_delay_alu instid0(VALU_DEP_3) | instskip(SKIP_2) | instid1(VALU_DEP_1)
	v_log_f32_e32 v8, v8
	s_waitcnt_depctr 0xfff
	v_sub_f32_e32 v8, v8, v9
	v_mul_f32_e32 v8, 0x3f317218, v8
	s_delay_alu instid0(VALU_DEP_1) | instskip(NEXT) | instid1(VALU_DEP_1)
	v_cndmask_b32_e32 v6, v8, v7, vcc_lo
	v_mul_f32_e32 v7, 0x4f800000, v6
	v_cmp_gt_f32_e32 vcc_lo, 0xf800000, v6
	s_delay_alu instid0(VALU_DEP_2) | instskip(NEXT) | instid1(VALU_DEP_1)
	v_cndmask_b32_e32 v6, v6, v7, vcc_lo
	v_sqrt_f32_e32 v7, v6
	s_waitcnt_depctr 0xfff
	v_add_nc_u32_e32 v8, -1, v7
	v_add_nc_u32_e32 v9, 1, v7
	s_delay_alu instid0(VALU_DEP_2) | instskip(NEXT) | instid1(VALU_DEP_2)
	v_fma_f32 v10, -v8, v7, v6
	v_fma_f32 v11, -v9, v7, v6
	s_delay_alu instid0(VALU_DEP_2) | instskip(NEXT) | instid1(VALU_DEP_1)
	v_cmp_ge_f32_e64 s2, 0, v10
	v_cndmask_b32_e64 v7, v7, v8, s2
	s_delay_alu instid0(VALU_DEP_3) | instskip(NEXT) | instid1(VALU_DEP_1)
	v_cmp_lt_f32_e64 s2, 0, v11
	v_cndmask_b32_e64 v7, v7, v9, s2
	s_delay_alu instid0(VALU_DEP_1) | instskip(NEXT) | instid1(VALU_DEP_1)
	v_mul_f32_e32 v8, 0x37800000, v7
	v_cndmask_b32_e32 v8, v7, v8, vcc_lo
	v_cmp_class_f32_e64 vcc_lo, v6, 0x260
	v_cndmask_b32_e64 v7, 0, 1, s3
	s_delay_alu instid0(VALU_DEP_3) | instskip(SKIP_1) | instid1(VALU_DEP_1)
	v_cndmask_b32_e32 v8, v8, v6, vcc_lo
	s_and_not1_b32 vcc_lo, exec_lo, s3
	v_mov_b32_e32 v11, v8
	s_cbranch_vccnz .LBB159_4
; %bb.3:
	global_load_u16 v6, v3, s[6:7] offset:64
	s_waitcnt vmcnt(0)
	v_cvt_f32_f16_e32 v6, v6
	s_delay_alu instid0(VALU_DEP_1)
	v_add_f32_e32 v11, v8, v6
.LBB159_4:
	global_load_u16 v6, v[1:2], off offset:128
	s_mov_b32 s3, 0x3fb8aa3b
	s_waitcnt vmcnt(0)
	v_cvt_f32_f16_e32 v9, v6
	s_delay_alu instid0(VALU_DEP_1) | instskip(NEXT) | instid1(VALU_DEP_1)
	v_mul_f32_e32 v10, 0x3fb8aa3b, v9
	v_cmp_gt_f32_e32 vcc_lo, 0xc2fc0000, v10
	v_cndmask_b32_e64 v12, 0, 0x42800000, vcc_lo
	v_cndmask_b32_e64 v10, 1.0, 0x1f800000, vcc_lo
	s_delay_alu instid0(VALU_DEP_2) | instskip(NEXT) | instid1(VALU_DEP_1)
	v_fma_mix_f32 v12, v6, s3, v12 op_sel_hi:[1,0,0]
	v_exp_f32_e32 v12, v12
	s_waitcnt_depctr 0xfff
	v_fma_f32 v10, v12, v10, 1.0
	s_delay_alu instid0(VALU_DEP_1) | instskip(SKIP_1) | instid1(VALU_DEP_1)
	v_cmp_gt_f32_e32 vcc_lo, 0x800000, v10
	v_cndmask_b32_e64 v12, 1.0, 0x4f800000, vcc_lo
	v_mul_f32_e32 v10, v10, v12
	v_cndmask_b32_e64 v12, 0, 0x42000000, vcc_lo
	v_cmp_lt_f16_e32 vcc_lo, 0x4d00, v6
	s_delay_alu instid0(VALU_DEP_3) | instskip(SKIP_2) | instid1(VALU_DEP_1)
	v_log_f32_e32 v10, v10
	s_waitcnt_depctr 0xfff
	v_sub_f32_e32 v10, v10, v12
	v_mul_f32_e32 v10, 0x3f317218, v10
	s_delay_alu instid0(VALU_DEP_1) | instskip(NEXT) | instid1(VALU_DEP_1)
	v_cndmask_b32_e32 v6, v10, v9, vcc_lo
	v_mul_f32_e32 v9, 0x4f800000, v6
	v_cmp_gt_f32_e32 vcc_lo, 0xf800000, v6
	s_delay_alu instid0(VALU_DEP_2) | instskip(NEXT) | instid1(VALU_DEP_1)
	v_cndmask_b32_e32 v6, v6, v9, vcc_lo
	v_sqrt_f32_e32 v9, v6
	s_waitcnt_depctr 0xfff
	v_add_nc_u32_e32 v10, -1, v9
	v_add_nc_u32_e32 v12, 1, v9
	s_delay_alu instid0(VALU_DEP_2) | instskip(NEXT) | instid1(VALU_DEP_2)
	v_fma_f32 v13, -v10, v9, v6
	v_fma_f32 v14, -v12, v9, v6
	s_delay_alu instid0(VALU_DEP_2) | instskip(NEXT) | instid1(VALU_DEP_1)
	v_cmp_ge_f32_e64 s2, 0, v13
	v_cndmask_b32_e64 v9, v9, v10, s2
	s_delay_alu instid0(VALU_DEP_3) | instskip(NEXT) | instid1(VALU_DEP_1)
	v_cmp_lt_f32_e64 s2, 0, v14
	v_cndmask_b32_e64 v9, v9, v12, s2
	s_delay_alu instid0(VALU_DEP_1) | instskip(NEXT) | instid1(VALU_DEP_1)
	v_mul_f32_e32 v10, 0x37800000, v9
	v_cndmask_b32_e32 v9, v9, v10, vcc_lo
	v_cmp_class_f32_e64 vcc_lo, v6, 0x260
	s_delay_alu instid0(VALU_DEP_2) | instskip(SKIP_1) | instid1(VALU_DEP_2)
	v_cndmask_b32_e32 v10, v9, v6, vcc_lo
	v_cmp_ne_u32_e32 vcc_lo, 1, v7
	v_mov_b32_e32 v6, v10
	s_cbranch_vccnz .LBB159_6
; %bb.5:
	global_load_u16 v6, v3, s[6:7] offset:128
	s_waitcnt vmcnt(0)
	v_cvt_f32_f16_e32 v6, v6
	s_delay_alu instid0(VALU_DEP_1)
	v_add_f32_e32 v6, v10, v6
.LBB159_6:
	global_load_u16 v1, v[1:2], off offset:192
	s_waitcnt vmcnt(0)
	v_cvt_f32_f16_e32 v2, v1
	s_delay_alu instid0(VALU_DEP_1) | instskip(NEXT) | instid1(VALU_DEP_1)
	v_mul_f32_e32 v9, 0x3fb8aa3b, v2
	v_cmp_gt_f32_e32 vcc_lo, 0xc2fc0000, v9
	v_cndmask_b32_e64 v12, 0, 0x42800000, vcc_lo
	v_cndmask_b32_e64 v9, 1.0, 0x1f800000, vcc_lo
	s_delay_alu instid0(VALU_DEP_2) | instskip(NEXT) | instid1(VALU_DEP_1)
	v_fma_mix_f32 v12, v1, s3, v12 op_sel_hi:[1,0,0]
	v_exp_f32_e32 v12, v12
	s_waitcnt_depctr 0xfff
	v_fma_f32 v9, v12, v9, 1.0
	s_delay_alu instid0(VALU_DEP_1) | instskip(SKIP_1) | instid1(VALU_DEP_1)
	v_cmp_gt_f32_e32 vcc_lo, 0x800000, v9
	v_cndmask_b32_e64 v12, 1.0, 0x4f800000, vcc_lo
	v_mul_f32_e32 v9, v9, v12
	v_cndmask_b32_e64 v12, 0, 0x42000000, vcc_lo
	v_cmp_lt_f16_e32 vcc_lo, 0x4d00, v1
	s_delay_alu instid0(VALU_DEP_3) | instskip(SKIP_2) | instid1(VALU_DEP_1)
	v_log_f32_e32 v9, v9
	s_waitcnt_depctr 0xfff
	v_sub_f32_e32 v9, v9, v12
	v_mul_f32_e32 v9, 0x3f317218, v9
	s_delay_alu instid0(VALU_DEP_1) | instskip(NEXT) | instid1(VALU_DEP_1)
	v_cndmask_b32_e32 v1, v9, v2, vcc_lo
	v_mul_f32_e32 v2, 0x4f800000, v1
	v_cmp_gt_f32_e32 vcc_lo, 0xf800000, v1
	s_delay_alu instid0(VALU_DEP_2) | instskip(NEXT) | instid1(VALU_DEP_1)
	v_cndmask_b32_e32 v1, v1, v2, vcc_lo
	v_sqrt_f32_e32 v2, v1
	s_waitcnt_depctr 0xfff
	v_add_nc_u32_e32 v9, -1, v2
	v_add_nc_u32_e32 v12, 1, v2
	s_delay_alu instid0(VALU_DEP_2) | instskip(NEXT) | instid1(VALU_DEP_2)
	v_fma_f32 v13, -v9, v2, v1
	v_fma_f32 v14, -v12, v2, v1
	s_delay_alu instid0(VALU_DEP_2) | instskip(NEXT) | instid1(VALU_DEP_1)
	v_cmp_ge_f32_e64 s2, 0, v13
	v_cndmask_b32_e64 v2, v2, v9, s2
	s_delay_alu instid0(VALU_DEP_3) | instskip(NEXT) | instid1(VALU_DEP_1)
	v_cmp_lt_f32_e64 s2, 0, v14
	v_cndmask_b32_e64 v2, v2, v12, s2
	s_delay_alu instid0(VALU_DEP_1) | instskip(NEXT) | instid1(VALU_DEP_1)
	v_mul_f32_e32 v9, 0x37800000, v2
	v_cndmask_b32_e32 v2, v2, v9, vcc_lo
	v_cmp_class_f32_e64 vcc_lo, v1, 0x260
	s_delay_alu instid0(VALU_DEP_2) | instskip(SKIP_1) | instid1(VALU_DEP_2)
	v_cndmask_b32_e32 v1, v2, v1, vcc_lo
	v_cmp_ne_u32_e32 vcc_lo, 1, v7
	v_mov_b32_e32 v2, v1
	s_cbranch_vccnz .LBB159_8
; %bb.7:
	global_load_u16 v2, v3, s[6:7] offset:192
	s_waitcnt vmcnt(0)
	v_cvt_f32_f16_e32 v2, v2
	s_delay_alu instid0(VALU_DEP_1)
	v_add_f32_e32 v2, v1, v2
.LBB159_8:
	v_cmp_lt_f32_e32 vcc_lo, v5, v11
	v_add_nc_u32_e32 v12, 32, v0
	v_add_nc_u32_e32 v14, 64, v0
	;; [unrolled: 1-line block ×3, first 2 shown]
	s_mov_b32 s2, exec_lo
	v_dual_cndmask_b32 v7, v8, v4 :: v_dual_mov_b32 v16, v6
	v_cndmask_b32_e32 v4, v4, v8, vcc_lo
	v_dual_cndmask_b32 v8, v11, v5 :: v_dual_cndmask_b32 v11, v5, v11
	v_cndmask_b32_e32 v9, v12, v0, vcc_lo
	v_cndmask_b32_e32 v13, v0, v12, vcc_lo
	v_cmpx_lt_f32_e32 v6, v2
	s_xor_b32 s2, exec_lo, s2
; %bb.9:
	v_mov_b32_e32 v15, v6
	v_mov_b32_e32 v5, v10
	;; [unrolled: 1-line block ×3, first 2 shown]
	v_swap_b32 v10, v1
	v_swap_b32 v14, v3
	v_mov_b32_e32 v6, v2
	v_mov_b32_e32 v16, v2
	;; [unrolled: 1-line block ×3, first 2 shown]
; %bb.10:
	s_or_b32 exec_lo, exec_lo, s2
	s_delay_alu instid0(VALU_DEP_3)
	v_cmp_lt_f32_e32 vcc_lo, v11, v6
	s_mov_b32 s2, exec_lo
	v_dual_cndmask_b32 v15, v10, v4 :: v_dual_cndmask_b32 v4, v4, v10
	v_dual_cndmask_b32 v12, v14, v13 :: v_dual_cndmask_b32 v5, v13, v14
	;; [unrolled: 1-line block ×3, first 2 shown]
	v_mov_b32_e32 v14, v8
	v_cmpx_lt_f32_e32 v8, v2
; %bb.11:
	v_mov_b32_e32 v16, v8
	v_dual_mov_b32 v10, v7 :: v_dual_mov_b32 v11, v9
	v_swap_b32 v7, v1
	v_swap_b32 v9, v3
	v_mov_b32_e32 v8, v2
	v_mov_b32_e32 v14, v2
	;; [unrolled: 1-line block ×3, first 2 shown]
; %bb.12:
	s_or_b32 exec_lo, exec_lo, s2
	s_clause 0x1
	s_load_b32 s8, s[0:1], 0x28
	s_load_b128 s[4:7], s[0:1], 0x10
	v_mov_b32_e32 v10, 0
	s_waitcnt lgkmcnt(0)
	s_cmp_lt_i32 s8, 1
	s_cbranch_scc1 .LBB159_18
; %bb.13:
	v_cmp_lt_f32_e32 vcc_lo, v8, v13
	v_mov_b32_e32 v17, v0
	s_mov_b32 s9, 0x76543210
	s_mov_b32 s10, s8
	v_dual_mov_b32 v10, 0 :: v_dual_cndmask_b32 v11, v12, v9
	v_cndmask_b32_e32 v9, v9, v12, vcc_lo
	v_dual_cndmask_b32 v12, v13, v8 :: v_dual_cndmask_b32 v13, v14, v13
	v_cndmask_b32_e32 v14, v15, v7, vcc_lo
	v_dual_cndmask_b32 v15, v7, v15 :: v_dual_mov_b32 v16, 0
	v_dual_mov_b32 v7, 0 :: v_dual_mov_b32 v8, 0
.LBB159_14:                             ; =>This Inner Loop Header: Depth=1
	s_delay_alu instid0(VALU_DEP_2) | instskip(SKIP_1) | instid1(VALU_DEP_4)
	v_cmp_eq_u32_e32 vcc_lo, 1, v16
	v_cmp_eq_u32_e64 s2, 2, v16
	v_dual_cndmask_b32 v19, v5, v9 :: v_dual_cndmask_b32 v20, v4, v15
	s_delay_alu instid0(VALU_DEP_1) | instskip(SKIP_2) | instid1(VALU_DEP_4)
	v_cndmask_b32_e64 v19, v19, v11, s2
	v_cndmask_b32_e32 v18, v6, v13, vcc_lo
	v_cmp_eq_u32_e32 vcc_lo, 3, v16
	v_cndmask_b32_e64 v20, v20, v14, s2
	s_delay_alu instid0(VALU_DEP_4) | instskip(NEXT) | instid1(VALU_DEP_4)
	v_cndmask_b32_e32 v19, v19, v3, vcc_lo
	v_cndmask_b32_e64 v18, v18, v12, s2
	v_cmp_gt_u32_e64 s2, 4, v16
	s_delay_alu instid0(VALU_DEP_2) | instskip(NEXT) | instid1(VALU_DEP_2)
	v_cndmask_b32_e32 v18, v18, v2, vcc_lo
	v_cndmask_b32_e64 v21, 0, v19, s2
	s_delay_alu instid0(VALU_DEP_2)
	v_cndmask_b32_e64 v18, 0xff800000, v18, s2
	;;#ASMSTART
	v_max_f32 v22, v18, v18 quad_perm:[1,0,3,2] row_mask:0xf bank_mask:0xf bound_ctrl:1
	;;#ASMEND
	;;#ASMSTART
	v_max_f32 v23, v22, v22 quad_perm:[2,3,0,1] row_mask:0xf bank_mask:0xf bound_ctrl:1
	;;#ASMEND
	;;#ASMSTART
	v_max_f32 v22, v23, v23 row_half_mirror row_mask:0xf bank_mask:0xf bound_ctrl:1
	;;#ASMEND
	;;#ASMSTART
	v_max_f32 v23, v22, v22 row_mirror row_mask:0xf bank_mask:0xf bound_ctrl:1
	;;#ASMEND
	v_permlanex16_b32 v22, v23, s9, 0xfedcba98 op_sel:[1,1]
	s_delay_alu instid0(VALU_DEP_1) | instskip(NEXT) | instid1(VALU_DEP_1)
	v_dual_max_f32 v23, v23, v23 :: v_dual_max_f32 v22, v22, v22
	v_max_f32_e32 v22, v23, v22
	s_delay_alu instid0(VALU_DEP_1) | instskip(SKIP_1) | instid1(VALU_DEP_2)
	v_cmp_eq_f32_e64 s3, v18, v22
	v_cndmask_b32_e32 v18, v20, v1, vcc_lo
	s_ctz_i32_b32 s11, s3
	s_cmp_lg_u32 s3, 0
	s_cselect_b32 s3, s11, 0
	s_add_i32 s10, s10, -1
	v_readlane_b32 s3, v21, s3
	s_delay_alu instid0(VALU_DEP_1)
	v_cmp_eq_u32_e32 vcc_lo, s3, v19
	s_and_b32 vcc_lo, s2, vcc_lo
	s_and_b32 s2, s3, 31
	v_cndmask_b32_e32 v18, 0, v18, vcc_lo
	v_add_co_ci_u32_e32 v16, vcc_lo, 0, v16, vcc_lo
	s_cmp_eq_u32 s10, 0
	s_delay_alu instid0(VALU_DEP_2) | instskip(SKIP_1) | instid1(VALU_DEP_2)
	v_readlane_b32 s11, v18, s2
	v_cmp_eq_u32_e64 s2, 0, v17
	v_dual_add_f32 v10, s11, v10 :: v_dual_add_nc_u32 v17, -1, v17
	s_delay_alu instid0(VALU_DEP_2)
	v_cndmask_b32_e64 v8, v8, s11, s2
	v_cndmask_b32_e64 v7, v7, s3, s2
	s_cbranch_scc0 .LBB159_14
; %bb.15:
	s_mov_b32 s2, exec_lo
	v_cmpx_gt_i32_e64 s8, v0
	s_cbranch_execz .LBB159_17
.LBB159_16:
	s_load_b32 s2, s[0:1], 0x30
	v_max_f32_e32 v1, v10, v10
	s_load_b64 s[0:1], s[0:1], 0x20
	s_ashr_i32 s3, s15, 31
	s_delay_alu instid0(VALU_DEP_1) | instskip(SKIP_1) | instid1(VALU_DEP_1)
	v_dual_max_f32 v1, 0x1e3ce508, v1 :: v_dual_lshlrev_b32 v0, 2, v0
	s_waitcnt lgkmcnt(0)
	v_div_scale_f32 v2, null, v1, v1, s2
	v_div_scale_f32 v5, vcc_lo, s2, v1, s2
	s_mul_i32 s1, s15, s1
	s_delay_alu instid0(VALU_DEP_2)
	v_rcp_f32_e32 v3, v2
	s_mul_hi_u32 s8, s15, s0
	s_mul_i32 s3, s3, s0
	s_add_i32 s1, s8, s1
	s_mul_i32 s0, s15, s0
	s_add_i32 s1, s1, s3
	s_delay_alu instid0(SALU_CYCLE_1) | instskip(SKIP_2) | instid1(VALU_DEP_1)
	s_lshl_b64 s[0:1], s[0:1], 2
	s_waitcnt_depctr 0xfff
	v_fma_f32 v4, -v2, v3, 1.0
	v_fmac_f32_e32 v3, v4, v3
	s_delay_alu instid0(VALU_DEP_1) | instskip(NEXT) | instid1(VALU_DEP_1)
	v_mul_f32_e32 v4, v5, v3
	v_fma_f32 v6, -v2, v4, v5
	s_delay_alu instid0(VALU_DEP_1) | instskip(NEXT) | instid1(VALU_DEP_1)
	v_fmac_f32_e32 v4, v6, v3
	v_fma_f32 v2, -v2, v4, v5
	s_delay_alu instid0(VALU_DEP_1) | instskip(NEXT) | instid1(VALU_DEP_1)
	v_div_fmas_f32 v2, v2, v3, v4
	v_div_fixup_f32 v1, v2, v1, s2
	s_add_u32 s2, s4, s0
	s_addc_u32 s3, s5, s1
	s_add_u32 s0, s6, s0
	s_addc_u32 s1, s7, s1
	v_mul_f32_e32 v1, v8, v1
	s_clause 0x1
	global_store_b32 v0, v1, s[2:3]
	global_store_b32 v0, v7, s[0:1]
.LBB159_17:
	s_nop 0
	s_sendmsg sendmsg(MSG_DEALLOC_VGPRS)
	s_endpgm
.LBB159_18:
	v_dual_mov_b32 v7, 0 :: v_dual_mov_b32 v8, 0
	s_mov_b32 s2, exec_lo
	v_cmpx_gt_i32_e64 s8, v0
	s_cbranch_execnz .LBB159_16
	s_branch .LBB159_17
	.section	.rodata,"a",@progbits
	.p2align	6, 0x0
	.amdhsa_kernel _ZN5aiter24topk_softplus_kernel_optI6__halfS1_Li128ELb1ELi0EEEvPKT_PKT0_PfPimiif
		.amdhsa_group_segment_fixed_size 0
		.amdhsa_private_segment_fixed_size 0
		.amdhsa_kernarg_size 52
		.amdhsa_user_sgpr_count 15
		.amdhsa_user_sgpr_dispatch_ptr 0
		.amdhsa_user_sgpr_queue_ptr 0
		.amdhsa_user_sgpr_kernarg_segment_ptr 1
		.amdhsa_user_sgpr_dispatch_id 0
		.amdhsa_user_sgpr_private_segment_size 0
		.amdhsa_wavefront_size32 1
		.amdhsa_uses_dynamic_stack 0
		.amdhsa_enable_private_segment 0
		.amdhsa_system_sgpr_workgroup_id_x 1
		.amdhsa_system_sgpr_workgroup_id_y 0
		.amdhsa_system_sgpr_workgroup_id_z 0
		.amdhsa_system_sgpr_workgroup_info 0
		.amdhsa_system_vgpr_workitem_id 0
		.amdhsa_next_free_vgpr 24
		.amdhsa_next_free_sgpr 16
		.amdhsa_reserve_vcc 1
		.amdhsa_float_round_mode_32 0
		.amdhsa_float_round_mode_16_64 0
		.amdhsa_float_denorm_mode_32 3
		.amdhsa_float_denorm_mode_16_64 3
		.amdhsa_dx10_clamp 1
		.amdhsa_ieee_mode 1
		.amdhsa_fp16_overflow 0
		.amdhsa_workgroup_processor_mode 1
		.amdhsa_memory_ordered 1
		.amdhsa_forward_progress 0
		.amdhsa_shared_vgpr_count 0
		.amdhsa_exception_fp_ieee_invalid_op 0
		.amdhsa_exception_fp_denorm_src 0
		.amdhsa_exception_fp_ieee_div_zero 0
		.amdhsa_exception_fp_ieee_overflow 0
		.amdhsa_exception_fp_ieee_underflow 0
		.amdhsa_exception_fp_ieee_inexact 0
		.amdhsa_exception_int_div_zero 0
	.end_amdhsa_kernel
	.section	.text._ZN5aiter24topk_softplus_kernel_optI6__halfS1_Li128ELb1ELi0EEEvPKT_PKT0_PfPimiif,"axG",@progbits,_ZN5aiter24topk_softplus_kernel_optI6__halfS1_Li128ELb1ELi0EEEvPKT_PKT0_PfPimiif,comdat
.Lfunc_end159:
	.size	_ZN5aiter24topk_softplus_kernel_optI6__halfS1_Li128ELb1ELi0EEEvPKT_PKT0_PfPimiif, .Lfunc_end159-_ZN5aiter24topk_softplus_kernel_optI6__halfS1_Li128ELb1ELi0EEEvPKT_PKT0_PfPimiif
                                        ; -- End function
	.section	.AMDGPU.csdata,"",@progbits
; Kernel info:
; codeLenInByte = 2324
; NumSgprs: 18
; NumVgprs: 24
; ScratchSize: 0
; MemoryBound: 0
; FloatMode: 240
; IeeeMode: 1
; LDSByteSize: 0 bytes/workgroup (compile time only)
; SGPRBlocks: 2
; VGPRBlocks: 2
; NumSGPRsForWavesPerEU: 18
; NumVGPRsForWavesPerEU: 24
; Occupancy: 16
; WaveLimiterHint : 0
; COMPUTE_PGM_RSRC2:SCRATCH_EN: 0
; COMPUTE_PGM_RSRC2:USER_SGPR: 15
; COMPUTE_PGM_RSRC2:TRAP_HANDLER: 0
; COMPUTE_PGM_RSRC2:TGID_X_EN: 1
; COMPUTE_PGM_RSRC2:TGID_Y_EN: 0
; COMPUTE_PGM_RSRC2:TGID_Z_EN: 0
; COMPUTE_PGM_RSRC2:TIDIG_COMP_CNT: 0
	.section	.text._ZN5aiter24topk_softplus_kernel_optI6__halfS1_Li128ELb0ELi0EEEvPKT_PKT0_PfPimiif,"axG",@progbits,_ZN5aiter24topk_softplus_kernel_optI6__halfS1_Li128ELb0ELi0EEEvPKT_PKT0_PfPimiif,comdat
	.protected	_ZN5aiter24topk_softplus_kernel_optI6__halfS1_Li128ELb0ELi0EEEvPKT_PKT0_PfPimiif ; -- Begin function _ZN5aiter24topk_softplus_kernel_optI6__halfS1_Li128ELb0ELi0EEEvPKT_PKT0_PfPimiif
	.globl	_ZN5aiter24topk_softplus_kernel_optI6__halfS1_Li128ELb0ELi0EEEvPKT_PKT0_PfPimiif
	.p2align	8
	.type	_ZN5aiter24topk_softplus_kernel_optI6__halfS1_Li128ELb0ELi0EEEvPKT_PKT0_PfPimiif,@function
_ZN5aiter24topk_softplus_kernel_optI6__halfS1_Li128ELb0ELi0EEEvPKT_PKT0_PfPimiif: ; @_ZN5aiter24topk_softplus_kernel_optI6__halfS1_Li128ELb0ELi0EEEvPKT_PKT0_PfPimiif
; %bb.0:
	s_load_b128 s[4:7], s[0:1], 0x0
	s_lshl_b32 s2, s15, 7
	v_lshlrev_b32_e32 v3, 1, v0
	s_ashr_i32 s3, s2, 31
	s_delay_alu instid0(SALU_CYCLE_1)
	s_lshl_b64 s[2:3], s[2:3], 1
	s_waitcnt lgkmcnt(0)
	s_add_u32 s8, s4, s2
	s_addc_u32 s9, s5, s3
	s_mov_b32 s4, 0x3fb8aa3b
	global_load_u16 v1, v3, s[8:9]
	s_cmp_lg_u64 s[6:7], 0
	s_cselect_b32 s3, -1, 0
	s_waitcnt vmcnt(0)
	v_cvt_f32_f16_e32 v2, v1
	s_delay_alu instid0(VALU_DEP_1) | instskip(NEXT) | instid1(VALU_DEP_1)
	v_mul_f32_e32 v4, 0x3fb8aa3b, v2
	v_cmp_gt_f32_e32 vcc_lo, 0xc2fc0000, v4
	v_cndmask_b32_e64 v4, 0, 0x42800000, vcc_lo
	v_cndmask_b32_e64 v5, 1.0, 0x1f800000, vcc_lo
	s_delay_alu instid0(VALU_DEP_2) | instskip(NEXT) | instid1(VALU_DEP_1)
	v_fma_mix_f32 v4, v1, s4, v4 op_sel_hi:[1,0,0]
	v_exp_f32_e32 v4, v4
	s_waitcnt_depctr 0xfff
	v_fma_f32 v4, v4, v5, 1.0
	s_delay_alu instid0(VALU_DEP_1) | instskip(SKIP_1) | instid1(VALU_DEP_1)
	v_cmp_gt_f32_e32 vcc_lo, 0x800000, v4
	v_cndmask_b32_e64 v5, 1.0, 0x4f800000, vcc_lo
	v_mul_f32_e32 v4, v4, v5
	v_cndmask_b32_e64 v5, 0, 0x42000000, vcc_lo
	v_cmp_lt_f16_e32 vcc_lo, 0x4d00, v1
	s_delay_alu instid0(VALU_DEP_3) | instskip(SKIP_2) | instid1(VALU_DEP_1)
	v_log_f32_e32 v4, v4
	s_waitcnt_depctr 0xfff
	v_sub_f32_e32 v4, v4, v5
	v_mul_f32_e32 v4, 0x3f317218, v4
	s_delay_alu instid0(VALU_DEP_1) | instskip(NEXT) | instid1(VALU_DEP_1)
	v_cndmask_b32_e32 v1, v4, v2, vcc_lo
	v_mul_f32_e32 v2, 0x4f800000, v1
	v_cmp_gt_f32_e32 vcc_lo, 0xf800000, v1
	s_delay_alu instid0(VALU_DEP_2) | instskip(NEXT) | instid1(VALU_DEP_1)
	v_cndmask_b32_e32 v1, v1, v2, vcc_lo
	v_sqrt_f32_e32 v2, v1
	s_waitcnt_depctr 0xfff
	v_add_nc_u32_e32 v4, -1, v2
	v_add_nc_u32_e32 v5, 1, v2
	s_delay_alu instid0(VALU_DEP_2) | instskip(NEXT) | instid1(VALU_DEP_2)
	v_fma_f32 v6, -v4, v2, v1
	v_fma_f32 v7, -v5, v2, v1
	s_delay_alu instid0(VALU_DEP_2) | instskip(NEXT) | instid1(VALU_DEP_1)
	v_cmp_ge_f32_e64 s2, 0, v6
	v_cndmask_b32_e64 v2, v2, v4, s2
	s_delay_alu instid0(VALU_DEP_3) | instskip(NEXT) | instid1(VALU_DEP_1)
	v_cmp_lt_f32_e64 s2, 0, v7
	v_cndmask_b32_e64 v2, v2, v5, s2
	s_delay_alu instid0(VALU_DEP_1) | instskip(NEXT) | instid1(VALU_DEP_1)
	v_mul_f32_e32 v4, 0x37800000, v2
	v_cndmask_b32_e32 v2, v2, v4, vcc_lo
	v_cmp_class_f32_e64 vcc_lo, v1, 0x260
	s_delay_alu instid0(VALU_DEP_2) | instskip(SKIP_1) | instid1(VALU_DEP_1)
	v_cndmask_b32_e32 v4, v2, v1, vcc_lo
	v_add_co_u32 v1, s2, s8, v3
	v_add_co_ci_u32_e64 v2, null, s9, 0, s2
	s_delay_alu instid0(VALU_DEP_3)
	v_mov_b32_e32 v5, v4
	s_and_b32 vcc_lo, exec_lo, s3
	s_cbranch_vccz .LBB160_2
; %bb.1:
	global_load_u16 v5, v3, s[6:7]
	s_waitcnt vmcnt(0)
	v_cvt_f32_f16_e32 v5, v5
	s_delay_alu instid0(VALU_DEP_1)
	v_add_f32_e32 v5, v4, v5
.LBB160_2:
	global_load_u16 v6, v[1:2], off offset:64
	s_waitcnt vmcnt(0)
	v_cvt_f32_f16_e32 v7, v6
	s_delay_alu instid0(VALU_DEP_1) | instskip(NEXT) | instid1(VALU_DEP_1)
	v_mul_f32_e32 v8, 0x3fb8aa3b, v7
	v_cmp_gt_f32_e32 vcc_lo, 0xc2fc0000, v8
	v_cndmask_b32_e64 v9, 0, 0x42800000, vcc_lo
	v_cndmask_b32_e64 v8, 1.0, 0x1f800000, vcc_lo
	s_delay_alu instid0(VALU_DEP_2) | instskip(NEXT) | instid1(VALU_DEP_1)
	v_fma_mix_f32 v9, v6, s4, v9 op_sel_hi:[1,0,0]
	v_exp_f32_e32 v9, v9
	s_waitcnt_depctr 0xfff
	v_fma_f32 v8, v9, v8, 1.0
	s_delay_alu instid0(VALU_DEP_1) | instskip(SKIP_1) | instid1(VALU_DEP_1)
	v_cmp_gt_f32_e32 vcc_lo, 0x800000, v8
	v_cndmask_b32_e64 v9, 1.0, 0x4f800000, vcc_lo
	v_mul_f32_e32 v8, v8, v9
	v_cndmask_b32_e64 v9, 0, 0x42000000, vcc_lo
	v_cmp_lt_f16_e32 vcc_lo, 0x4d00, v6
	s_delay_alu instid0(VALU_DEP_3) | instskip(SKIP_2) | instid1(VALU_DEP_1)
	v_log_f32_e32 v8, v8
	s_waitcnt_depctr 0xfff
	v_sub_f32_e32 v8, v8, v9
	v_mul_f32_e32 v8, 0x3f317218, v8
	s_delay_alu instid0(VALU_DEP_1) | instskip(NEXT) | instid1(VALU_DEP_1)
	v_cndmask_b32_e32 v6, v8, v7, vcc_lo
	v_mul_f32_e32 v7, 0x4f800000, v6
	v_cmp_gt_f32_e32 vcc_lo, 0xf800000, v6
	s_delay_alu instid0(VALU_DEP_2) | instskip(NEXT) | instid1(VALU_DEP_1)
	v_cndmask_b32_e32 v6, v6, v7, vcc_lo
	v_sqrt_f32_e32 v7, v6
	s_waitcnt_depctr 0xfff
	v_add_nc_u32_e32 v8, -1, v7
	v_add_nc_u32_e32 v9, 1, v7
	s_delay_alu instid0(VALU_DEP_2) | instskip(NEXT) | instid1(VALU_DEP_2)
	v_fma_f32 v10, -v8, v7, v6
	v_fma_f32 v11, -v9, v7, v6
	s_delay_alu instid0(VALU_DEP_2) | instskip(NEXT) | instid1(VALU_DEP_1)
	v_cmp_ge_f32_e64 s2, 0, v10
	v_cndmask_b32_e64 v7, v7, v8, s2
	s_delay_alu instid0(VALU_DEP_3) | instskip(NEXT) | instid1(VALU_DEP_1)
	v_cmp_lt_f32_e64 s2, 0, v11
	v_cndmask_b32_e64 v7, v7, v9, s2
	s_delay_alu instid0(VALU_DEP_1) | instskip(NEXT) | instid1(VALU_DEP_1)
	v_mul_f32_e32 v8, 0x37800000, v7
	v_cndmask_b32_e32 v8, v7, v8, vcc_lo
	v_cmp_class_f32_e64 vcc_lo, v6, 0x260
	v_cndmask_b32_e64 v7, 0, 1, s3
	s_delay_alu instid0(VALU_DEP_3) | instskip(SKIP_1) | instid1(VALU_DEP_1)
	v_cndmask_b32_e32 v8, v8, v6, vcc_lo
	s_and_not1_b32 vcc_lo, exec_lo, s3
	v_mov_b32_e32 v11, v8
	s_cbranch_vccnz .LBB160_4
; %bb.3:
	global_load_u16 v6, v3, s[6:7] offset:64
	s_waitcnt vmcnt(0)
	v_cvt_f32_f16_e32 v6, v6
	s_delay_alu instid0(VALU_DEP_1)
	v_add_f32_e32 v11, v8, v6
.LBB160_4:
	global_load_u16 v6, v[1:2], off offset:128
	s_mov_b32 s3, 0x3fb8aa3b
	s_waitcnt vmcnt(0)
	v_cvt_f32_f16_e32 v9, v6
	s_delay_alu instid0(VALU_DEP_1) | instskip(NEXT) | instid1(VALU_DEP_1)
	v_mul_f32_e32 v10, 0x3fb8aa3b, v9
	v_cmp_gt_f32_e32 vcc_lo, 0xc2fc0000, v10
	v_cndmask_b32_e64 v12, 0, 0x42800000, vcc_lo
	v_cndmask_b32_e64 v10, 1.0, 0x1f800000, vcc_lo
	s_delay_alu instid0(VALU_DEP_2) | instskip(NEXT) | instid1(VALU_DEP_1)
	v_fma_mix_f32 v12, v6, s3, v12 op_sel_hi:[1,0,0]
	v_exp_f32_e32 v12, v12
	s_waitcnt_depctr 0xfff
	v_fma_f32 v10, v12, v10, 1.0
	s_delay_alu instid0(VALU_DEP_1) | instskip(SKIP_1) | instid1(VALU_DEP_1)
	v_cmp_gt_f32_e32 vcc_lo, 0x800000, v10
	v_cndmask_b32_e64 v12, 1.0, 0x4f800000, vcc_lo
	v_mul_f32_e32 v10, v10, v12
	v_cndmask_b32_e64 v12, 0, 0x42000000, vcc_lo
	v_cmp_lt_f16_e32 vcc_lo, 0x4d00, v6
	s_delay_alu instid0(VALU_DEP_3) | instskip(SKIP_2) | instid1(VALU_DEP_1)
	v_log_f32_e32 v10, v10
	s_waitcnt_depctr 0xfff
	v_sub_f32_e32 v10, v10, v12
	v_mul_f32_e32 v10, 0x3f317218, v10
	s_delay_alu instid0(VALU_DEP_1) | instskip(NEXT) | instid1(VALU_DEP_1)
	v_cndmask_b32_e32 v6, v10, v9, vcc_lo
	v_mul_f32_e32 v9, 0x4f800000, v6
	v_cmp_gt_f32_e32 vcc_lo, 0xf800000, v6
	s_delay_alu instid0(VALU_DEP_2) | instskip(NEXT) | instid1(VALU_DEP_1)
	v_cndmask_b32_e32 v6, v6, v9, vcc_lo
	v_sqrt_f32_e32 v9, v6
	s_waitcnt_depctr 0xfff
	v_add_nc_u32_e32 v10, -1, v9
	v_add_nc_u32_e32 v12, 1, v9
	s_delay_alu instid0(VALU_DEP_2) | instskip(NEXT) | instid1(VALU_DEP_2)
	v_fma_f32 v13, -v10, v9, v6
	v_fma_f32 v14, -v12, v9, v6
	s_delay_alu instid0(VALU_DEP_2) | instskip(NEXT) | instid1(VALU_DEP_1)
	v_cmp_ge_f32_e64 s2, 0, v13
	v_cndmask_b32_e64 v9, v9, v10, s2
	s_delay_alu instid0(VALU_DEP_3) | instskip(NEXT) | instid1(VALU_DEP_1)
	v_cmp_lt_f32_e64 s2, 0, v14
	v_cndmask_b32_e64 v9, v9, v12, s2
	s_delay_alu instid0(VALU_DEP_1) | instskip(NEXT) | instid1(VALU_DEP_1)
	v_mul_f32_e32 v10, 0x37800000, v9
	v_cndmask_b32_e32 v9, v9, v10, vcc_lo
	v_cmp_class_f32_e64 vcc_lo, v6, 0x260
	s_delay_alu instid0(VALU_DEP_2) | instskip(SKIP_1) | instid1(VALU_DEP_2)
	v_cndmask_b32_e32 v9, v9, v6, vcc_lo
	v_cmp_ne_u32_e32 vcc_lo, 1, v7
	v_mov_b32_e32 v6, v9
	s_cbranch_vccnz .LBB160_6
; %bb.5:
	global_load_u16 v6, v3, s[6:7] offset:128
	s_waitcnt vmcnt(0)
	v_cvt_f32_f16_e32 v6, v6
	s_delay_alu instid0(VALU_DEP_1)
	v_add_f32_e32 v6, v9, v6
.LBB160_6:
	global_load_u16 v1, v[1:2], off offset:192
	s_waitcnt vmcnt(0)
	v_cvt_f32_f16_e32 v2, v1
	s_delay_alu instid0(VALU_DEP_1) | instskip(NEXT) | instid1(VALU_DEP_1)
	v_mul_f32_e32 v10, 0x3fb8aa3b, v2
	v_cmp_gt_f32_e32 vcc_lo, 0xc2fc0000, v10
	v_cndmask_b32_e64 v12, 0, 0x42800000, vcc_lo
	v_cndmask_b32_e64 v10, 1.0, 0x1f800000, vcc_lo
	s_delay_alu instid0(VALU_DEP_2) | instskip(NEXT) | instid1(VALU_DEP_1)
	v_fma_mix_f32 v12, v1, s3, v12 op_sel_hi:[1,0,0]
	v_exp_f32_e32 v12, v12
	s_waitcnt_depctr 0xfff
	v_fma_f32 v10, v12, v10, 1.0
	s_delay_alu instid0(VALU_DEP_1) | instskip(SKIP_1) | instid1(VALU_DEP_1)
	v_cmp_gt_f32_e32 vcc_lo, 0x800000, v10
	v_cndmask_b32_e64 v12, 1.0, 0x4f800000, vcc_lo
	v_mul_f32_e32 v10, v10, v12
	v_cndmask_b32_e64 v12, 0, 0x42000000, vcc_lo
	v_cmp_lt_f16_e32 vcc_lo, 0x4d00, v1
	s_delay_alu instid0(VALU_DEP_3) | instskip(SKIP_2) | instid1(VALU_DEP_1)
	v_log_f32_e32 v10, v10
	s_waitcnt_depctr 0xfff
	v_sub_f32_e32 v10, v10, v12
	v_mul_f32_e32 v10, 0x3f317218, v10
	s_delay_alu instid0(VALU_DEP_1) | instskip(NEXT) | instid1(VALU_DEP_1)
	v_cndmask_b32_e32 v1, v10, v2, vcc_lo
	v_mul_f32_e32 v2, 0x4f800000, v1
	v_cmp_gt_f32_e32 vcc_lo, 0xf800000, v1
	s_delay_alu instid0(VALU_DEP_2) | instskip(NEXT) | instid1(VALU_DEP_1)
	v_cndmask_b32_e32 v1, v1, v2, vcc_lo
	v_sqrt_f32_e32 v2, v1
	s_waitcnt_depctr 0xfff
	v_add_nc_u32_e32 v10, -1, v2
	v_add_nc_u32_e32 v12, 1, v2
	s_delay_alu instid0(VALU_DEP_2) | instskip(NEXT) | instid1(VALU_DEP_2)
	v_fma_f32 v13, -v10, v2, v1
	v_fma_f32 v14, -v12, v2, v1
	s_delay_alu instid0(VALU_DEP_2) | instskip(NEXT) | instid1(VALU_DEP_1)
	v_cmp_ge_f32_e64 s2, 0, v13
	v_cndmask_b32_e64 v2, v2, v10, s2
	s_delay_alu instid0(VALU_DEP_3) | instskip(NEXT) | instid1(VALU_DEP_1)
	v_cmp_lt_f32_e64 s2, 0, v14
	v_cndmask_b32_e64 v2, v2, v12, s2
	s_delay_alu instid0(VALU_DEP_1) | instskip(NEXT) | instid1(VALU_DEP_1)
	v_mul_f32_e32 v10, 0x37800000, v2
	v_cndmask_b32_e32 v2, v2, v10, vcc_lo
	v_cmp_class_f32_e64 vcc_lo, v1, 0x260
	s_delay_alu instid0(VALU_DEP_2) | instskip(SKIP_1) | instid1(VALU_DEP_2)
	v_cndmask_b32_e32 v1, v2, v1, vcc_lo
	v_cmp_ne_u32_e32 vcc_lo, 1, v7
	v_mov_b32_e32 v2, v1
	s_cbranch_vccnz .LBB160_8
; %bb.7:
	global_load_u16 v2, v3, s[6:7] offset:192
	s_waitcnt vmcnt(0)
	v_cvt_f32_f16_e32 v2, v2
	s_delay_alu instid0(VALU_DEP_1)
	v_add_f32_e32 v2, v1, v2
.LBB160_8:
	v_cmp_lt_f32_e32 vcc_lo, v5, v11
	v_add_nc_u32_e32 v12, 32, v0
	v_add_nc_u32_e32 v15, 64, v0
	v_dual_mov_b32 v16, v6 :: v_dual_add_nc_u32 v3, 0x60, v0
	v_cndmask_b32_e32 v7, v8, v4, vcc_lo
	v_cndmask_b32_e32 v4, v4, v8, vcc_lo
	v_dual_cndmask_b32 v8, v11, v5 :: v_dual_cndmask_b32 v13, v5, v11
	v_cndmask_b32_e32 v10, v12, v0, vcc_lo
	v_cndmask_b32_e32 v12, v0, v12, vcc_lo
	s_mov_b32 s2, exec_lo
	v_cmpx_lt_f32_e32 v6, v2
	s_xor_b32 s2, exec_lo, s2
; %bb.9:
	v_dual_mov_b32 v5, v9 :: v_dual_mov_b32 v14, v6
	v_dual_mov_b32 v11, v15 :: v_dual_mov_b32 v6, v2
	v_swap_b32 v9, v1
	v_swap_b32 v15, v3
	v_mov_b32_e32 v16, v2
	v_mov_b32_e32 v2, v14
; %bb.10:
	s_or_b32 exec_lo, exec_lo, s2
	v_cmp_lt_f32_e32 vcc_lo, v13, v6
	s_mov_b32 s2, exec_lo
	v_dual_cndmask_b32 v14, v9, v4 :: v_dual_cndmask_b32 v5, v12, v15
	v_dual_cndmask_b32 v4, v4, v9 :: v_dual_cndmask_b32 v11, v15, v12
	v_cndmask_b32_e32 v12, v16, v13, vcc_lo
	v_dual_cndmask_b32 v6, v13, v6 :: v_dual_mov_b32 v13, v8
	v_cmpx_lt_f32_e32 v8, v2
; %bb.11:
	v_mov_b32_e32 v15, v8
	v_dual_mov_b32 v9, v7 :: v_dual_mov_b32 v8, v2
	v_mov_b32_e32 v13, v10
	v_swap_b32 v7, v1
	v_swap_b32 v10, v3
	v_dual_mov_b32 v13, v2 :: v_dual_mov_b32 v2, v15
; %bb.12:
	s_or_b32 exec_lo, exec_lo, s2
	s_clause 0x1
	s_load_b32 s8, s[0:1], 0x28
	s_load_b128 s[4:7], s[0:1], 0x10
	s_waitcnt lgkmcnt(0)
	s_cmp_lt_i32 s8, 1
	s_cbranch_scc1 .LBB160_18
; %bb.13:
	v_cmp_lt_f32_e32 vcc_lo, v8, v12
	v_dual_mov_b32 v15, 0 :: v_dual_mov_b32 v16, v0
	s_mov_b32 s9, 0x76543210
	s_mov_b32 s10, s8
	v_dual_cndmask_b32 v9, v11, v10 :: v_dual_cndmask_b32 v10, v10, v11
	v_cndmask_b32_e32 v11, v12, v8, vcc_lo
	v_dual_cndmask_b32 v12, v13, v12 :: v_dual_cndmask_b32 v13, v14, v7
	v_cndmask_b32_e32 v14, v7, v14, vcc_lo
	v_dual_mov_b32 v8, 0 :: v_dual_mov_b32 v7, 0
.LBB160_14:                             ; =>This Inner Loop Header: Depth=1
	v_cmp_eq_u32_e32 vcc_lo, 1, v15
	v_cmp_eq_u32_e64 s2, 2, v15
	v_cmp_gt_u32_e64 s3, 4, v15
	v_dual_cndmask_b32 v17, v6, v12 :: v_dual_cndmask_b32 v18, v5, v10
	v_cndmask_b32_e32 v19, v4, v14, vcc_lo
	v_cmp_eq_u32_e32 vcc_lo, 3, v15
	s_delay_alu instid0(VALU_DEP_3) | instskip(NEXT) | instid1(VALU_DEP_4)
	v_cndmask_b32_e64 v17, v17, v11, s2
	v_cndmask_b32_e64 v18, v18, v9, s2
	s_delay_alu instid0(VALU_DEP_1) | instskip(NEXT) | instid1(VALU_DEP_1)
	v_dual_cndmask_b32 v17, v17, v2 :: v_dual_cndmask_b32 v18, v18, v3
	v_cndmask_b32_e64 v17, 0xff800000, v17, s3
	;;#ASMSTART
	v_max_f32 v20, v17, v17 quad_perm:[1,0,3,2] row_mask:0xf bank_mask:0xf bound_ctrl:1
	;;#ASMEND
	;;#ASMSTART
	v_max_f32 v21, v20, v20 quad_perm:[2,3,0,1] row_mask:0xf bank_mask:0xf bound_ctrl:1
	;;#ASMEND
	;;#ASMSTART
	v_max_f32 v20, v21, v21 row_half_mirror row_mask:0xf bank_mask:0xf bound_ctrl:1
	;;#ASMEND
	;;#ASMSTART
	v_max_f32 v21, v20, v20 row_mirror row_mask:0xf bank_mask:0xf bound_ctrl:1
	;;#ASMEND
	v_permlanex16_b32 v20, v21, s9, 0xfedcba98 op_sel:[1,1]
	s_delay_alu instid0(VALU_DEP_1) | instskip(NEXT) | instid1(VALU_DEP_1)
	v_dual_max_f32 v21, v21, v21 :: v_dual_max_f32 v20, v20, v20
	v_max_f32_e32 v20, v21, v20
	v_cndmask_b32_e64 v19, v19, v13, s2
	s_delay_alu instid0(VALU_DEP_2) | instskip(SKIP_1) | instid1(VALU_DEP_2)
	v_cmp_eq_f32_e64 s2, v17, v20
	v_cndmask_b32_e64 v17, 0, v18, s3
	s_ctz_i32_b32 s11, s2
	s_cmp_lg_u32 s2, 0
	s_cselect_b32 s2, s11, 0
	s_add_i32 s10, s10, -1
	v_readlane_b32 s11, v17, s2
	v_cndmask_b32_e32 v17, v19, v1, vcc_lo
	s_delay_alu instid0(VALU_DEP_2)
	v_cmp_eq_u32_e32 vcc_lo, s11, v18
	s_and_b32 s2, s11, 31
	s_and_b32 vcc_lo, s3, vcc_lo
	s_cmp_eq_u32 s10, 0
	v_cndmask_b32_e32 v17, 0, v17, vcc_lo
	v_add_co_ci_u32_e32 v15, vcc_lo, 0, v15, vcc_lo
	s_delay_alu instid0(VALU_DEP_2) | instskip(SKIP_2) | instid1(VALU_DEP_2)
	v_readlane_b32 s3, v17, s2
	v_cmp_eq_u32_e64 s2, 0, v16
	v_add_nc_u32_e32 v16, -1, v16
	v_cndmask_b32_e64 v8, v8, s3, s2
	v_cndmask_b32_e64 v7, v7, s11, s2
	s_cbranch_scc0 .LBB160_14
; %bb.15:
	s_mov_b32 s2, exec_lo
	v_cmpx_gt_i32_e64 s8, v0
	s_cbranch_execz .LBB160_17
.LBB160_16:
	s_clause 0x1
	s_load_b64 s[2:3], s[0:1], 0x20
	s_load_b32 s8, s[0:1], 0x30
	s_ashr_i32 s0, s15, 31
	v_lshlrev_b32_e32 v0, 2, v0
	s_waitcnt lgkmcnt(0)
	s_mul_i32 s1, s15, s3
	s_mul_hi_u32 s3, s15, s2
	s_mul_i32 s0, s0, s2
	s_add_i32 s1, s3, s1
	v_mul_f32_e32 v1, s8, v8
	s_add_i32 s1, s1, s0
	s_mul_i32 s0, s15, s2
	s_delay_alu instid0(SALU_CYCLE_1) | instskip(NEXT) | instid1(SALU_CYCLE_1)
	s_lshl_b64 s[0:1], s[0:1], 2
	s_add_u32 s2, s4, s0
	s_addc_u32 s3, s5, s1
	s_add_u32 s0, s6, s0
	s_addc_u32 s1, s7, s1
	s_clause 0x1
	global_store_b32 v0, v1, s[2:3]
	global_store_b32 v0, v7, s[0:1]
.LBB160_17:
	s_nop 0
	s_sendmsg sendmsg(MSG_DEALLOC_VGPRS)
	s_endpgm
.LBB160_18:
	v_dual_mov_b32 v7, 0 :: v_dual_mov_b32 v8, 0
	s_mov_b32 s2, exec_lo
	v_cmpx_gt_i32_e64 s8, v0
	s_cbranch_execnz .LBB160_16
	s_branch .LBB160_17
	.section	.rodata,"a",@progbits
	.p2align	6, 0x0
	.amdhsa_kernel _ZN5aiter24topk_softplus_kernel_optI6__halfS1_Li128ELb0ELi0EEEvPKT_PKT0_PfPimiif
		.amdhsa_group_segment_fixed_size 0
		.amdhsa_private_segment_fixed_size 0
		.amdhsa_kernarg_size 52
		.amdhsa_user_sgpr_count 15
		.amdhsa_user_sgpr_dispatch_ptr 0
		.amdhsa_user_sgpr_queue_ptr 0
		.amdhsa_user_sgpr_kernarg_segment_ptr 1
		.amdhsa_user_sgpr_dispatch_id 0
		.amdhsa_user_sgpr_private_segment_size 0
		.amdhsa_wavefront_size32 1
		.amdhsa_uses_dynamic_stack 0
		.amdhsa_enable_private_segment 0
		.amdhsa_system_sgpr_workgroup_id_x 1
		.amdhsa_system_sgpr_workgroup_id_y 0
		.amdhsa_system_sgpr_workgroup_id_z 0
		.amdhsa_system_sgpr_workgroup_info 0
		.amdhsa_system_vgpr_workitem_id 0
		.amdhsa_next_free_vgpr 22
		.amdhsa_next_free_sgpr 16
		.amdhsa_reserve_vcc 1
		.amdhsa_float_round_mode_32 0
		.amdhsa_float_round_mode_16_64 0
		.amdhsa_float_denorm_mode_32 3
		.amdhsa_float_denorm_mode_16_64 3
		.amdhsa_dx10_clamp 1
		.amdhsa_ieee_mode 1
		.amdhsa_fp16_overflow 0
		.amdhsa_workgroup_processor_mode 1
		.amdhsa_memory_ordered 1
		.amdhsa_forward_progress 0
		.amdhsa_shared_vgpr_count 0
		.amdhsa_exception_fp_ieee_invalid_op 0
		.amdhsa_exception_fp_denorm_src 0
		.amdhsa_exception_fp_ieee_div_zero 0
		.amdhsa_exception_fp_ieee_overflow 0
		.amdhsa_exception_fp_ieee_underflow 0
		.amdhsa_exception_fp_ieee_inexact 0
		.amdhsa_exception_int_div_zero 0
	.end_amdhsa_kernel
	.section	.text._ZN5aiter24topk_softplus_kernel_optI6__halfS1_Li128ELb0ELi0EEEvPKT_PKT0_PfPimiif,"axG",@progbits,_ZN5aiter24topk_softplus_kernel_optI6__halfS1_Li128ELb0ELi0EEEvPKT_PKT0_PfPimiif,comdat
.Lfunc_end160:
	.size	_ZN5aiter24topk_softplus_kernel_optI6__halfS1_Li128ELb0ELi0EEEvPKT_PKT0_PfPimiif, .Lfunc_end160-_ZN5aiter24topk_softplus_kernel_optI6__halfS1_Li128ELb0ELi0EEEvPKT_PKT0_PfPimiif
                                        ; -- End function
	.section	.AMDGPU.csdata,"",@progbits
; Kernel info:
; codeLenInByte = 2188
; NumSgprs: 18
; NumVgprs: 22
; ScratchSize: 0
; MemoryBound: 0
; FloatMode: 240
; IeeeMode: 1
; LDSByteSize: 0 bytes/workgroup (compile time only)
; SGPRBlocks: 2
; VGPRBlocks: 2
; NumSGPRsForWavesPerEU: 18
; NumVGPRsForWavesPerEU: 22
; Occupancy: 16
; WaveLimiterHint : 0
; COMPUTE_PGM_RSRC2:SCRATCH_EN: 0
; COMPUTE_PGM_RSRC2:USER_SGPR: 15
; COMPUTE_PGM_RSRC2:TRAP_HANDLER: 0
; COMPUTE_PGM_RSRC2:TGID_X_EN: 1
; COMPUTE_PGM_RSRC2:TGID_Y_EN: 0
; COMPUTE_PGM_RSRC2:TGID_Z_EN: 0
; COMPUTE_PGM_RSRC2:TIDIG_COMP_CNT: 0
	.section	.text._ZN5aiter24topk_softplus_kernel_optI6__halfS1_Li256ELb1ELi0EEEvPKT_PKT0_PfPimiif,"axG",@progbits,_ZN5aiter24topk_softplus_kernel_optI6__halfS1_Li256ELb1ELi0EEEvPKT_PKT0_PfPimiif,comdat
	.protected	_ZN5aiter24topk_softplus_kernel_optI6__halfS1_Li256ELb1ELi0EEEvPKT_PKT0_PfPimiif ; -- Begin function _ZN5aiter24topk_softplus_kernel_optI6__halfS1_Li256ELb1ELi0EEEvPKT_PKT0_PfPimiif
	.globl	_ZN5aiter24topk_softplus_kernel_optI6__halfS1_Li256ELb1ELi0EEEvPKT_PKT0_PfPimiif
	.p2align	8
	.type	_ZN5aiter24topk_softplus_kernel_optI6__halfS1_Li256ELb1ELi0EEEvPKT_PKT0_PfPimiif,@function
_ZN5aiter24topk_softplus_kernel_optI6__halfS1_Li256ELb1ELi0EEEvPKT_PKT0_PfPimiif: ; @_ZN5aiter24topk_softplus_kernel_optI6__halfS1_Li256ELb1ELi0EEEvPKT_PKT0_PfPimiif
; %bb.0:
	s_load_b128 s[4:7], s[0:1], 0x0
	s_lshl_b32 s2, s15, 8
	v_lshlrev_b32_e32 v3, 1, v0
	s_ashr_i32 s3, s2, 31
	s_delay_alu instid0(SALU_CYCLE_1)
	s_lshl_b64 s[2:3], s[2:3], 1
	s_waitcnt lgkmcnt(0)
	s_add_u32 s8, s4, s2
	s_addc_u32 s9, s5, s3
	s_mov_b32 s4, 0x3fb8aa3b
	global_load_u16 v1, v3, s[8:9]
	s_cmp_lg_u64 s[6:7], 0
	s_cselect_b32 s3, -1, 0
	s_waitcnt vmcnt(0)
	v_cvt_f32_f16_e32 v2, v1
	s_delay_alu instid0(VALU_DEP_1) | instskip(NEXT) | instid1(VALU_DEP_1)
	v_mul_f32_e32 v4, 0x3fb8aa3b, v2
	v_cmp_gt_f32_e32 vcc_lo, 0xc2fc0000, v4
	v_cndmask_b32_e64 v4, 0, 0x42800000, vcc_lo
	v_cndmask_b32_e64 v5, 1.0, 0x1f800000, vcc_lo
	s_delay_alu instid0(VALU_DEP_2) | instskip(NEXT) | instid1(VALU_DEP_1)
	v_fma_mix_f32 v4, v1, s4, v4 op_sel_hi:[1,0,0]
	v_exp_f32_e32 v4, v4
	s_waitcnt_depctr 0xfff
	v_fma_f32 v4, v4, v5, 1.0
	s_delay_alu instid0(VALU_DEP_1) | instskip(SKIP_1) | instid1(VALU_DEP_1)
	v_cmp_gt_f32_e32 vcc_lo, 0x800000, v4
	v_cndmask_b32_e64 v5, 1.0, 0x4f800000, vcc_lo
	v_mul_f32_e32 v4, v4, v5
	v_cndmask_b32_e64 v5, 0, 0x42000000, vcc_lo
	v_cmp_lt_f16_e32 vcc_lo, 0x4d00, v1
	s_delay_alu instid0(VALU_DEP_3) | instskip(SKIP_2) | instid1(VALU_DEP_1)
	v_log_f32_e32 v4, v4
	s_waitcnt_depctr 0xfff
	v_sub_f32_e32 v4, v4, v5
	v_mul_f32_e32 v4, 0x3f317218, v4
	s_delay_alu instid0(VALU_DEP_1) | instskip(NEXT) | instid1(VALU_DEP_1)
	v_cndmask_b32_e32 v1, v4, v2, vcc_lo
	v_mul_f32_e32 v2, 0x4f800000, v1
	v_cmp_gt_f32_e32 vcc_lo, 0xf800000, v1
	s_delay_alu instid0(VALU_DEP_2) | instskip(NEXT) | instid1(VALU_DEP_1)
	v_cndmask_b32_e32 v1, v1, v2, vcc_lo
	v_sqrt_f32_e32 v2, v1
	s_waitcnt_depctr 0xfff
	v_add_nc_u32_e32 v4, -1, v2
	v_add_nc_u32_e32 v5, 1, v2
	s_delay_alu instid0(VALU_DEP_2) | instskip(NEXT) | instid1(VALU_DEP_2)
	v_fma_f32 v6, -v4, v2, v1
	v_fma_f32 v7, -v5, v2, v1
	s_delay_alu instid0(VALU_DEP_2) | instskip(NEXT) | instid1(VALU_DEP_1)
	v_cmp_ge_f32_e64 s2, 0, v6
	v_cndmask_b32_e64 v2, v2, v4, s2
	s_delay_alu instid0(VALU_DEP_3) | instskip(NEXT) | instid1(VALU_DEP_1)
	v_cmp_lt_f32_e64 s2, 0, v7
	v_cndmask_b32_e64 v2, v2, v5, s2
	s_delay_alu instid0(VALU_DEP_1) | instskip(NEXT) | instid1(VALU_DEP_1)
	v_mul_f32_e32 v4, 0x37800000, v2
	v_cndmask_b32_e32 v2, v2, v4, vcc_lo
	v_cmp_class_f32_e64 vcc_lo, v1, 0x260
	s_delay_alu instid0(VALU_DEP_2) | instskip(SKIP_1) | instid1(VALU_DEP_1)
	v_cndmask_b32_e32 v56, v2, v1, vcc_lo
	v_add_co_u32 v1, s2, s8, v3
	v_add_co_ci_u32_e64 v2, null, s9, 0, s2
	s_delay_alu instid0(VALU_DEP_3)
	v_mov_b32_e32 v24, v56
	s_and_b32 vcc_lo, exec_lo, s3
	s_cbranch_vccz .LBB161_2
; %bb.1:
	global_load_u16 v4, v3, s[6:7]
	s_waitcnt vmcnt(0)
	v_cvt_f32_f16_e32 v4, v4
	s_delay_alu instid0(VALU_DEP_1)
	v_add_f32_e32 v24, v56, v4
.LBB161_2:
	global_load_u16 v4, v[1:2], off offset:64
	s_waitcnt vmcnt(0)
	v_cvt_f32_f16_e32 v5, v4
	s_delay_alu instid0(VALU_DEP_1) | instskip(NEXT) | instid1(VALU_DEP_1)
	v_mul_f32_e32 v6, 0x3fb8aa3b, v5
	v_cmp_gt_f32_e32 vcc_lo, 0xc2fc0000, v6
	v_cndmask_b32_e64 v7, 0, 0x42800000, vcc_lo
	v_cndmask_b32_e64 v6, 1.0, 0x1f800000, vcc_lo
	s_delay_alu instid0(VALU_DEP_2) | instskip(NEXT) | instid1(VALU_DEP_1)
	v_fma_mix_f32 v7, v4, s4, v7 op_sel_hi:[1,0,0]
	v_exp_f32_e32 v7, v7
	s_waitcnt_depctr 0xfff
	v_fma_f32 v6, v7, v6, 1.0
	s_delay_alu instid0(VALU_DEP_1) | instskip(SKIP_1) | instid1(VALU_DEP_1)
	v_cmp_gt_f32_e32 vcc_lo, 0x800000, v6
	v_cndmask_b32_e64 v7, 1.0, 0x4f800000, vcc_lo
	v_mul_f32_e32 v6, v6, v7
	v_cndmask_b32_e64 v7, 0, 0x42000000, vcc_lo
	v_cmp_lt_f16_e32 vcc_lo, 0x4d00, v4
	s_delay_alu instid0(VALU_DEP_3) | instskip(SKIP_2) | instid1(VALU_DEP_1)
	v_log_f32_e32 v6, v6
	s_waitcnt_depctr 0xfff
	v_sub_f32_e32 v6, v6, v7
	v_mul_f32_e32 v6, 0x3f317218, v6
	s_delay_alu instid0(VALU_DEP_1) | instskip(NEXT) | instid1(VALU_DEP_1)
	v_cndmask_b32_e32 v4, v6, v5, vcc_lo
	v_mul_f32_e32 v5, 0x4f800000, v4
	v_cmp_gt_f32_e32 vcc_lo, 0xf800000, v4
	s_delay_alu instid0(VALU_DEP_2) | instskip(NEXT) | instid1(VALU_DEP_1)
	v_cndmask_b32_e32 v5, v4, v5, vcc_lo
	v_sqrt_f32_e32 v4, v5
	s_waitcnt_depctr 0xfff
	v_add_nc_u32_e32 v6, -1, v4
	v_add_nc_u32_e32 v7, 1, v4
	s_delay_alu instid0(VALU_DEP_2) | instskip(NEXT) | instid1(VALU_DEP_2)
	v_fma_f32 v8, -v6, v4, v5
	v_fma_f32 v9, -v7, v4, v5
	s_delay_alu instid0(VALU_DEP_2) | instskip(NEXT) | instid1(VALU_DEP_1)
	v_cmp_ge_f32_e64 s2, 0, v8
	v_cndmask_b32_e64 v4, v4, v6, s2
	s_delay_alu instid0(VALU_DEP_3) | instskip(NEXT) | instid1(VALU_DEP_1)
	v_cmp_lt_f32_e64 s2, 0, v9
	v_cndmask_b32_e64 v4, v4, v7, s2
	s_delay_alu instid0(VALU_DEP_1) | instskip(NEXT) | instid1(VALU_DEP_1)
	v_mul_f32_e32 v6, 0x37800000, v4
	v_cndmask_b32_e32 v6, v4, v6, vcc_lo
	v_cmp_class_f32_e64 vcc_lo, v5, 0x260
	v_cndmask_b32_e64 v4, 0, 1, s3
	s_delay_alu instid0(VALU_DEP_3) | instskip(SKIP_1) | instid1(VALU_DEP_1)
	v_cndmask_b32_e32 v9, v6, v5, vcc_lo
	s_and_not1_b32 vcc_lo, exec_lo, s3
	v_mov_b32_e32 v25, v9
	s_cbranch_vccnz .LBB161_4
; %bb.3:
	global_load_u16 v5, v3, s[6:7] offset:64
	s_waitcnt vmcnt(0)
	v_cvt_f32_f16_e32 v5, v5
	s_delay_alu instid0(VALU_DEP_1)
	v_add_f32_e32 v25, v9, v5
.LBB161_4:
	global_load_u16 v5, v[1:2], off offset:128
	s_mov_b32 s3, 0x3fb8aa3b
	s_waitcnt vmcnt(0)
	v_cvt_f32_f16_e32 v6, v5
	s_delay_alu instid0(VALU_DEP_1) | instskip(NEXT) | instid1(VALU_DEP_1)
	v_mul_f32_e32 v7, 0x3fb8aa3b, v6
	v_cmp_gt_f32_e32 vcc_lo, 0xc2fc0000, v7
	v_cndmask_b32_e64 v8, 0, 0x42800000, vcc_lo
	v_cndmask_b32_e64 v7, 1.0, 0x1f800000, vcc_lo
	s_delay_alu instid0(VALU_DEP_2) | instskip(NEXT) | instid1(VALU_DEP_1)
	v_fma_mix_f32 v8, v5, s3, v8 op_sel_hi:[1,0,0]
	v_exp_f32_e32 v8, v8
	s_waitcnt_depctr 0xfff
	v_fma_f32 v7, v8, v7, 1.0
	s_delay_alu instid0(VALU_DEP_1) | instskip(SKIP_1) | instid1(VALU_DEP_1)
	v_cmp_gt_f32_e32 vcc_lo, 0x800000, v7
	v_cndmask_b32_e64 v8, 1.0, 0x4f800000, vcc_lo
	v_mul_f32_e32 v7, v7, v8
	v_cndmask_b32_e64 v8, 0, 0x42000000, vcc_lo
	v_cmp_lt_f16_e32 vcc_lo, 0x4d00, v5
	s_delay_alu instid0(VALU_DEP_3) | instskip(SKIP_2) | instid1(VALU_DEP_1)
	v_log_f32_e32 v7, v7
	s_waitcnt_depctr 0xfff
	v_sub_f32_e32 v7, v7, v8
	v_mul_f32_e32 v7, 0x3f317218, v7
	s_delay_alu instid0(VALU_DEP_1) | instskip(NEXT) | instid1(VALU_DEP_1)
	v_cndmask_b32_e32 v5, v7, v6, vcc_lo
	v_mul_f32_e32 v6, 0x4f800000, v5
	v_cmp_gt_f32_e32 vcc_lo, 0xf800000, v5
	s_delay_alu instid0(VALU_DEP_2) | instskip(NEXT) | instid1(VALU_DEP_1)
	v_cndmask_b32_e32 v5, v5, v6, vcc_lo
	v_sqrt_f32_e32 v6, v5
	s_waitcnt_depctr 0xfff
	v_add_nc_u32_e32 v7, -1, v6
	v_add_nc_u32_e32 v8, 1, v6
	s_delay_alu instid0(VALU_DEP_2) | instskip(NEXT) | instid1(VALU_DEP_2)
	v_fma_f32 v10, -v7, v6, v5
	v_fma_f32 v11, -v8, v6, v5
	s_delay_alu instid0(VALU_DEP_2) | instskip(NEXT) | instid1(VALU_DEP_1)
	v_cmp_ge_f32_e64 s2, 0, v10
	v_cndmask_b32_e64 v6, v6, v7, s2
	s_delay_alu instid0(VALU_DEP_3) | instskip(NEXT) | instid1(VALU_DEP_1)
	v_cmp_lt_f32_e64 s2, 0, v11
	v_cndmask_b32_e64 v6, v6, v8, s2
	s_delay_alu instid0(VALU_DEP_1) | instskip(NEXT) | instid1(VALU_DEP_1)
	v_mul_f32_e32 v7, 0x37800000, v6
	v_cndmask_b32_e32 v6, v6, v7, vcc_lo
	v_cmp_class_f32_e64 vcc_lo, v5, 0x260
	s_delay_alu instid0(VALU_DEP_2) | instskip(SKIP_1) | instid1(VALU_DEP_2)
	v_cndmask_b32_e32 v10, v6, v5, vcc_lo
	v_cmp_ne_u32_e32 vcc_lo, 1, v4
	v_mov_b32_e32 v26, v10
	s_cbranch_vccnz .LBB161_6
; %bb.5:
	global_load_u16 v5, v3, s[6:7] offset:128
	s_waitcnt vmcnt(0)
	v_cvt_f32_f16_e32 v5, v5
	s_delay_alu instid0(VALU_DEP_1)
	v_add_f32_e32 v26, v10, v5
.LBB161_6:
	global_load_u16 v5, v[1:2], off offset:192
	s_waitcnt vmcnt(0)
	v_cvt_f32_f16_e32 v6, v5
	s_delay_alu instid0(VALU_DEP_1) | instskip(NEXT) | instid1(VALU_DEP_1)
	v_mul_f32_e32 v7, 0x3fb8aa3b, v6
	v_cmp_gt_f32_e32 vcc_lo, 0xc2fc0000, v7
	v_cndmask_b32_e64 v8, 0, 0x42800000, vcc_lo
	v_cndmask_b32_e64 v7, 1.0, 0x1f800000, vcc_lo
	s_delay_alu instid0(VALU_DEP_2) | instskip(NEXT) | instid1(VALU_DEP_1)
	v_fma_mix_f32 v8, v5, s3, v8 op_sel_hi:[1,0,0]
	v_exp_f32_e32 v8, v8
	s_waitcnt_depctr 0xfff
	v_fma_f32 v7, v8, v7, 1.0
	s_delay_alu instid0(VALU_DEP_1) | instskip(SKIP_1) | instid1(VALU_DEP_1)
	v_cmp_gt_f32_e32 vcc_lo, 0x800000, v7
	v_cndmask_b32_e64 v8, 1.0, 0x4f800000, vcc_lo
	v_mul_f32_e32 v7, v7, v8
	v_cndmask_b32_e64 v8, 0, 0x42000000, vcc_lo
	v_cmp_lt_f16_e32 vcc_lo, 0x4d00, v5
	s_delay_alu instid0(VALU_DEP_3) | instskip(SKIP_2) | instid1(VALU_DEP_1)
	v_log_f32_e32 v7, v7
	s_waitcnt_depctr 0xfff
	v_sub_f32_e32 v7, v7, v8
	v_mul_f32_e32 v7, 0x3f317218, v7
	s_delay_alu instid0(VALU_DEP_1) | instskip(NEXT) | instid1(VALU_DEP_1)
	v_cndmask_b32_e32 v5, v7, v6, vcc_lo
	v_mul_f32_e32 v6, 0x4f800000, v5
	v_cmp_gt_f32_e32 vcc_lo, 0xf800000, v5
	s_delay_alu instid0(VALU_DEP_2) | instskip(NEXT) | instid1(VALU_DEP_1)
	v_cndmask_b32_e32 v5, v5, v6, vcc_lo
	v_sqrt_f32_e32 v6, v5
	s_waitcnt_depctr 0xfff
	v_add_nc_u32_e32 v7, -1, v6
	v_add_nc_u32_e32 v8, 1, v6
	s_delay_alu instid0(VALU_DEP_2) | instskip(NEXT) | instid1(VALU_DEP_2)
	v_fma_f32 v11, -v7, v6, v5
	v_fma_f32 v12, -v8, v6, v5
	s_delay_alu instid0(VALU_DEP_2) | instskip(NEXT) | instid1(VALU_DEP_1)
	v_cmp_ge_f32_e64 s2, 0, v11
	v_cndmask_b32_e64 v6, v6, v7, s2
	s_delay_alu instid0(VALU_DEP_3) | instskip(NEXT) | instid1(VALU_DEP_1)
	v_cmp_lt_f32_e64 s2, 0, v12
	v_cndmask_b32_e64 v6, v6, v8, s2
	s_delay_alu instid0(VALU_DEP_1) | instskip(NEXT) | instid1(VALU_DEP_1)
	v_mul_f32_e32 v7, 0x37800000, v6
	v_cndmask_b32_e32 v6, v6, v7, vcc_lo
	v_cmp_class_f32_e64 vcc_lo, v5, 0x260
	s_delay_alu instid0(VALU_DEP_2) | instskip(SKIP_1) | instid1(VALU_DEP_2)
	v_cndmask_b32_e32 v11, v6, v5, vcc_lo
	v_cmp_ne_u32_e32 vcc_lo, 1, v4
	v_mov_b32_e32 v27, v11
	s_cbranch_vccnz .LBB161_8
; %bb.7:
	global_load_u16 v5, v3, s[6:7] offset:192
	s_waitcnt vmcnt(0)
	v_cvt_f32_f16_e32 v5, v5
	s_delay_alu instid0(VALU_DEP_1)
	v_add_f32_e32 v27, v11, v5
.LBB161_8:
	global_load_u16 v5, v[1:2], off offset:256
	;; [unrolled: 59-line block ×5, first 2 shown]
	s_waitcnt vmcnt(0)
	v_cvt_f32_f16_e32 v2, v1
	s_delay_alu instid0(VALU_DEP_1) | instskip(NEXT) | instid1(VALU_DEP_1)
	v_mul_f32_e32 v5, 0x3fb8aa3b, v2
	v_cmp_gt_f32_e32 vcc_lo, 0xc2fc0000, v5
	v_cndmask_b32_e64 v6, 0, 0x42800000, vcc_lo
	v_cndmask_b32_e64 v5, 1.0, 0x1f800000, vcc_lo
	s_delay_alu instid0(VALU_DEP_2) | instskip(NEXT) | instid1(VALU_DEP_1)
	v_fma_mix_f32 v6, v1, s3, v6 op_sel_hi:[1,0,0]
	v_exp_f32_e32 v6, v6
	s_waitcnt_depctr 0xfff
	v_fma_f32 v5, v6, v5, 1.0
	s_delay_alu instid0(VALU_DEP_1) | instskip(SKIP_1) | instid1(VALU_DEP_1)
	v_cmp_gt_f32_e32 vcc_lo, 0x800000, v5
	v_cndmask_b32_e64 v6, 1.0, 0x4f800000, vcc_lo
	v_mul_f32_e32 v5, v5, v6
	v_cndmask_b32_e64 v6, 0, 0x42000000, vcc_lo
	v_cmp_lt_f16_e32 vcc_lo, 0x4d00, v1
	s_delay_alu instid0(VALU_DEP_3) | instskip(SKIP_2) | instid1(VALU_DEP_1)
	v_log_f32_e32 v5, v5
	s_waitcnt_depctr 0xfff
	v_sub_f32_e32 v5, v5, v6
	v_mul_f32_e32 v5, 0x3f317218, v5
	s_delay_alu instid0(VALU_DEP_1) | instskip(NEXT) | instid1(VALU_DEP_1)
	v_cndmask_b32_e32 v1, v5, v2, vcc_lo
	v_mul_f32_e32 v2, 0x4f800000, v1
	v_cmp_gt_f32_e32 vcc_lo, 0xf800000, v1
	s_delay_alu instid0(VALU_DEP_2) | instskip(NEXT) | instid1(VALU_DEP_1)
	v_cndmask_b32_e32 v1, v1, v2, vcc_lo
	v_sqrt_f32_e32 v2, v1
	s_waitcnt_depctr 0xfff
	v_add_nc_u32_e32 v5, -1, v2
	v_add_nc_u32_e32 v6, 1, v2
	s_delay_alu instid0(VALU_DEP_2) | instskip(NEXT) | instid1(VALU_DEP_2)
	v_fma_f32 v7, -v5, v2, v1
	v_fma_f32 v8, -v6, v2, v1
	s_delay_alu instid0(VALU_DEP_2) | instskip(NEXT) | instid1(VALU_DEP_1)
	v_cmp_ge_f32_e64 s2, 0, v7
	v_cndmask_b32_e64 v2, v2, v5, s2
	s_delay_alu instid0(VALU_DEP_3) | instskip(NEXT) | instid1(VALU_DEP_1)
	v_cmp_lt_f32_e64 s2, 0, v8
	v_cndmask_b32_e64 v2, v2, v6, s2
	s_delay_alu instid0(VALU_DEP_1) | instskip(NEXT) | instid1(VALU_DEP_1)
	v_mul_f32_e32 v5, 0x37800000, v2
	v_cndmask_b32_e32 v2, v2, v5, vcc_lo
	v_cmp_class_f32_e64 vcc_lo, v1, 0x260
	s_delay_alu instid0(VALU_DEP_2)
	v_cndmask_b32_e32 v15, v2, v1, vcc_lo
	v_cmp_ne_u32_e32 vcc_lo, 1, v4
	s_cbranch_vccnz .LBB161_16
; %bb.15:
	global_load_u16 v1, v3, s[6:7] offset:448
	s_waitcnt vmcnt(0)
	v_cvt_f32_f16_e32 v1, v1
	s_delay_alu instid0(VALU_DEP_1)
	v_add_f32_e32 v31, v15, v1
	s_branch .LBB161_17
.LBB161_16:
	s_delay_alu instid0(VALU_DEP_2)
	v_mov_b32_e32 v31, v15
.LBB161_17:
	v_add_nc_u32_e32 v7, 0xe0, v0
	v_dual_mov_b32 v16, v24 :: v_dual_add_nc_u32 v1, 32, v0
	v_dual_mov_b32 v17, v25 :: v_dual_add_nc_u32 v2, 64, v0
	;; [unrolled: 1-line block ×6, first 2 shown]
	v_dual_mov_b32 v22, v30 :: v_dual_mov_b32 v39, v7
	s_delay_alu instid0(VALU_DEP_2)
	v_dual_mov_b32 v47, v7 :: v_dual_mov_b32 v46, v6
	v_dual_mov_b32 v71, v7 :: v_dual_mov_b32 v70, v6
	;; [unrolled: 1-line block ×16, first 2 shown]
	v_mov_b32_e32 v8, v56
	s_mov_b32 s2, exec_lo
	v_cmpx_lt_f32_e32 v24, v25
	s_xor_b32 s2, exec_lo, s2
	s_cbranch_execz .LBB161_19
; %bb.18:
	v_dual_mov_b32 v38, v6 :: v_dual_mov_b32 v39, v7
	v_dual_mov_b32 v32, v1 :: v_dual_mov_b32 v33, v0
	;; [unrolled: 1-line block ×4, first 2 shown]
	s_delay_alu instid0(VALU_DEP_4)
	v_dual_mov_b32 v47, v39 :: v_dual_mov_b32 v46, v38
	v_dual_mov_b32 v71, v39 :: v_dual_mov_b32 v70, v38
	v_dual_mov_b32 v55, v39 :: v_dual_mov_b32 v54, v38
	v_dual_mov_b32 v16, v25 :: v_dual_mov_b32 v17, v24
	v_dual_mov_b32 v18, v26 :: v_dual_mov_b32 v19, v27
	v_dual_mov_b32 v20, v28 :: v_dual_mov_b32 v21, v29
	v_dual_mov_b32 v22, v30 :: v_dual_mov_b32 v23, v31
	v_dual_mov_b32 v45, v37 :: v_dual_mov_b32 v44, v36
	v_dual_mov_b32 v43, v35 :: v_dual_mov_b32 v42, v34
	v_dual_mov_b32 v41, v33 :: v_dual_mov_b32 v40, v32
	v_dual_mov_b32 v69, v37 :: v_dual_mov_b32 v68, v36
	v_dual_mov_b32 v67, v35 :: v_dual_mov_b32 v66, v34
	v_dual_mov_b32 v65, v33 :: v_dual_mov_b32 v64, v32
	v_dual_mov_b32 v53, v37 :: v_dual_mov_b32 v52, v36
	v_dual_mov_b32 v51, v35 :: v_dual_mov_b32 v50, v34
	v_dual_mov_b32 v49, v33 :: v_dual_mov_b32 v48, v32
	v_dual_mov_b32 v25, v24 :: v_dual_mov_b32 v8, v9
	v_mov_b32_e32 v9, v56
	v_mov_b32_e32 v1, v0
.LBB161_19:
	s_or_b32 exec_lo, exec_lo, s2
	v_dual_mov_b32 v63, v15 :: v_dual_mov_b32 v62, v14
	v_dual_mov_b32 v79, v15 :: v_dual_mov_b32 v78, v14
	;; [unrolled: 1-line block ×16, first 2 shown]
	v_mov_b32_e32 v24, v18
	s_mov_b32 s2, exec_lo
	v_cmpx_lt_f32_e32 v25, v18
	s_cbranch_execz .LBB161_21
; %bb.20:
	v_dual_mov_b32 v55, v39 :: v_dual_mov_b32 v54, v38
	v_dual_mov_b32 v51, v35 :: v_dual_mov_b32 v50, v34
	v_dual_mov_b32 v49, v33 :: v_dual_mov_b32 v48, v32
	v_dual_mov_b32 v95, v15 :: v_dual_mov_b32 v94, v14
	v_dual_mov_b32 v49, v2 :: v_dual_mov_b32 v50, v1
	v_dual_mov_b32 v89, v9 :: v_dual_mov_b32 v88, v8
	v_dual_mov_b32 v91, v11 :: v_dual_mov_b32 v90, v10
	v_dual_mov_b32 v53, v37 :: v_dual_mov_b32 v52, v36
	v_dual_mov_b32 v93, v13 :: v_dual_mov_b32 v92, v12
	v_dual_mov_b32 v71, v55 :: v_dual_mov_b32 v70, v54
	v_dual_mov_b32 v89, v10 :: v_dual_mov_b32 v90, v9
	v_dual_mov_b32 v67, v51 :: v_dual_mov_b32 v66, v50
	v_dual_mov_b32 v65, v49 :: v_dual_mov_b32 v64, v48
	v_dual_mov_b32 v67, v3 :: v_dual_mov_b32 v80, v88
	v_dual_mov_b32 v83, v91 :: v_dual_mov_b32 v84, v92
	v_dual_mov_b32 v69, v53 :: v_dual_mov_b32 v68, v52
	v_mov_b32_e32 v83, v11
	v_dual_mov_b32 v85, v93 :: v_dual_mov_b32 v86, v94
	v_dual_mov_b32 v87, v95 :: v_dual_mov_b32 v40, v64
	;; [unrolled: 1-line block ×3, first 2 shown]
	v_mov_b32_e32 v42, v66
	v_dual_mov_b32 v17, v18 :: v_dual_mov_b32 v72, v80
	v_dual_mov_b32 v41, v65 :: v_dual_mov_b32 v44, v68
	;; [unrolled: 1-line block ×10, first 2 shown]
	s_delay_alu instid0(VALU_DEP_2)
	v_dual_mov_b32 v56, v72 :: v_dual_mov_b32 v57, v73
	v_dual_mov_b32 v36, v44 :: v_dual_mov_b32 v37, v45
	;; [unrolled: 1-line block ×11, first 2 shown]
	v_mov_b32_e32 v2, v1
.LBB161_21:
	s_or_b32 exec_lo, exec_lo, s2
	v_mov_b32_e32 v1, v19
	s_mov_b32 s2, exec_lo
	v_cmpx_lt_f32_e32 v24, v19
	s_cbranch_execz .LBB161_23
; %bb.22:
	v_mov_b32_e32 v90, v11
	v_mov_b32_e32 v50, v3
	v_dual_mov_b32 v80, v88 :: v_dual_mov_b32 v81, v89
	v_dual_mov_b32 v71, v55 :: v_dual_mov_b32 v70, v54
	;; [unrolled: 1-line block ×3, first 2 shown]
	s_delay_alu instid0(VALU_DEP_4)
	v_dual_mov_b32 v83, v91 :: v_dual_mov_b32 v66, v50
	v_dual_mov_b32 v65, v49 :: v_dual_mov_b32 v68, v52
	;; [unrolled: 1-line block ×3, first 2 shown]
	v_mov_b32_e32 v67, v2
	v_dual_mov_b32 v82, v90 :: v_dual_mov_b32 v87, v95
	v_dual_mov_b32 v85, v93 :: v_dual_mov_b32 v86, v94
	;; [unrolled: 1-line block ×11, first 2 shown]
	v_mov_b32_e32 v44, v4
	v_dual_mov_b32 v56, v72 :: v_dual_mov_b32 v57, v73
	v_dual_mov_b32 v32, v40 :: v_dual_mov_b32 v35, v43
	;; [unrolled: 1-line block ×3, first 2 shown]
	s_delay_alu instid0(VALU_DEP_4)
	v_dual_mov_b32 v37, v45 :: v_dual_mov_b32 v36, v44
	v_dual_mov_b32 v39, v47 :: v_dual_mov_b32 v38, v46
	;; [unrolled: 1-line block ×3, first 2 shown]
	v_mov_b32_e32 v63, v79
	v_dual_mov_b32 v61, v77 :: v_dual_mov_b32 v62, v78
	v_mov_b32_e32 v39, v7
	v_dual_mov_b32 v18, v19 :: v_dual_mov_b32 v19, v24
	v_dual_mov_b32 v60, v76 :: v_dual_mov_b32 v37, v5
	v_dual_mov_b32 v38, v6 :: v_dual_mov_b32 v61, v13
	v_dual_mov_b32 v62, v14 :: v_dual_mov_b32 v63, v15
	v_mov_b32_e32 v1, v24
	v_mov_b32_e32 v11, v10
	;; [unrolled: 1-line block ×3, first 2 shown]
.LBB161_23:
	s_or_b32 exec_lo, exec_lo, s2
	v_mov_b32_e32 v2, v20
	s_mov_b32 s2, exec_lo
	v_cmpx_lt_f32_e32 v1, v20
	s_cbranch_execz .LBB161_25
; %bb.24:
	v_mov_b32_e32 v91, v12
	v_mov_b32_e32 v51, v4
	;; [unrolled: 1-line block ×4, first 2 shown]
	v_dual_mov_b32 v40, v48 :: v_dual_mov_b32 v41, v49
	v_dual_mov_b32 v42, v50 :: v_dual_mov_b32 v47, v55
	;; [unrolled: 1-line block ×4, first 2 shown]
	v_mov_b32_e32 v44, v3
	v_dual_mov_b32 v76, v11 :: v_dual_mov_b32 v19, v20
	v_dual_mov_b32 v45, v53 :: v_dual_mov_b32 v46, v54
	;; [unrolled: 1-line block ×4, first 2 shown]
	v_mov_b32_e32 v73, v89
	v_mov_b32_e32 v56, v72
	v_dual_mov_b32 v32, v40 :: v_dual_mov_b32 v33, v41
	v_dual_mov_b32 v60, v76 :: v_dual_mov_b32 v61, v77
	;; [unrolled: 1-line block ×9, first 2 shown]
	v_mov_b32_e32 v59, v75
	v_dual_mov_b32 v37, v5 :: v_dual_mov_b32 v38, v6
	v_dual_mov_b32 v39, v7 :: v_dual_mov_b32 v62, v14
	v_dual_mov_b32 v63, v15 :: v_dual_mov_b32 v82, v90
	v_dual_mov_b32 v81, v89 :: v_dual_mov_b32 v84, v92
	v_dual_mov_b32 v83, v91 :: v_dual_mov_b32 v86, v94
	v_dual_mov_b32 v85, v93 :: v_dual_mov_b32 v70, v54
	v_dual_mov_b32 v87, v95 :: v_dual_mov_b32 v68, v52
	v_dual_mov_b32 v69, v53 :: v_dual_mov_b32 v64, v48
	v_dual_mov_b32 v67, v51 :: v_dual_mov_b32 v2, v1
	v_dual_mov_b32 v65, v49 :: v_dual_mov_b32 v12, v11
	v_mov_b32_e32 v4, v3
.LBB161_25:
	s_or_b32 exec_lo, exec_lo, s2
	v_mov_b32_e32 v1, v21
	s_mov_b32 s2, exec_lo
	v_cmpx_lt_f32_e32 v2, v21
	s_cbranch_execz .LBB161_27
; %bb.26:
	v_mov_b32_e32 v68, v5
	v_dual_mov_b32 v20, v21 :: v_dual_mov_b32 v21, v2
	v_mov_b32_e32 v84, v13
	v_dual_mov_b32 v32, v64 :: v_dual_mov_b32 v33, v65
	v_dual_mov_b32 v39, v71 :: v_dual_mov_b32 v56, v80
	;; [unrolled: 1-line block ×7, first 2 shown]
	v_mov_b32_e32 v61, v12
	v_dual_mov_b32 v72, v80 :: v_dual_mov_b32 v73, v81
	v_dual_mov_b32 v40, v64 :: v_dual_mov_b32 v41, v65
	;; [unrolled: 1-line block ×9, first 2 shown]
	v_mov_b32_e32 v45, v69
	v_mov_b32_e32 v1, v2
	;; [unrolled: 1-line block ×3, first 2 shown]
	v_dual_mov_b32 v5, v4 :: v_dual_mov_b32 v78, v86
	v_dual_mov_b32 v79, v87 :: v_dual_mov_b32 v46, v70
	v_mov_b32_e32 v47, v71
.LBB161_27:
	s_or_b32 exec_lo, exec_lo, s2
	v_mov_b32_e32 v2, v22
	s_mov_b32 s2, exec_lo
	v_cmpx_lt_f32_e32 v1, v22
	s_cbranch_execz .LBB161_29
; %bb.28:
	v_dual_mov_b32 v77, v14 :: v_dual_mov_b32 v78, v13
	v_dual_mov_b32 v45, v6 :: v_dual_mov_b32 v46, v5
	v_mov_b32_e32 v79, v15
	v_dual_mov_b32 v21, v22 :: v_dual_mov_b32 v22, v1
	v_dual_mov_b32 v47, v7 :: v_dual_mov_b32 v56, v72
	;; [unrolled: 1-line block ×10, first 2 shown]
.LBB161_29:
	s_or_b32 exec_lo, exec_lo, s2
	s_delay_alu instid0(VALU_DEP_1)
	v_cmp_lt_f32_e32 vcc_lo, v2, v23
	v_mov_b32_e32 v43, v59
	v_cmp_lt_f32_e64 s2, v16, v17
	v_dual_mov_b32 v41, v57 :: v_dual_mov_b32 v42, v58
	v_dual_cndmask_b32 v9, v23, v2 :: v_dual_mov_b32 v44, v60
	v_dual_cndmask_b32 v22, v22, v23 :: v_dual_cndmask_b32 v47, v63, v62
	s_delay_alu instid0(VALU_DEP_2)
	v_dual_mov_b32 v40, v56 :: v_dual_mov_b32 v23, v9
	v_dual_cndmask_b32 v46, v62, v63 :: v_dual_mov_b32 v1, v16
	v_dual_mov_b32 v4, v19 :: v_dual_mov_b32 v45, v61
	v_dual_cndmask_b32 v54, v38, v39 :: v_dual_cndmask_b32 v55, v39, v38
	v_dual_mov_b32 v2, v17 :: v_dual_mov_b32 v3, v18
	v_dual_mov_b32 v6, v21 :: v_dual_mov_b32 v5, v20
	;; [unrolled: 1-line block ×6, first 2 shown]
	s_and_saveexec_b32 s3, s2
	s_delay_alu instid0(SALU_CYCLE_1)
	s_xor_b32 s2, exec_lo, s3
	s_cbranch_execz .LBB161_31
; %bb.30:
	v_dual_mov_b32 v2, v17 :: v_dual_mov_b32 v3, v16
	v_dual_mov_b32 v4, v18 :: v_dual_mov_b32 v5, v19
	;; [unrolled: 1-line block ×4, first 2 shown]
	s_delay_alu instid0(VALU_DEP_4)
	v_dual_mov_b32 v1, v2 :: v_dual_mov_b32 v40, v57
	v_dual_mov_b32 v2, v3 :: v_dual_mov_b32 v41, v56
	;; [unrolled: 1-line block ×10, first 2 shown]
.LBB161_31:
	s_or_b32 exec_lo, exec_lo, s2
	v_dual_mov_b32 v26, v40 :: v_dual_mov_b32 v27, v41
	v_dual_mov_b32 v79, v47 :: v_dual_mov_b32 v78, v46
	;; [unrolled: 1-line block ×22, first 2 shown]
	v_mov_b32_e32 v34, v3
	s_mov_b32 s2, exec_lo
	v_dual_mov_b32 v77, v45 :: v_dual_mov_b32 v76, v44
	v_dual_mov_b32 v69, v53 :: v_dual_mov_b32 v68, v52
	v_cmpx_lt_f32_e32 v17, v3
	s_cbranch_execz .LBB161_33
; %bb.32:
	v_dual_mov_b32 v9, v48 :: v_dual_mov_b32 v10, v49
	v_dual_mov_b32 v15, v54 :: v_dual_mov_b32 v16, v55
	v_mov_b32_e32 v10, v50
	v_dual_mov_b32 v11, v50 :: v_dual_mov_b32 v12, v51
	v_dual_mov_b32 v13, v52 :: v_dual_mov_b32 v14, v53
	;; [unrolled: 1-line block ×3, first 2 shown]
	v_mov_b32_e32 v11, v49
	v_dual_mov_b32 v59, v43 :: v_dual_mov_b32 v58, v42
	v_dual_mov_b32 v57, v41 :: v_dual_mov_b32 v56, v40
	v_dual_mov_b32 v61, v45 :: v_dual_mov_b32 v60, v44
	v_dual_mov_b32 v57, v42 :: v_dual_mov_b32 v58, v41
	v_dual_mov_b32 v71, v16 :: v_dual_mov_b32 v70, v15
	v_dual_mov_b32 v65, v10 :: v_dual_mov_b32 v64, v9
	v_dual_mov_b32 v69, v14 :: v_dual_mov_b32 v68, v13
	v_dual_mov_b32 v79, v63 :: v_dual_mov_b32 v76, v60
	v_dual_mov_b32 v67, v12 :: v_dual_mov_b32 v66, v11
	v_dual_mov_b32 v75, v59 :: v_dual_mov_b32 v72, v56
	v_dual_mov_b32 v67, v51 :: v_dual_mov_b32 v78, v62
	v_dual_mov_b32 v77, v61 :: v_dual_mov_b32 v74, v58
	v_dual_mov_b32 v73, v57 :: v_dual_mov_b32 v18, v64
	v_dual_mov_b32 v75, v43 :: v_dual_mov_b32 v20, v66
	v_mov_b32_e32 v23, v69
	v_dual_mov_b32 v23, v53 :: v_dual_mov_b32 v26, v72
	v_dual_mov_b32 v19, v65 :: v_dual_mov_b32 v22, v68
	;; [unrolled: 1-line block ×12, first 2 shown]
	v_mov_b32_e32 v42, v41
	v_mov_b32_e32 v50, v49
.LBB161_33:
	s_or_b32 exec_lo, exec_lo, s2
	v_mov_b32_e32 v17, v4
	s_mov_b32 s2, exec_lo
	v_cmpx_lt_f32_e32 v34, v4
	s_cbranch_execz .LBB161_35
; %bb.34:
	v_mov_b32_e32 v11, v51
	v_dual_mov_b32 v3, v4 :: v_dual_mov_b32 v4, v34
	v_dual_mov_b32 v58, v43 :: v_dual_mov_b32 v71, v16
	v_mov_b32_e32 v64, v9
	v_dual_mov_b32 v70, v15 :: v_dual_mov_b32 v69, v14
	v_dual_mov_b32 v79, v63 :: v_dual_mov_b32 v76, v60
	;; [unrolled: 1-line block ×5, first 2 shown]
	v_mov_b32_e32 v67, v50
	v_dual_mov_b32 v78, v62 :: v_dual_mov_b32 v77, v61
	v_dual_mov_b32 v74, v58 :: v_dual_mov_b32 v73, v57
	;; [unrolled: 1-line block ×14, first 2 shown]
	v_mov_b32_e32 v33, v47
	v_mov_b32_e32 v17, v34
	;; [unrolled: 1-line block ×4, first 2 shown]
.LBB161_35:
	s_or_b32 exec_lo, exec_lo, s2
	v_mov_b32_e32 v12, v5
	s_mov_b32 s2, exec_lo
	v_cmpx_lt_f32_e32 v17, v5
	s_cbranch_execz .LBB161_37
; %bb.36:
	v_mov_b32_e32 v12, v52
	v_dual_mov_b32 v4, v5 :: v_dual_mov_b32 v59, v44
	v_mov_b32_e32 v5, v17
	v_dual_mov_b32 v25, v16 :: v_dual_mov_b32 v24, v15
	v_dual_mov_b32 v26, v56 :: v_dual_mov_b32 v27, v57
	;; [unrolled: 1-line block ×19, first 2 shown]
	v_mov_b32_e32 v12, v17
	v_mov_b32_e32 v44, v43
	v_dual_mov_b32 v52, v51 :: v_dual_mov_b32 v77, v61
	v_mov_b32_e32 v76, v60
.LBB161_37:
	s_or_b32 exec_lo, exec_lo, s2
	v_mov_b32_e32 v9, v6
	s_mov_b32 s2, exec_lo
	v_cmpx_lt_f32_e32 v12, v6
	s_cbranch_execz .LBB161_39
; %bb.38:
	v_dual_mov_b32 v68, v53 :: v_dual_mov_b32 v69, v52
	v_dual_mov_b32 v70, v54 :: v_dual_mov_b32 v77, v44
	v_dual_mov_b32 v76, v45 :: v_dual_mov_b32 v79, v47
	v_dual_mov_b32 v78, v46 :: v_dual_mov_b32 v71, v55
	v_dual_mov_b32 v26, v72 :: v_dual_mov_b32 v27, v73
	v_dual_mov_b32 v18, v64 :: v_dual_mov_b32 v19, v65
	v_dual_mov_b32 v5, v6 :: v_dual_mov_b32 v6, v12
	v_dual_mov_b32 v28, v74 :: v_dual_mov_b32 v29, v75
	v_dual_mov_b32 v30, v76 :: v_dual_mov_b32 v31, v77
	v_dual_mov_b32 v32, v78 :: v_dual_mov_b32 v33, v79
	v_dual_mov_b32 v20, v66 :: v_dual_mov_b32 v21, v67
	v_dual_mov_b32 v22, v68 :: v_dual_mov_b32 v23, v69
	v_dual_mov_b32 v24, v70 :: v_dual_mov_b32 v25, v71
	v_mov_b32_e32 v9, v12
.LBB161_39:
	s_or_b32 exec_lo, exec_lo, s2
	s_delay_alu instid0(VALU_DEP_1)
	v_cmp_lt_f32_e32 vcc_lo, v9, v7
	v_mov_b32_e32 v11, v3
	v_mov_b32_e32 v13, v5
	s_mov_b32 s2, exec_lo
	v_dual_mov_b32 v10, v2 :: v_dual_cndmask_b32 v17, v32, v31
	v_dual_cndmask_b32 v31, v31, v32 :: v_dual_cndmask_b32 v66, v24, v23
	v_dual_cndmask_b32 v23, v23, v24 :: v_dual_cndmask_b32 v14, v6, v7
	v_dual_cndmask_b32 v15, v7, v9 :: v_dual_mov_b32 v12, v4
	v_dual_mov_b32 v9, v1 :: v_dual_mov_b32 v16, v8
	v_cmpx_lt_f32_e32 v1, v2
	s_cbranch_execz .LBB161_41
; %bb.40:
	s_delay_alu instid0(VALU_DEP_2) | instskip(NEXT) | instid1(VALU_DEP_3)
	v_dual_mov_b32 v2, v10 :: v_dual_mov_b32 v3, v9
	v_dual_mov_b32 v8, v15 :: v_dual_mov_b32 v9, v16
	;; [unrolled: 1-line block ×4, first 2 shown]
	s_delay_alu instid0(VALU_DEP_3) | instskip(NEXT) | instid1(VALU_DEP_4)
	v_mov_b32_e32 v16, v9
	v_dual_mov_b32 v24, v26 :: v_dual_mov_b32 v15, v8
	s_delay_alu instid0(VALU_DEP_4)
	v_dual_mov_b32 v32, v18 :: v_dual_mov_b32 v11, v4
	v_swap_b32 v26, v27
	v_swap_b32 v18, v19
	v_dual_mov_b32 v14, v7 :: v_dual_mov_b32 v13, v6
	v_mov_b32_e32 v12, v5
	v_dual_mov_b32 v10, v3 :: v_dual_mov_b32 v9, v2
	v_mov_b32_e32 v2, v1
.LBB161_41:
	s_or_b32 exec_lo, exec_lo, s2
	v_mov_b32_e32 v24, v66
	v_mov_b32_e32 v32, v17
	;; [unrolled: 1-line block ×4, first 2 shown]
	s_delay_alu instid0(VALU_DEP_4)
	v_dual_mov_b32 v41, v33 :: v_dual_mov_b32 v48, v24
	v_dual_mov_b32 v34, v26 :: v_dual_mov_b32 v65, v33
	;; [unrolled: 1-line block ×15, first 2 shown]
	v_mov_b32_e32 v50, v18
	s_mov_b32 s2, exec_lo
	v_cmpx_lt_f32_e32 v2, v11
	s_cbranch_execz .LBB161_43
; %bb.42:
	v_dual_mov_b32 v57, v25 :: v_dual_mov_b32 v56, v24
	v_dual_mov_b32 v53, v21 :: v_dual_mov_b32 v52, v20
	;; [unrolled: 1-line block ×7, first 2 shown]
	s_delay_alu instid0(VALU_DEP_4)
	v_dual_mov_b32 v42, v50 :: v_dual_mov_b32 v43, v51
	v_dual_mov_b32 v63, v31 :: v_dual_mov_b32 v62, v30
	;; [unrolled: 1-line block ×18, first 2 shown]
	v_mov_b32_e32 v1, v2
.LBB161_43:
	s_or_b32 exec_lo, exec_lo, s2
	v_mov_b32_e32 v2, v12
	s_mov_b32 s2, exec_lo
	s_delay_alu instid0(VALU_DEP_2)
	v_cmpx_lt_f32_e32 v1, v12
	s_cbranch_execz .LBB161_45
; %bb.44:
	v_dual_mov_b32 v52, v21 :: v_dual_mov_b32 v11, v12
	v_mov_b32_e32 v60, v29
	v_dual_mov_b32 v42, v50 :: v_dual_mov_b32 v45, v53
	v_dual_mov_b32 v47, v55 :: v_dual_mov_b32 v34, v58
	s_delay_alu instid0(VALU_DEP_4)
	v_dual_mov_b32 v37, v61 :: v_dual_mov_b32 v44, v52
	v_dual_mov_b32 v49, v57 :: v_dual_mov_b32 v46, v54
	v_mov_b32_e32 v45, v20
	v_dual_mov_b32 v48, v56 :: v_dual_mov_b32 v47, v23
	v_dual_mov_b32 v36, v60 :: v_dual_mov_b32 v39, v63
	;; [unrolled: 1-line block ×9, first 2 shown]
	v_mov_b32_e32 v41, v33
	v_dual_mov_b32 v2, v1 :: v_dual_mov_b32 v21, v20
.LBB161_45:
	s_or_b32 exec_lo, exec_lo, s2
	v_mov_b32_e32 v1, v13
	s_mov_b32 s2, exec_lo
	s_delay_alu instid0(VALU_DEP_2)
	v_cmpx_lt_f32_e32 v2, v13
	s_cbranch_execz .LBB161_47
; %bb.46:
	v_dual_mov_b32 v53, v22 :: v_dual_mov_b32 v54, v21
	v_dual_mov_b32 v55, v23 :: v_dual_mov_b32 v56, v66
	;; [unrolled: 1-line block ×4, first 2 shown]
	v_mov_b32_e32 v57, v25
	v_dual_mov_b32 v65, v33 :: v_dual_mov_b32 v42, v50
	v_mov_b32_e32 v34, v58
	v_dual_mov_b32 v12, v13 :: v_dual_mov_b32 v13, v2
	v_dual_mov_b32 v35, v59 :: v_dual_mov_b32 v36, v60
	;; [unrolled: 1-line block ×7, first 2 shown]
	v_mov_b32_e32 v47, v55
	v_mov_b32_e32 v49, v57
	;; [unrolled: 1-line block ×3, first 2 shown]
.LBB161_47:
	s_or_b32 exec_lo, exec_lo, s2
	s_delay_alu instid0(VALU_DEP_1)
	v_cmp_lt_f32_e32 vcc_lo, v1, v14
	v_dual_mov_b32 v20, v10 :: v_dual_mov_b32 v25, v15
	v_mov_b32_e32 v22, v12
	v_dual_mov_b32 v26, v16 :: v_dual_cndmask_b32 v27, v39, v38
	v_cndmask_b32_e32 v38, v38, v39, vcc_lo
	v_dual_cndmask_b32 v28, v47, v46 :: v_dual_mov_b32 v19, v9
	v_dual_cndmask_b32 v46, v46, v47 :: v_dual_cndmask_b32 v23, v13, v14
	v_dual_cndmask_b32 v24, v14, v1 :: v_dual_mov_b32 v21, v11
	s_mov_b32 s2, exec_lo
	v_cmpx_lt_f32_e32 v9, v10
	s_cbranch_execz .LBB161_49
; %bb.48:
	v_dual_mov_b32 v7, v25 :: v_dual_mov_b32 v8, v26
	v_dual_mov_b32 v1, v20 :: v_dual_mov_b32 v2, v19
	;; [unrolled: 1-line block ×4, first 2 shown]
	s_delay_alu instid0(VALU_DEP_4)
	v_dual_mov_b32 v11, v34 :: v_dual_mov_b32 v26, v8
	v_dual_mov_b32 v12, v42 :: v_dual_mov_b32 v25, v7
	v_swap_b32 v34, v35
	v_swap_b32 v42, v43
	v_dual_mov_b32 v24, v6 :: v_dual_mov_b32 v23, v5
	v_dual_mov_b32 v22, v4 :: v_dual_mov_b32 v21, v3
	v_dual_mov_b32 v20, v2 :: v_dual_mov_b32 v19, v1
	v_mov_b32_e32 v10, v9
.LBB161_49:
	s_or_b32 exec_lo, exec_lo, s2
	v_mov_b32_e32 v47, v28
	v_mov_b32_e32 v39, v27
	v_dual_mov_b32 v1, v42 :: v_dual_mov_b32 v4, v45
	v_dual_mov_b32 v11, v34 :: v_dual_mov_b32 v14, v37
	;; [unrolled: 1-line block ×3, first 2 shown]
	s_delay_alu instid0(VALU_DEP_4)
	v_dual_mov_b32 v16, v39 :: v_dual_mov_b32 v15, v38
	v_dual_mov_b32 v18, v41 :: v_dual_mov_b32 v17, v40
	;; [unrolled: 1-line block ×5, first 2 shown]
	v_mov_b32_e32 v9, v21
	s_mov_b32 s2, exec_lo
	v_cmpx_lt_f32_e32 v10, v21
	s_cbranch_execz .LBB161_51
; %bb.50:
	v_dual_mov_b32 v1, v42 :: v_dual_mov_b32 v2, v43
	v_dual_mov_b32 v5, v46 :: v_dual_mov_b32 v6, v47
	;; [unrolled: 1-line block ×16, first 2 shown]
	v_mov_b32_e32 v18, v41
	v_mov_b32_e32 v36, v35
	;; [unrolled: 1-line block ×3, first 2 shown]
.LBB161_51:
	s_or_b32 exec_lo, exec_lo, s2
	v_mov_b32_e32 v29, v22
	s_mov_b32 s2, exec_lo
	v_cmpx_lt_f32_e32 v9, v22
; %bb.52:
	v_dual_mov_b32 v21, v22 :: v_dual_mov_b32 v22, v9
	v_dual_mov_b32 v3, v45 :: v_dual_mov_b32 v4, v44
	;; [unrolled: 1-line block ×7, first 2 shown]
	v_mov_b32_e32 v29, v9
; %bb.53:
	s_or_b32 exec_lo, exec_lo, s2
	s_delay_alu instid0(VALU_DEP_1)
	v_cmp_lt_f32_e32 vcc_lo, v29, v23
	v_dual_mov_b32 v28, v20 :: v_dual_mov_b32 v33, v25
	v_mov_b32_e32 v32, v24
	v_dual_mov_b32 v34, v26 :: v_dual_cndmask_b32 v9, v15, v14
	v_cndmask_b32_e32 v14, v14, v15, vcc_lo
	v_dual_cndmask_b32 v10, v5, v4 :: v_dual_cndmask_b32 v31, v23, v29
	v_dual_cndmask_b32 v4, v4, v5 :: v_dual_mov_b32 v27, v19
	v_dual_cndmask_b32 v30, v22, v23 :: v_dual_mov_b32 v29, v21
	s_mov_b32 s2, exec_lo
	v_cmpx_lt_f32_e32 v19, v20
	s_cbranch_execz .LBB161_55
; %bb.54:
	v_dual_mov_b32 v20, v28 :: v_dual_mov_b32 v21, v27
	v_dual_mov_b32 v26, v33 :: v_dual_mov_b32 v27, v34
	;; [unrolled: 1-line block ×4, first 2 shown]
	s_delay_alu instid0(VALU_DEP_3) | instskip(SKIP_2) | instid1(VALU_DEP_4)
	v_dual_mov_b32 v15, v1 :: v_dual_mov_b32 v34, v27
	v_mov_b32_e32 v5, v11
	v_swap_b32 v11, v12
	v_mov_b32_e32 v32, v25
	v_swap_b32 v1, v2
	v_dual_mov_b32 v33, v26 :: v_dual_mov_b32 v30, v23
	v_dual_mov_b32 v31, v24 :: v_dual_mov_b32 v28, v21
	v_mov_b32_e32 v29, v22
	v_dual_mov_b32 v27, v20 :: v_dual_mov_b32 v20, v19
.LBB161_55:
	s_or_b32 exec_lo, exec_lo, s2
	v_mov_b32_e32 v5, v10
	v_mov_b32_e32 v15, v9
	;; [unrolled: 1-line block ×3, first 2 shown]
	s_mov_b32 s2, exec_lo
	v_cmpx_lt_f32_e32 v20, v29
	s_cbranch_execz .LBB161_57
; %bb.56:
	v_dual_mov_b32 v50, v18 :: v_dual_mov_b32 v49, v17
	v_dual_mov_b32 v42, v8 :: v_dual_mov_b32 v41, v7
	;; [unrolled: 1-line block ×14, first 2 shown]
	v_mov_b32_e32 v50, v18
	v_dual_mov_b32 v28, v29 :: v_dual_mov_b32 v29, v20
	v_dual_mov_b32 v42, v8 :: v_dual_mov_b32 v11, v43
	;; [unrolled: 1-line block ×10, first 2 shown]
.LBB161_57:
	s_or_b32 exec_lo, exec_lo, s2
	s_delay_alu instid0(VALU_DEP_1) | instskip(NEXT) | instid1(VALU_DEP_3)
	v_cmp_lt_f32_e32 vcc_lo, v19, v30
	v_dual_mov_b32 v20, v5 :: v_dual_mov_b32 v21, v6
	s_delay_alu instid0(VALU_DEP_3)
	v_dual_mov_b32 v22, v7 :: v_dual_mov_b32 v23, v8
	v_dual_cndmask_b32 v9, v14, v13 :: v_dual_cndmask_b32 v10, v4, v3
	v_dual_cndmask_b32 v35, v13, v14 :: v_dual_cndmask_b32 v36, v3, v4
	;; [unrolled: 1-line block ×3, first 2 shown]
	v_dual_mov_b32 v4, v15 :: v_dual_mov_b32 v13, v16
	v_dual_mov_b32 v14, v17 :: v_dual_mov_b32 v19, v18
	;; [unrolled: 1-line block ×4, first 2 shown]
	v_mov_b32_e32 v29, v34
	s_mov_b32 s2, exec_lo
	v_cmpx_lt_f32_e32 v27, v28
	s_cbranch_execz .LBB161_59
; %bb.58:
	v_dual_mov_b32 v24, v28 :: v_dual_mov_b32 v19, v18
	v_dual_mov_b32 v4, v11 :: v_dual_mov_b32 v13, v16
	;; [unrolled: 1-line block ×3, first 2 shown]
	v_swap_b32 v11, v12
	v_swap_b32 v1, v2
	v_dual_mov_b32 v28, v27 :: v_dual_mov_b32 v21, v6
	v_dual_mov_b32 v4, v15 :: v_dual_mov_b32 v23, v8
	;; [unrolled: 1-line block ×5, first 2 shown]
	v_mov_b32_e32 v24, v31
	v_mov_b32_e32 v26, v33
.LBB161_59:
	s_or_b32 exec_lo, exec_lo, s2
	s_clause 0x1
	s_load_b32 s8, s[0:1], 0x28
	s_load_b128 s[4:7], s[0:1], 0x10
	v_mov_b32_e32 v6, 0
	s_waitcnt lgkmcnt(0)
	s_cmp_lt_i32 s8, 1
	s_cbranch_scc1 .LBB161_65
; %bb.60:
	v_cmp_lt_f32_e32 vcc_lo, v28, v30
	s_mov_b32 s9, 0x76543210
	s_mov_b32 s10, s8
	v_dual_mov_b32 v7, 0 :: v_dual_mov_b32 v6, 0
	v_cndmask_b32_e32 v18, v37, v30, vcc_lo
	v_dual_cndmask_b32 v5, v36, v2 :: v_dual_cndmask_b32 v2, v2, v36
	v_cndmask_b32_e32 v8, v30, v28, vcc_lo
	v_dual_cndmask_b32 v15, v35, v12 :: v_dual_cndmask_b32 v28, v12, v35
	s_delay_alu instid0(VALU_DEP_4) | instskip(NEXT) | instid1(VALU_DEP_1)
	v_cmp_lt_f32_e64 s2, v27, v18
	v_cndmask_b32_e64 v12, v2, v1, s2
	v_cndmask_b32_e64 v16, v1, v2, s2
	;; [unrolled: 1-line block ×6, first 2 shown]
	v_dual_mov_b32 v28, v0 :: v_dual_mov_b32 v1, 0
	v_mov_b32_e32 v2, 0
.LBB161_61:                             ; =>This Inner Loop Header: Depth=1
	v_cmp_eq_u32_e32 vcc_lo, 1, v7
	v_cmp_eq_u32_e64 s2, 2, v7
	v_dual_cndmask_b32 v30, v18, v17 :: v_dual_cndmask_b32 v31, v16, v12
	v_cndmask_b32_e32 v32, v11, v27, vcc_lo
	v_cmp_eq_u32_e32 vcc_lo, 3, v7
	s_delay_alu instid0(VALU_DEP_3) | instskip(NEXT) | instid1(VALU_DEP_4)
	v_cndmask_b32_e64 v30, v30, v8, s2
	v_cndmask_b32_e64 v31, v31, v5, s2
	s_delay_alu instid0(VALU_DEP_4) | instskip(SKIP_1) | instid1(VALU_DEP_3)
	v_cndmask_b32_e64 v32, v32, v15, s2
	v_cmp_eq_u32_e64 s2, 4, v7
	v_dual_cndmask_b32 v30, v30, v3 :: v_dual_cndmask_b32 v31, v31, v10
	s_delay_alu instid0(VALU_DEP_3) | instskip(SKIP_1) | instid1(VALU_DEP_3)
	v_cndmask_b32_e32 v32, v32, v9, vcc_lo
	v_cmp_eq_u32_e32 vcc_lo, 5, v7
	v_cndmask_b32_e64 v30, v30, v24, s2
	s_delay_alu instid0(VALU_DEP_4) | instskip(NEXT) | instid1(VALU_DEP_4)
	v_cndmask_b32_e64 v31, v31, v20, s2
	v_cndmask_b32_e64 v32, v32, v4, s2
	v_cmp_eq_u32_e64 s2, 6, v7
	s_delay_alu instid0(VALU_DEP_4) | instskip(NEXT) | instid1(VALU_DEP_4)
	v_cndmask_b32_e32 v30, v30, v25, vcc_lo
	v_cndmask_b32_e32 v31, v31, v21, vcc_lo
	s_delay_alu instid0(VALU_DEP_4) | instskip(SKIP_1) | instid1(VALU_DEP_4)
	v_cndmask_b32_e32 v32, v32, v13, vcc_lo
	v_cmp_eq_u32_e32 vcc_lo, 7, v7
	v_cndmask_b32_e64 v30, v30, v26, s2
	s_delay_alu instid0(VALU_DEP_4) | instskip(NEXT) | instid1(VALU_DEP_4)
	v_cndmask_b32_e64 v31, v31, v22, s2
	v_cndmask_b32_e64 v32, v32, v14, s2
	v_cmp_gt_u32_e64 s2, 8, v7
	s_delay_alu instid0(VALU_DEP_3) | instskip(NEXT) | instid1(VALU_DEP_1)
	v_dual_cndmask_b32 v30, v30, v29 :: v_dual_cndmask_b32 v31, v31, v23
	v_cndmask_b32_e64 v30, 0xff800000, v30, s2
	;;#ASMSTART
	v_max_f32 v34, v30, v30 quad_perm:[1,0,3,2] row_mask:0xf bank_mask:0xf bound_ctrl:1
	;;#ASMEND
	;;#ASMSTART
	v_max_f32 v35, v34, v34 quad_perm:[2,3,0,1] row_mask:0xf bank_mask:0xf bound_ctrl:1
	;;#ASMEND
	;;#ASMSTART
	v_max_f32 v34, v35, v35 row_half_mirror row_mask:0xf bank_mask:0xf bound_ctrl:1
	;;#ASMEND
	;;#ASMSTART
	v_max_f32 v35, v34, v34 row_mirror row_mask:0xf bank_mask:0xf bound_ctrl:1
	;;#ASMEND
	v_permlanex16_b32 v34, v35, s9, 0xfedcba98 op_sel:[1,1]
	v_max_f32_e32 v35, v35, v35
	v_cndmask_b32_e64 v33, 0, v31, s2
	s_delay_alu instid0(VALU_DEP_3) | instskip(NEXT) | instid1(VALU_DEP_1)
	v_max_f32_e32 v34, v34, v34
	v_max_f32_e32 v34, v35, v34
	s_delay_alu instid0(VALU_DEP_1) | instskip(SKIP_1) | instid1(VALU_DEP_2)
	v_cmp_eq_f32_e64 s3, v30, v34
	v_cndmask_b32_e32 v30, v32, v19, vcc_lo
	s_ctz_i32_b32 s11, s3
	s_cmp_lg_u32 s3, 0
	s_cselect_b32 s3, s11, 0
	s_add_i32 s10, s10, -1
	v_readlane_b32 s3, v33, s3
	s_delay_alu instid0(VALU_DEP_1)
	v_cmp_eq_u32_e32 vcc_lo, s3, v31
	s_and_b32 vcc_lo, s2, vcc_lo
	s_and_b32 s2, s3, 31
	v_cndmask_b32_e32 v30, 0, v30, vcc_lo
	v_add_co_ci_u32_e32 v7, vcc_lo, 0, v7, vcc_lo
	s_cmp_eq_u32 s10, 0
	s_delay_alu instid0(VALU_DEP_2) | instskip(SKIP_2) | instid1(VALU_DEP_3)
	v_readlane_b32 s11, v30, s2
	v_cmp_eq_u32_e64 s2, 0, v28
	v_add_nc_u32_e32 v28, -1, v28
	v_add_f32_e32 v6, s11, v6
	s_delay_alu instid0(VALU_DEP_3)
	v_cndmask_b32_e64 v2, v2, s11, s2
	v_cndmask_b32_e64 v1, v1, s3, s2
	s_cbranch_scc0 .LBB161_61
; %bb.62:
	s_mov_b32 s2, exec_lo
	v_cmpx_gt_i32_e64 s8, v0
	s_cbranch_execz .LBB161_64
.LBB161_63:
	s_load_b32 s2, s[0:1], 0x30
	v_max_f32_e32 v3, v6, v6
	s_load_b64 s[0:1], s[0:1], 0x20
	s_ashr_i32 s3, s15, 31
	s_delay_alu instid0(VALU_DEP_1) | instskip(SKIP_1) | instid1(VALU_DEP_1)
	v_dual_max_f32 v3, 0x1e3ce508, v3 :: v_dual_lshlrev_b32 v0, 2, v0
	s_waitcnt lgkmcnt(0)
	v_div_scale_f32 v4, null, v3, v3, s2
	v_div_scale_f32 v7, vcc_lo, s2, v3, s2
	s_mul_i32 s1, s15, s1
	s_delay_alu instid0(VALU_DEP_2)
	v_rcp_f32_e32 v5, v4
	s_mul_hi_u32 s8, s15, s0
	s_mul_i32 s3, s3, s0
	s_add_i32 s1, s8, s1
	s_mul_i32 s0, s15, s0
	s_add_i32 s1, s1, s3
	s_delay_alu instid0(SALU_CYCLE_1) | instskip(SKIP_2) | instid1(VALU_DEP_1)
	s_lshl_b64 s[0:1], s[0:1], 2
	s_waitcnt_depctr 0xfff
	v_fma_f32 v6, -v4, v5, 1.0
	v_fmac_f32_e32 v5, v6, v5
	s_delay_alu instid0(VALU_DEP_1) | instskip(NEXT) | instid1(VALU_DEP_1)
	v_mul_f32_e32 v6, v7, v5
	v_fma_f32 v8, -v4, v6, v7
	s_delay_alu instid0(VALU_DEP_1) | instskip(NEXT) | instid1(VALU_DEP_1)
	v_fmac_f32_e32 v6, v8, v5
	v_fma_f32 v4, -v4, v6, v7
	s_delay_alu instid0(VALU_DEP_1) | instskip(NEXT) | instid1(VALU_DEP_1)
	v_div_fmas_f32 v4, v4, v5, v6
	v_div_fixup_f32 v3, v4, v3, s2
	s_add_u32 s2, s4, s0
	s_addc_u32 s3, s5, s1
	s_add_u32 s0, s6, s0
	s_addc_u32 s1, s7, s1
	v_mul_f32_e32 v2, v2, v3
	s_clause 0x1
	global_store_b32 v0, v2, s[2:3]
	global_store_b32 v0, v1, s[0:1]
.LBB161_64:
	s_nop 0
	s_sendmsg sendmsg(MSG_DEALLOC_VGPRS)
	s_endpgm
.LBB161_65:
	v_dual_mov_b32 v1, 0 :: v_dual_mov_b32 v2, 0
	s_mov_b32 s2, exec_lo
	v_cmpx_gt_i32_e64 s8, v0
	s_cbranch_execnz .LBB161_63
	s_branch .LBB161_64
	.section	.rodata,"a",@progbits
	.p2align	6, 0x0
	.amdhsa_kernel _ZN5aiter24topk_softplus_kernel_optI6__halfS1_Li256ELb1ELi0EEEvPKT_PKT0_PfPimiif
		.amdhsa_group_segment_fixed_size 0
		.amdhsa_private_segment_fixed_size 0
		.amdhsa_kernarg_size 52
		.amdhsa_user_sgpr_count 15
		.amdhsa_user_sgpr_dispatch_ptr 0
		.amdhsa_user_sgpr_queue_ptr 0
		.amdhsa_user_sgpr_kernarg_segment_ptr 1
		.amdhsa_user_sgpr_dispatch_id 0
		.amdhsa_user_sgpr_private_segment_size 0
		.amdhsa_wavefront_size32 1
		.amdhsa_uses_dynamic_stack 0
		.amdhsa_enable_private_segment 0
		.amdhsa_system_sgpr_workgroup_id_x 1
		.amdhsa_system_sgpr_workgroup_id_y 0
		.amdhsa_system_sgpr_workgroup_id_z 0
		.amdhsa_system_sgpr_workgroup_info 0
		.amdhsa_system_vgpr_workitem_id 0
		.amdhsa_next_free_vgpr 96
		.amdhsa_next_free_sgpr 16
		.amdhsa_reserve_vcc 1
		.amdhsa_float_round_mode_32 0
		.amdhsa_float_round_mode_16_64 0
		.amdhsa_float_denorm_mode_32 3
		.amdhsa_float_denorm_mode_16_64 3
		.amdhsa_dx10_clamp 1
		.amdhsa_ieee_mode 1
		.amdhsa_fp16_overflow 0
		.amdhsa_workgroup_processor_mode 1
		.amdhsa_memory_ordered 1
		.amdhsa_forward_progress 0
		.amdhsa_shared_vgpr_count 0
		.amdhsa_exception_fp_ieee_invalid_op 0
		.amdhsa_exception_fp_denorm_src 0
		.amdhsa_exception_fp_ieee_div_zero 0
		.amdhsa_exception_fp_ieee_overflow 0
		.amdhsa_exception_fp_ieee_underflow 0
		.amdhsa_exception_fp_ieee_inexact 0
		.amdhsa_exception_int_div_zero 0
	.end_amdhsa_kernel
	.section	.text._ZN5aiter24topk_softplus_kernel_optI6__halfS1_Li256ELb1ELi0EEEvPKT_PKT0_PfPimiif,"axG",@progbits,_ZN5aiter24topk_softplus_kernel_optI6__halfS1_Li256ELb1ELi0EEEvPKT_PKT0_PfPimiif,comdat
.Lfunc_end161:
	.size	_ZN5aiter24topk_softplus_kernel_optI6__halfS1_Li256ELb1ELi0EEEvPKT_PKT0_PfPimiif, .Lfunc_end161-_ZN5aiter24topk_softplus_kernel_optI6__halfS1_Li256ELb1ELi0EEEvPKT_PKT0_PfPimiif
                                        ; -- End function
	.section	.AMDGPU.csdata,"",@progbits
; Kernel info:
; codeLenInByte = 8636
; NumSgprs: 18
; NumVgprs: 96
; ScratchSize: 0
; MemoryBound: 0
; FloatMode: 240
; IeeeMode: 1
; LDSByteSize: 0 bytes/workgroup (compile time only)
; SGPRBlocks: 2
; VGPRBlocks: 11
; NumSGPRsForWavesPerEU: 18
; NumVGPRsForWavesPerEU: 96
; Occupancy: 16
; WaveLimiterHint : 0
; COMPUTE_PGM_RSRC2:SCRATCH_EN: 0
; COMPUTE_PGM_RSRC2:USER_SGPR: 15
; COMPUTE_PGM_RSRC2:TRAP_HANDLER: 0
; COMPUTE_PGM_RSRC2:TGID_X_EN: 1
; COMPUTE_PGM_RSRC2:TGID_Y_EN: 0
; COMPUTE_PGM_RSRC2:TGID_Z_EN: 0
; COMPUTE_PGM_RSRC2:TIDIG_COMP_CNT: 0
	.section	.text._ZN5aiter24topk_softplus_kernel_optI6__halfS1_Li256ELb0ELi0EEEvPKT_PKT0_PfPimiif,"axG",@progbits,_ZN5aiter24topk_softplus_kernel_optI6__halfS1_Li256ELb0ELi0EEEvPKT_PKT0_PfPimiif,comdat
	.protected	_ZN5aiter24topk_softplus_kernel_optI6__halfS1_Li256ELb0ELi0EEEvPKT_PKT0_PfPimiif ; -- Begin function _ZN5aiter24topk_softplus_kernel_optI6__halfS1_Li256ELb0ELi0EEEvPKT_PKT0_PfPimiif
	.globl	_ZN5aiter24topk_softplus_kernel_optI6__halfS1_Li256ELb0ELi0EEEvPKT_PKT0_PfPimiif
	.p2align	8
	.type	_ZN5aiter24topk_softplus_kernel_optI6__halfS1_Li256ELb0ELi0EEEvPKT_PKT0_PfPimiif,@function
_ZN5aiter24topk_softplus_kernel_optI6__halfS1_Li256ELb0ELi0EEEvPKT_PKT0_PfPimiif: ; @_ZN5aiter24topk_softplus_kernel_optI6__halfS1_Li256ELb0ELi0EEEvPKT_PKT0_PfPimiif
; %bb.0:
	s_load_b128 s[4:7], s[0:1], 0x0
	s_lshl_b32 s2, s15, 8
	v_lshlrev_b32_e32 v3, 1, v0
	s_ashr_i32 s3, s2, 31
	s_delay_alu instid0(SALU_CYCLE_1)
	s_lshl_b64 s[2:3], s[2:3], 1
	s_waitcnt lgkmcnt(0)
	s_add_u32 s8, s4, s2
	s_addc_u32 s9, s5, s3
	s_mov_b32 s4, 0x3fb8aa3b
	global_load_u16 v1, v3, s[8:9]
	s_cmp_lg_u64 s[6:7], 0
	s_cselect_b32 s3, -1, 0
	s_waitcnt vmcnt(0)
	v_cvt_f32_f16_e32 v2, v1
	s_delay_alu instid0(VALU_DEP_1) | instskip(NEXT) | instid1(VALU_DEP_1)
	v_mul_f32_e32 v4, 0x3fb8aa3b, v2
	v_cmp_gt_f32_e32 vcc_lo, 0xc2fc0000, v4
	v_cndmask_b32_e64 v4, 0, 0x42800000, vcc_lo
	v_cndmask_b32_e64 v5, 1.0, 0x1f800000, vcc_lo
	s_delay_alu instid0(VALU_DEP_2) | instskip(NEXT) | instid1(VALU_DEP_1)
	v_fma_mix_f32 v4, v1, s4, v4 op_sel_hi:[1,0,0]
	v_exp_f32_e32 v4, v4
	s_waitcnt_depctr 0xfff
	v_fma_f32 v4, v4, v5, 1.0
	s_delay_alu instid0(VALU_DEP_1) | instskip(SKIP_1) | instid1(VALU_DEP_1)
	v_cmp_gt_f32_e32 vcc_lo, 0x800000, v4
	v_cndmask_b32_e64 v5, 1.0, 0x4f800000, vcc_lo
	v_mul_f32_e32 v4, v4, v5
	v_cndmask_b32_e64 v5, 0, 0x42000000, vcc_lo
	v_cmp_lt_f16_e32 vcc_lo, 0x4d00, v1
	s_delay_alu instid0(VALU_DEP_3) | instskip(SKIP_2) | instid1(VALU_DEP_1)
	v_log_f32_e32 v4, v4
	s_waitcnt_depctr 0xfff
	v_sub_f32_e32 v4, v4, v5
	v_mul_f32_e32 v4, 0x3f317218, v4
	s_delay_alu instid0(VALU_DEP_1) | instskip(NEXT) | instid1(VALU_DEP_1)
	v_cndmask_b32_e32 v1, v4, v2, vcc_lo
	v_mul_f32_e32 v2, 0x4f800000, v1
	v_cmp_gt_f32_e32 vcc_lo, 0xf800000, v1
	s_delay_alu instid0(VALU_DEP_2) | instskip(NEXT) | instid1(VALU_DEP_1)
	v_cndmask_b32_e32 v1, v1, v2, vcc_lo
	v_sqrt_f32_e32 v2, v1
	s_waitcnt_depctr 0xfff
	v_add_nc_u32_e32 v4, -1, v2
	v_add_nc_u32_e32 v5, 1, v2
	s_delay_alu instid0(VALU_DEP_2) | instskip(NEXT) | instid1(VALU_DEP_2)
	v_fma_f32 v6, -v4, v2, v1
	v_fma_f32 v7, -v5, v2, v1
	s_delay_alu instid0(VALU_DEP_2) | instskip(NEXT) | instid1(VALU_DEP_1)
	v_cmp_ge_f32_e64 s2, 0, v6
	v_cndmask_b32_e64 v2, v2, v4, s2
	s_delay_alu instid0(VALU_DEP_3) | instskip(NEXT) | instid1(VALU_DEP_1)
	v_cmp_lt_f32_e64 s2, 0, v7
	v_cndmask_b32_e64 v2, v2, v5, s2
	s_delay_alu instid0(VALU_DEP_1) | instskip(NEXT) | instid1(VALU_DEP_1)
	v_mul_f32_e32 v4, 0x37800000, v2
	v_cndmask_b32_e32 v2, v2, v4, vcc_lo
	v_cmp_class_f32_e64 vcc_lo, v1, 0x260
	s_delay_alu instid0(VALU_DEP_2) | instskip(SKIP_1) | instid1(VALU_DEP_1)
	v_cndmask_b32_e32 v56, v2, v1, vcc_lo
	v_add_co_u32 v1, s2, s8, v3
	v_add_co_ci_u32_e64 v2, null, s9, 0, s2
	s_delay_alu instid0(VALU_DEP_3)
	v_mov_b32_e32 v24, v56
	s_and_b32 vcc_lo, exec_lo, s3
	s_cbranch_vccz .LBB162_2
; %bb.1:
	global_load_u16 v4, v3, s[6:7]
	s_waitcnt vmcnt(0)
	v_cvt_f32_f16_e32 v4, v4
	s_delay_alu instid0(VALU_DEP_1)
	v_add_f32_e32 v24, v56, v4
.LBB162_2:
	global_load_u16 v4, v[1:2], off offset:64
	s_waitcnt vmcnt(0)
	v_cvt_f32_f16_e32 v5, v4
	s_delay_alu instid0(VALU_DEP_1) | instskip(NEXT) | instid1(VALU_DEP_1)
	v_mul_f32_e32 v6, 0x3fb8aa3b, v5
	v_cmp_gt_f32_e32 vcc_lo, 0xc2fc0000, v6
	v_cndmask_b32_e64 v7, 0, 0x42800000, vcc_lo
	v_cndmask_b32_e64 v6, 1.0, 0x1f800000, vcc_lo
	s_delay_alu instid0(VALU_DEP_2) | instskip(NEXT) | instid1(VALU_DEP_1)
	v_fma_mix_f32 v7, v4, s4, v7 op_sel_hi:[1,0,0]
	v_exp_f32_e32 v7, v7
	s_waitcnt_depctr 0xfff
	v_fma_f32 v6, v7, v6, 1.0
	s_delay_alu instid0(VALU_DEP_1) | instskip(SKIP_1) | instid1(VALU_DEP_1)
	v_cmp_gt_f32_e32 vcc_lo, 0x800000, v6
	v_cndmask_b32_e64 v7, 1.0, 0x4f800000, vcc_lo
	v_mul_f32_e32 v6, v6, v7
	v_cndmask_b32_e64 v7, 0, 0x42000000, vcc_lo
	v_cmp_lt_f16_e32 vcc_lo, 0x4d00, v4
	s_delay_alu instid0(VALU_DEP_3) | instskip(SKIP_2) | instid1(VALU_DEP_1)
	v_log_f32_e32 v6, v6
	s_waitcnt_depctr 0xfff
	v_sub_f32_e32 v6, v6, v7
	v_mul_f32_e32 v6, 0x3f317218, v6
	s_delay_alu instid0(VALU_DEP_1) | instskip(NEXT) | instid1(VALU_DEP_1)
	v_cndmask_b32_e32 v4, v6, v5, vcc_lo
	v_mul_f32_e32 v5, 0x4f800000, v4
	v_cmp_gt_f32_e32 vcc_lo, 0xf800000, v4
	s_delay_alu instid0(VALU_DEP_2) | instskip(NEXT) | instid1(VALU_DEP_1)
	v_cndmask_b32_e32 v5, v4, v5, vcc_lo
	v_sqrt_f32_e32 v4, v5
	s_waitcnt_depctr 0xfff
	v_add_nc_u32_e32 v6, -1, v4
	v_add_nc_u32_e32 v7, 1, v4
	s_delay_alu instid0(VALU_DEP_2) | instskip(NEXT) | instid1(VALU_DEP_2)
	v_fma_f32 v8, -v6, v4, v5
	v_fma_f32 v9, -v7, v4, v5
	s_delay_alu instid0(VALU_DEP_2) | instskip(NEXT) | instid1(VALU_DEP_1)
	v_cmp_ge_f32_e64 s2, 0, v8
	v_cndmask_b32_e64 v4, v4, v6, s2
	s_delay_alu instid0(VALU_DEP_3) | instskip(NEXT) | instid1(VALU_DEP_1)
	v_cmp_lt_f32_e64 s2, 0, v9
	v_cndmask_b32_e64 v4, v4, v7, s2
	s_delay_alu instid0(VALU_DEP_1) | instskip(NEXT) | instid1(VALU_DEP_1)
	v_mul_f32_e32 v6, 0x37800000, v4
	v_cndmask_b32_e32 v6, v4, v6, vcc_lo
	v_cmp_class_f32_e64 vcc_lo, v5, 0x260
	v_cndmask_b32_e64 v4, 0, 1, s3
	s_delay_alu instid0(VALU_DEP_3) | instskip(SKIP_1) | instid1(VALU_DEP_1)
	v_cndmask_b32_e32 v9, v6, v5, vcc_lo
	s_and_not1_b32 vcc_lo, exec_lo, s3
	v_mov_b32_e32 v25, v9
	s_cbranch_vccnz .LBB162_4
; %bb.3:
	global_load_u16 v5, v3, s[6:7] offset:64
	s_waitcnt vmcnt(0)
	v_cvt_f32_f16_e32 v5, v5
	s_delay_alu instid0(VALU_DEP_1)
	v_add_f32_e32 v25, v9, v5
.LBB162_4:
	global_load_u16 v5, v[1:2], off offset:128
	s_mov_b32 s3, 0x3fb8aa3b
	s_waitcnt vmcnt(0)
	v_cvt_f32_f16_e32 v6, v5
	s_delay_alu instid0(VALU_DEP_1) | instskip(NEXT) | instid1(VALU_DEP_1)
	v_mul_f32_e32 v7, 0x3fb8aa3b, v6
	v_cmp_gt_f32_e32 vcc_lo, 0xc2fc0000, v7
	v_cndmask_b32_e64 v8, 0, 0x42800000, vcc_lo
	v_cndmask_b32_e64 v7, 1.0, 0x1f800000, vcc_lo
	s_delay_alu instid0(VALU_DEP_2) | instskip(NEXT) | instid1(VALU_DEP_1)
	v_fma_mix_f32 v8, v5, s3, v8 op_sel_hi:[1,0,0]
	v_exp_f32_e32 v8, v8
	s_waitcnt_depctr 0xfff
	v_fma_f32 v7, v8, v7, 1.0
	s_delay_alu instid0(VALU_DEP_1) | instskip(SKIP_1) | instid1(VALU_DEP_1)
	v_cmp_gt_f32_e32 vcc_lo, 0x800000, v7
	v_cndmask_b32_e64 v8, 1.0, 0x4f800000, vcc_lo
	v_mul_f32_e32 v7, v7, v8
	v_cndmask_b32_e64 v8, 0, 0x42000000, vcc_lo
	v_cmp_lt_f16_e32 vcc_lo, 0x4d00, v5
	s_delay_alu instid0(VALU_DEP_3) | instskip(SKIP_2) | instid1(VALU_DEP_1)
	v_log_f32_e32 v7, v7
	s_waitcnt_depctr 0xfff
	v_sub_f32_e32 v7, v7, v8
	v_mul_f32_e32 v7, 0x3f317218, v7
	s_delay_alu instid0(VALU_DEP_1) | instskip(NEXT) | instid1(VALU_DEP_1)
	v_cndmask_b32_e32 v5, v7, v6, vcc_lo
	v_mul_f32_e32 v6, 0x4f800000, v5
	v_cmp_gt_f32_e32 vcc_lo, 0xf800000, v5
	s_delay_alu instid0(VALU_DEP_2) | instskip(NEXT) | instid1(VALU_DEP_1)
	v_cndmask_b32_e32 v5, v5, v6, vcc_lo
	v_sqrt_f32_e32 v6, v5
	s_waitcnt_depctr 0xfff
	v_add_nc_u32_e32 v7, -1, v6
	v_add_nc_u32_e32 v8, 1, v6
	s_delay_alu instid0(VALU_DEP_2) | instskip(NEXT) | instid1(VALU_DEP_2)
	v_fma_f32 v10, -v7, v6, v5
	v_fma_f32 v11, -v8, v6, v5
	s_delay_alu instid0(VALU_DEP_2) | instskip(NEXT) | instid1(VALU_DEP_1)
	v_cmp_ge_f32_e64 s2, 0, v10
	v_cndmask_b32_e64 v6, v6, v7, s2
	s_delay_alu instid0(VALU_DEP_3) | instskip(NEXT) | instid1(VALU_DEP_1)
	v_cmp_lt_f32_e64 s2, 0, v11
	v_cndmask_b32_e64 v6, v6, v8, s2
	s_delay_alu instid0(VALU_DEP_1) | instskip(NEXT) | instid1(VALU_DEP_1)
	v_mul_f32_e32 v7, 0x37800000, v6
	v_cndmask_b32_e32 v6, v6, v7, vcc_lo
	v_cmp_class_f32_e64 vcc_lo, v5, 0x260
	s_delay_alu instid0(VALU_DEP_2) | instskip(SKIP_1) | instid1(VALU_DEP_2)
	v_cndmask_b32_e32 v10, v6, v5, vcc_lo
	v_cmp_ne_u32_e32 vcc_lo, 1, v4
	v_mov_b32_e32 v26, v10
	s_cbranch_vccnz .LBB162_6
; %bb.5:
	global_load_u16 v5, v3, s[6:7] offset:128
	s_waitcnt vmcnt(0)
	v_cvt_f32_f16_e32 v5, v5
	s_delay_alu instid0(VALU_DEP_1)
	v_add_f32_e32 v26, v10, v5
.LBB162_6:
	global_load_u16 v5, v[1:2], off offset:192
	s_waitcnt vmcnt(0)
	v_cvt_f32_f16_e32 v6, v5
	s_delay_alu instid0(VALU_DEP_1) | instskip(NEXT) | instid1(VALU_DEP_1)
	v_mul_f32_e32 v7, 0x3fb8aa3b, v6
	v_cmp_gt_f32_e32 vcc_lo, 0xc2fc0000, v7
	v_cndmask_b32_e64 v8, 0, 0x42800000, vcc_lo
	v_cndmask_b32_e64 v7, 1.0, 0x1f800000, vcc_lo
	s_delay_alu instid0(VALU_DEP_2) | instskip(NEXT) | instid1(VALU_DEP_1)
	v_fma_mix_f32 v8, v5, s3, v8 op_sel_hi:[1,0,0]
	v_exp_f32_e32 v8, v8
	s_waitcnt_depctr 0xfff
	v_fma_f32 v7, v8, v7, 1.0
	s_delay_alu instid0(VALU_DEP_1) | instskip(SKIP_1) | instid1(VALU_DEP_1)
	v_cmp_gt_f32_e32 vcc_lo, 0x800000, v7
	v_cndmask_b32_e64 v8, 1.0, 0x4f800000, vcc_lo
	v_mul_f32_e32 v7, v7, v8
	v_cndmask_b32_e64 v8, 0, 0x42000000, vcc_lo
	v_cmp_lt_f16_e32 vcc_lo, 0x4d00, v5
	s_delay_alu instid0(VALU_DEP_3) | instskip(SKIP_2) | instid1(VALU_DEP_1)
	v_log_f32_e32 v7, v7
	s_waitcnt_depctr 0xfff
	v_sub_f32_e32 v7, v7, v8
	v_mul_f32_e32 v7, 0x3f317218, v7
	s_delay_alu instid0(VALU_DEP_1) | instskip(NEXT) | instid1(VALU_DEP_1)
	v_cndmask_b32_e32 v5, v7, v6, vcc_lo
	v_mul_f32_e32 v6, 0x4f800000, v5
	v_cmp_gt_f32_e32 vcc_lo, 0xf800000, v5
	s_delay_alu instid0(VALU_DEP_2) | instskip(NEXT) | instid1(VALU_DEP_1)
	v_cndmask_b32_e32 v5, v5, v6, vcc_lo
	v_sqrt_f32_e32 v6, v5
	s_waitcnt_depctr 0xfff
	v_add_nc_u32_e32 v7, -1, v6
	v_add_nc_u32_e32 v8, 1, v6
	s_delay_alu instid0(VALU_DEP_2) | instskip(NEXT) | instid1(VALU_DEP_2)
	v_fma_f32 v11, -v7, v6, v5
	v_fma_f32 v12, -v8, v6, v5
	s_delay_alu instid0(VALU_DEP_2) | instskip(NEXT) | instid1(VALU_DEP_1)
	v_cmp_ge_f32_e64 s2, 0, v11
	v_cndmask_b32_e64 v6, v6, v7, s2
	s_delay_alu instid0(VALU_DEP_3) | instskip(NEXT) | instid1(VALU_DEP_1)
	v_cmp_lt_f32_e64 s2, 0, v12
	v_cndmask_b32_e64 v6, v6, v8, s2
	s_delay_alu instid0(VALU_DEP_1) | instskip(NEXT) | instid1(VALU_DEP_1)
	v_mul_f32_e32 v7, 0x37800000, v6
	v_cndmask_b32_e32 v6, v6, v7, vcc_lo
	v_cmp_class_f32_e64 vcc_lo, v5, 0x260
	s_delay_alu instid0(VALU_DEP_2) | instskip(SKIP_1) | instid1(VALU_DEP_2)
	v_cndmask_b32_e32 v11, v6, v5, vcc_lo
	v_cmp_ne_u32_e32 vcc_lo, 1, v4
	v_mov_b32_e32 v27, v11
	s_cbranch_vccnz .LBB162_8
; %bb.7:
	global_load_u16 v5, v3, s[6:7] offset:192
	s_waitcnt vmcnt(0)
	v_cvt_f32_f16_e32 v5, v5
	s_delay_alu instid0(VALU_DEP_1)
	v_add_f32_e32 v27, v11, v5
.LBB162_8:
	global_load_u16 v5, v[1:2], off offset:256
	;; [unrolled: 59-line block ×5, first 2 shown]
	s_waitcnt vmcnt(0)
	v_cvt_f32_f16_e32 v2, v1
	s_delay_alu instid0(VALU_DEP_1) | instskip(NEXT) | instid1(VALU_DEP_1)
	v_mul_f32_e32 v5, 0x3fb8aa3b, v2
	v_cmp_gt_f32_e32 vcc_lo, 0xc2fc0000, v5
	v_cndmask_b32_e64 v6, 0, 0x42800000, vcc_lo
	v_cndmask_b32_e64 v5, 1.0, 0x1f800000, vcc_lo
	s_delay_alu instid0(VALU_DEP_2) | instskip(NEXT) | instid1(VALU_DEP_1)
	v_fma_mix_f32 v6, v1, s3, v6 op_sel_hi:[1,0,0]
	v_exp_f32_e32 v6, v6
	s_waitcnt_depctr 0xfff
	v_fma_f32 v5, v6, v5, 1.0
	s_delay_alu instid0(VALU_DEP_1) | instskip(SKIP_1) | instid1(VALU_DEP_1)
	v_cmp_gt_f32_e32 vcc_lo, 0x800000, v5
	v_cndmask_b32_e64 v6, 1.0, 0x4f800000, vcc_lo
	v_mul_f32_e32 v5, v5, v6
	v_cndmask_b32_e64 v6, 0, 0x42000000, vcc_lo
	v_cmp_lt_f16_e32 vcc_lo, 0x4d00, v1
	s_delay_alu instid0(VALU_DEP_3) | instskip(SKIP_2) | instid1(VALU_DEP_1)
	v_log_f32_e32 v5, v5
	s_waitcnt_depctr 0xfff
	v_sub_f32_e32 v5, v5, v6
	v_mul_f32_e32 v5, 0x3f317218, v5
	s_delay_alu instid0(VALU_DEP_1) | instskip(NEXT) | instid1(VALU_DEP_1)
	v_cndmask_b32_e32 v1, v5, v2, vcc_lo
	v_mul_f32_e32 v2, 0x4f800000, v1
	v_cmp_gt_f32_e32 vcc_lo, 0xf800000, v1
	s_delay_alu instid0(VALU_DEP_2) | instskip(NEXT) | instid1(VALU_DEP_1)
	v_cndmask_b32_e32 v1, v1, v2, vcc_lo
	v_sqrt_f32_e32 v2, v1
	s_waitcnt_depctr 0xfff
	v_add_nc_u32_e32 v5, -1, v2
	v_add_nc_u32_e32 v6, 1, v2
	s_delay_alu instid0(VALU_DEP_2) | instskip(NEXT) | instid1(VALU_DEP_2)
	v_fma_f32 v7, -v5, v2, v1
	v_fma_f32 v8, -v6, v2, v1
	s_delay_alu instid0(VALU_DEP_2) | instskip(NEXT) | instid1(VALU_DEP_1)
	v_cmp_ge_f32_e64 s2, 0, v7
	v_cndmask_b32_e64 v2, v2, v5, s2
	s_delay_alu instid0(VALU_DEP_3) | instskip(NEXT) | instid1(VALU_DEP_1)
	v_cmp_lt_f32_e64 s2, 0, v8
	v_cndmask_b32_e64 v2, v2, v6, s2
	s_delay_alu instid0(VALU_DEP_1) | instskip(NEXT) | instid1(VALU_DEP_1)
	v_mul_f32_e32 v5, 0x37800000, v2
	v_cndmask_b32_e32 v2, v2, v5, vcc_lo
	v_cmp_class_f32_e64 vcc_lo, v1, 0x260
	s_delay_alu instid0(VALU_DEP_2)
	v_cndmask_b32_e32 v15, v2, v1, vcc_lo
	v_cmp_ne_u32_e32 vcc_lo, 1, v4
	s_cbranch_vccnz .LBB162_16
; %bb.15:
	global_load_u16 v1, v3, s[6:7] offset:448
	s_waitcnt vmcnt(0)
	v_cvt_f32_f16_e32 v1, v1
	s_delay_alu instid0(VALU_DEP_1)
	v_add_f32_e32 v31, v15, v1
	s_branch .LBB162_17
.LBB162_16:
	s_delay_alu instid0(VALU_DEP_2)
	v_mov_b32_e32 v31, v15
.LBB162_17:
	v_add_nc_u32_e32 v7, 0xe0, v0
	v_dual_mov_b32 v16, v24 :: v_dual_add_nc_u32 v1, 32, v0
	v_dual_mov_b32 v17, v25 :: v_dual_add_nc_u32 v2, 64, v0
	;; [unrolled: 1-line block ×6, first 2 shown]
	v_dual_mov_b32 v22, v30 :: v_dual_mov_b32 v39, v7
	s_delay_alu instid0(VALU_DEP_2)
	v_dual_mov_b32 v47, v7 :: v_dual_mov_b32 v46, v6
	v_dual_mov_b32 v71, v7 :: v_dual_mov_b32 v70, v6
	;; [unrolled: 1-line block ×16, first 2 shown]
	v_mov_b32_e32 v8, v56
	s_mov_b32 s2, exec_lo
	v_cmpx_lt_f32_e32 v24, v25
	s_xor_b32 s2, exec_lo, s2
	s_cbranch_execz .LBB162_19
; %bb.18:
	v_dual_mov_b32 v38, v6 :: v_dual_mov_b32 v39, v7
	v_dual_mov_b32 v32, v1 :: v_dual_mov_b32 v33, v0
	;; [unrolled: 1-line block ×4, first 2 shown]
	s_delay_alu instid0(VALU_DEP_4)
	v_dual_mov_b32 v47, v39 :: v_dual_mov_b32 v46, v38
	v_dual_mov_b32 v71, v39 :: v_dual_mov_b32 v70, v38
	;; [unrolled: 1-line block ×17, first 2 shown]
	v_mov_b32_e32 v9, v56
	v_mov_b32_e32 v1, v0
.LBB162_19:
	s_or_b32 exec_lo, exec_lo, s2
	v_dual_mov_b32 v63, v15 :: v_dual_mov_b32 v62, v14
	v_dual_mov_b32 v79, v15 :: v_dual_mov_b32 v78, v14
	;; [unrolled: 1-line block ×16, first 2 shown]
	v_mov_b32_e32 v24, v18
	s_mov_b32 s2, exec_lo
	v_cmpx_lt_f32_e32 v25, v18
	s_cbranch_execz .LBB162_21
; %bb.20:
	v_dual_mov_b32 v55, v39 :: v_dual_mov_b32 v54, v38
	v_dual_mov_b32 v51, v35 :: v_dual_mov_b32 v50, v34
	v_dual_mov_b32 v49, v33 :: v_dual_mov_b32 v48, v32
	v_dual_mov_b32 v95, v15 :: v_dual_mov_b32 v94, v14
	v_dual_mov_b32 v49, v2 :: v_dual_mov_b32 v50, v1
	v_dual_mov_b32 v89, v9 :: v_dual_mov_b32 v88, v8
	v_dual_mov_b32 v91, v11 :: v_dual_mov_b32 v90, v10
	v_dual_mov_b32 v53, v37 :: v_dual_mov_b32 v52, v36
	v_dual_mov_b32 v93, v13 :: v_dual_mov_b32 v92, v12
	v_dual_mov_b32 v71, v55 :: v_dual_mov_b32 v70, v54
	v_dual_mov_b32 v89, v10 :: v_dual_mov_b32 v90, v9
	v_dual_mov_b32 v67, v51 :: v_dual_mov_b32 v66, v50
	v_dual_mov_b32 v65, v49 :: v_dual_mov_b32 v64, v48
	v_dual_mov_b32 v67, v3 :: v_dual_mov_b32 v80, v88
	v_dual_mov_b32 v83, v91 :: v_dual_mov_b32 v84, v92
	v_dual_mov_b32 v69, v53 :: v_dual_mov_b32 v68, v52
	v_mov_b32_e32 v83, v11
	v_dual_mov_b32 v85, v93 :: v_dual_mov_b32 v86, v94
	v_dual_mov_b32 v87, v95 :: v_dual_mov_b32 v40, v64
	;; [unrolled: 1-line block ×3, first 2 shown]
	v_mov_b32_e32 v42, v66
	v_dual_mov_b32 v17, v18 :: v_dual_mov_b32 v72, v80
	v_dual_mov_b32 v41, v65 :: v_dual_mov_b32 v44, v68
	;; [unrolled: 1-line block ×10, first 2 shown]
	s_delay_alu instid0(VALU_DEP_2)
	v_dual_mov_b32 v56, v72 :: v_dual_mov_b32 v57, v73
	v_dual_mov_b32 v36, v44 :: v_dual_mov_b32 v37, v45
	v_dual_mov_b32 v38, v46 :: v_dual_mov_b32 v39, v47
	v_dual_mov_b32 v60, v76 :: v_dual_mov_b32 v61, v77
	v_dual_mov_b32 v62, v78 :: v_dual_mov_b32 v63, v79
	v_dual_mov_b32 v34, v42 :: v_dual_mov_b32 v35, v43
	v_dual_mov_b32 v37, v5 :: v_dual_mov_b32 v38, v6
	v_dual_mov_b32 v39, v7 :: v_dual_mov_b32 v24, v25
	v_dual_mov_b32 v58, v74 :: v_dual_mov_b32 v59, v75
	v_dual_mov_b32 v61, v13 :: v_dual_mov_b32 v62, v14
	v_dual_mov_b32 v63, v15 :: v_dual_mov_b32 v10, v9
	v_mov_b32_e32 v2, v1
.LBB162_21:
	s_or_b32 exec_lo, exec_lo, s2
	v_mov_b32_e32 v1, v19
	s_mov_b32 s2, exec_lo
	v_cmpx_lt_f32_e32 v24, v19
	s_cbranch_execz .LBB162_23
; %bb.22:
	v_mov_b32_e32 v90, v11
	v_mov_b32_e32 v50, v3
	v_dual_mov_b32 v80, v88 :: v_dual_mov_b32 v81, v89
	v_dual_mov_b32 v71, v55 :: v_dual_mov_b32 v70, v54
	;; [unrolled: 1-line block ×3, first 2 shown]
	s_delay_alu instid0(VALU_DEP_4)
	v_dual_mov_b32 v83, v91 :: v_dual_mov_b32 v66, v50
	v_dual_mov_b32 v65, v49 :: v_dual_mov_b32 v68, v52
	;; [unrolled: 1-line block ×3, first 2 shown]
	v_mov_b32_e32 v67, v2
	v_dual_mov_b32 v82, v90 :: v_dual_mov_b32 v87, v95
	v_dual_mov_b32 v85, v93 :: v_dual_mov_b32 v86, v94
	;; [unrolled: 1-line block ×11, first 2 shown]
	v_mov_b32_e32 v44, v4
	v_dual_mov_b32 v56, v72 :: v_dual_mov_b32 v57, v73
	v_dual_mov_b32 v32, v40 :: v_dual_mov_b32 v35, v43
	;; [unrolled: 1-line block ×3, first 2 shown]
	s_delay_alu instid0(VALU_DEP_4)
	v_dual_mov_b32 v37, v45 :: v_dual_mov_b32 v36, v44
	v_dual_mov_b32 v39, v47 :: v_dual_mov_b32 v38, v46
	;; [unrolled: 1-line block ×3, first 2 shown]
	v_mov_b32_e32 v63, v79
	v_dual_mov_b32 v61, v77 :: v_dual_mov_b32 v62, v78
	v_mov_b32_e32 v39, v7
	v_dual_mov_b32 v18, v19 :: v_dual_mov_b32 v19, v24
	v_dual_mov_b32 v60, v76 :: v_dual_mov_b32 v37, v5
	;; [unrolled: 1-line block ×4, first 2 shown]
	v_mov_b32_e32 v1, v24
	v_mov_b32_e32 v11, v10
	;; [unrolled: 1-line block ×3, first 2 shown]
.LBB162_23:
	s_or_b32 exec_lo, exec_lo, s2
	v_mov_b32_e32 v2, v20
	s_mov_b32 s2, exec_lo
	v_cmpx_lt_f32_e32 v1, v20
	s_cbranch_execz .LBB162_25
; %bb.24:
	v_mov_b32_e32 v91, v12
	v_mov_b32_e32 v51, v4
	;; [unrolled: 1-line block ×4, first 2 shown]
	v_dual_mov_b32 v40, v48 :: v_dual_mov_b32 v41, v49
	v_dual_mov_b32 v42, v50 :: v_dual_mov_b32 v47, v55
	;; [unrolled: 1-line block ×4, first 2 shown]
	v_mov_b32_e32 v44, v3
	v_dual_mov_b32 v76, v11 :: v_dual_mov_b32 v19, v20
	v_dual_mov_b32 v45, v53 :: v_dual_mov_b32 v46, v54
	;; [unrolled: 1-line block ×4, first 2 shown]
	v_mov_b32_e32 v73, v89
	v_mov_b32_e32 v56, v72
	v_dual_mov_b32 v32, v40 :: v_dual_mov_b32 v33, v41
	v_dual_mov_b32 v60, v76 :: v_dual_mov_b32 v61, v77
	;; [unrolled: 1-line block ×9, first 2 shown]
	v_mov_b32_e32 v59, v75
	v_dual_mov_b32 v37, v5 :: v_dual_mov_b32 v38, v6
	v_dual_mov_b32 v39, v7 :: v_dual_mov_b32 v62, v14
	;; [unrolled: 1-line block ×10, first 2 shown]
	v_mov_b32_e32 v4, v3
.LBB162_25:
	s_or_b32 exec_lo, exec_lo, s2
	v_mov_b32_e32 v1, v21
	s_mov_b32 s2, exec_lo
	v_cmpx_lt_f32_e32 v2, v21
	s_cbranch_execz .LBB162_27
; %bb.26:
	v_mov_b32_e32 v68, v5
	v_dual_mov_b32 v20, v21 :: v_dual_mov_b32 v21, v2
	v_mov_b32_e32 v84, v13
	v_dual_mov_b32 v32, v64 :: v_dual_mov_b32 v33, v65
	v_dual_mov_b32 v39, v71 :: v_dual_mov_b32 v56, v80
	;; [unrolled: 1-line block ×7, first 2 shown]
	v_mov_b32_e32 v61, v12
	v_dual_mov_b32 v72, v80 :: v_dual_mov_b32 v73, v81
	v_dual_mov_b32 v40, v64 :: v_dual_mov_b32 v41, v65
	;; [unrolled: 1-line block ×9, first 2 shown]
	v_mov_b32_e32 v45, v69
	v_mov_b32_e32 v1, v2
	;; [unrolled: 1-line block ×3, first 2 shown]
	v_dual_mov_b32 v5, v4 :: v_dual_mov_b32 v78, v86
	v_dual_mov_b32 v79, v87 :: v_dual_mov_b32 v46, v70
	v_mov_b32_e32 v47, v71
.LBB162_27:
	s_or_b32 exec_lo, exec_lo, s2
	v_mov_b32_e32 v2, v22
	s_mov_b32 s2, exec_lo
	v_cmpx_lt_f32_e32 v1, v22
	s_cbranch_execz .LBB162_29
; %bb.28:
	v_dual_mov_b32 v77, v14 :: v_dual_mov_b32 v78, v13
	v_dual_mov_b32 v45, v6 :: v_dual_mov_b32 v46, v5
	v_mov_b32_e32 v79, v15
	v_dual_mov_b32 v21, v22 :: v_dual_mov_b32 v22, v1
	v_dual_mov_b32 v47, v7 :: v_dual_mov_b32 v56, v72
	;; [unrolled: 1-line block ×10, first 2 shown]
.LBB162_29:
	s_or_b32 exec_lo, exec_lo, s2
	s_delay_alu instid0(VALU_DEP_1)
	v_cmp_lt_f32_e32 vcc_lo, v2, v23
	v_mov_b32_e32 v43, v59
	v_cmp_lt_f32_e64 s2, v16, v17
	v_dual_mov_b32 v41, v57 :: v_dual_mov_b32 v42, v58
	v_dual_cndmask_b32 v9, v23, v2 :: v_dual_mov_b32 v44, v60
	v_dual_cndmask_b32 v22, v22, v23 :: v_dual_cndmask_b32 v47, v63, v62
	s_delay_alu instid0(VALU_DEP_2)
	v_dual_mov_b32 v40, v56 :: v_dual_mov_b32 v23, v9
	v_dual_cndmask_b32 v46, v62, v63 :: v_dual_mov_b32 v1, v16
	v_dual_mov_b32 v4, v19 :: v_dual_mov_b32 v45, v61
	v_dual_cndmask_b32 v54, v38, v39 :: v_dual_cndmask_b32 v55, v39, v38
	v_dual_mov_b32 v2, v17 :: v_dual_mov_b32 v3, v18
	v_dual_mov_b32 v6, v21 :: v_dual_mov_b32 v5, v20
	v_dual_mov_b32 v8, v23 :: v_dual_mov_b32 v7, v22
	v_dual_mov_b32 v48, v32 :: v_dual_mov_b32 v49, v33
	v_dual_mov_b32 v50, v34 :: v_dual_mov_b32 v51, v35
	v_dual_mov_b32 v52, v36 :: v_dual_mov_b32 v53, v37
	s_and_saveexec_b32 s3, s2
	s_delay_alu instid0(SALU_CYCLE_1)
	s_xor_b32 s2, exec_lo, s3
	s_cbranch_execz .LBB162_31
; %bb.30:
	v_dual_mov_b32 v2, v17 :: v_dual_mov_b32 v3, v16
	v_dual_mov_b32 v4, v18 :: v_dual_mov_b32 v5, v19
	;; [unrolled: 1-line block ×4, first 2 shown]
	s_delay_alu instid0(VALU_DEP_4)
	v_dual_mov_b32 v1, v2 :: v_dual_mov_b32 v40, v57
	v_dual_mov_b32 v2, v3 :: v_dual_mov_b32 v41, v56
	;; [unrolled: 1-line block ×10, first 2 shown]
.LBB162_31:
	s_or_b32 exec_lo, exec_lo, s2
	v_dual_mov_b32 v26, v40 :: v_dual_mov_b32 v27, v41
	v_dual_mov_b32 v79, v47 :: v_dual_mov_b32 v78, v46
	;; [unrolled: 1-line block ×22, first 2 shown]
	v_mov_b32_e32 v34, v3
	s_mov_b32 s2, exec_lo
	v_dual_mov_b32 v77, v45 :: v_dual_mov_b32 v76, v44
	v_dual_mov_b32 v69, v53 :: v_dual_mov_b32 v68, v52
	v_cmpx_lt_f32_e32 v17, v3
	s_cbranch_execz .LBB162_33
; %bb.32:
	v_dual_mov_b32 v9, v48 :: v_dual_mov_b32 v10, v49
	v_dual_mov_b32 v15, v54 :: v_dual_mov_b32 v16, v55
	v_mov_b32_e32 v10, v50
	v_dual_mov_b32 v11, v50 :: v_dual_mov_b32 v12, v51
	v_dual_mov_b32 v13, v52 :: v_dual_mov_b32 v14, v53
	;; [unrolled: 1-line block ×3, first 2 shown]
	v_mov_b32_e32 v11, v49
	v_dual_mov_b32 v59, v43 :: v_dual_mov_b32 v58, v42
	v_dual_mov_b32 v57, v41 :: v_dual_mov_b32 v56, v40
	;; [unrolled: 1-line block ×14, first 2 shown]
	v_mov_b32_e32 v23, v69
	v_dual_mov_b32 v23, v53 :: v_dual_mov_b32 v26, v72
	v_dual_mov_b32 v19, v65 :: v_dual_mov_b32 v22, v68
	;; [unrolled: 1-line block ×12, first 2 shown]
	v_mov_b32_e32 v42, v41
	v_mov_b32_e32 v50, v49
.LBB162_33:
	s_or_b32 exec_lo, exec_lo, s2
	v_mov_b32_e32 v17, v4
	s_mov_b32 s2, exec_lo
	v_cmpx_lt_f32_e32 v34, v4
	s_cbranch_execz .LBB162_35
; %bb.34:
	v_mov_b32_e32 v11, v51
	v_dual_mov_b32 v3, v4 :: v_dual_mov_b32 v4, v34
	v_dual_mov_b32 v58, v43 :: v_dual_mov_b32 v71, v16
	v_mov_b32_e32 v64, v9
	v_dual_mov_b32 v70, v15 :: v_dual_mov_b32 v69, v14
	v_dual_mov_b32 v79, v63 :: v_dual_mov_b32 v76, v60
	;; [unrolled: 1-line block ×5, first 2 shown]
	v_mov_b32_e32 v67, v50
	v_dual_mov_b32 v78, v62 :: v_dual_mov_b32 v77, v61
	v_dual_mov_b32 v74, v58 :: v_dual_mov_b32 v73, v57
	;; [unrolled: 1-line block ×14, first 2 shown]
	v_mov_b32_e32 v33, v47
	v_mov_b32_e32 v17, v34
	v_mov_b32_e32 v43, v42
	v_mov_b32_e32 v51, v50
.LBB162_35:
	s_or_b32 exec_lo, exec_lo, s2
	v_mov_b32_e32 v12, v5
	s_mov_b32 s2, exec_lo
	v_cmpx_lt_f32_e32 v17, v5
	s_cbranch_execz .LBB162_37
; %bb.36:
	v_mov_b32_e32 v12, v52
	v_dual_mov_b32 v4, v5 :: v_dual_mov_b32 v59, v44
	v_mov_b32_e32 v5, v17
	v_dual_mov_b32 v25, v16 :: v_dual_mov_b32 v24, v15
	v_dual_mov_b32 v26, v56 :: v_dual_mov_b32 v27, v57
	;; [unrolled: 1-line block ×19, first 2 shown]
	v_mov_b32_e32 v12, v17
	v_mov_b32_e32 v44, v43
	v_dual_mov_b32 v52, v51 :: v_dual_mov_b32 v77, v61
	v_mov_b32_e32 v76, v60
.LBB162_37:
	s_or_b32 exec_lo, exec_lo, s2
	v_mov_b32_e32 v9, v6
	s_mov_b32 s2, exec_lo
	v_cmpx_lt_f32_e32 v12, v6
	s_cbranch_execz .LBB162_39
; %bb.38:
	v_dual_mov_b32 v68, v53 :: v_dual_mov_b32 v69, v52
	v_dual_mov_b32 v70, v54 :: v_dual_mov_b32 v77, v44
	;; [unrolled: 1-line block ×13, first 2 shown]
	v_mov_b32_e32 v9, v12
.LBB162_39:
	s_or_b32 exec_lo, exec_lo, s2
	s_delay_alu instid0(VALU_DEP_1)
	v_cmp_lt_f32_e32 vcc_lo, v9, v7
	v_mov_b32_e32 v11, v3
	v_mov_b32_e32 v13, v5
	s_mov_b32 s2, exec_lo
	v_dual_mov_b32 v10, v2 :: v_dual_cndmask_b32 v17, v32, v31
	v_dual_cndmask_b32 v31, v31, v32 :: v_dual_cndmask_b32 v66, v24, v23
	v_dual_cndmask_b32 v23, v23, v24 :: v_dual_cndmask_b32 v14, v6, v7
	v_dual_cndmask_b32 v15, v7, v9 :: v_dual_mov_b32 v12, v4
	v_dual_mov_b32 v9, v1 :: v_dual_mov_b32 v16, v8
	v_cmpx_lt_f32_e32 v1, v2
	s_cbranch_execz .LBB162_41
; %bb.40:
	s_delay_alu instid0(VALU_DEP_2) | instskip(NEXT) | instid1(VALU_DEP_3)
	v_dual_mov_b32 v2, v10 :: v_dual_mov_b32 v3, v9
	v_dual_mov_b32 v8, v15 :: v_dual_mov_b32 v9, v16
	;; [unrolled: 1-line block ×4, first 2 shown]
	s_delay_alu instid0(VALU_DEP_3) | instskip(NEXT) | instid1(VALU_DEP_4)
	v_mov_b32_e32 v16, v9
	v_dual_mov_b32 v24, v26 :: v_dual_mov_b32 v15, v8
	s_delay_alu instid0(VALU_DEP_4)
	v_dual_mov_b32 v32, v18 :: v_dual_mov_b32 v11, v4
	v_swap_b32 v26, v27
	v_swap_b32 v18, v19
	v_dual_mov_b32 v14, v7 :: v_dual_mov_b32 v13, v6
	v_mov_b32_e32 v12, v5
	v_dual_mov_b32 v10, v3 :: v_dual_mov_b32 v9, v2
	v_mov_b32_e32 v2, v1
.LBB162_41:
	s_or_b32 exec_lo, exec_lo, s2
	v_mov_b32_e32 v24, v66
	v_mov_b32_e32 v32, v17
	;; [unrolled: 1-line block ×4, first 2 shown]
	s_delay_alu instid0(VALU_DEP_4)
	v_dual_mov_b32 v41, v33 :: v_dual_mov_b32 v48, v24
	v_dual_mov_b32 v34, v26 :: v_dual_mov_b32 v65, v33
	;; [unrolled: 1-line block ×15, first 2 shown]
	v_mov_b32_e32 v50, v18
	s_mov_b32 s2, exec_lo
	v_cmpx_lt_f32_e32 v2, v11
	s_cbranch_execz .LBB162_43
; %bb.42:
	v_dual_mov_b32 v57, v25 :: v_dual_mov_b32 v56, v24
	v_dual_mov_b32 v53, v21 :: v_dual_mov_b32 v52, v20
	;; [unrolled: 1-line block ×7, first 2 shown]
	s_delay_alu instid0(VALU_DEP_4)
	v_dual_mov_b32 v42, v50 :: v_dual_mov_b32 v43, v51
	v_dual_mov_b32 v63, v31 :: v_dual_mov_b32 v62, v30
	;; [unrolled: 1-line block ×18, first 2 shown]
	v_mov_b32_e32 v1, v2
.LBB162_43:
	s_or_b32 exec_lo, exec_lo, s2
	v_mov_b32_e32 v2, v12
	s_mov_b32 s2, exec_lo
	s_delay_alu instid0(VALU_DEP_2)
	v_cmpx_lt_f32_e32 v1, v12
	s_cbranch_execz .LBB162_45
; %bb.44:
	v_dual_mov_b32 v52, v21 :: v_dual_mov_b32 v11, v12
	v_mov_b32_e32 v60, v29
	v_dual_mov_b32 v42, v50 :: v_dual_mov_b32 v45, v53
	v_dual_mov_b32 v47, v55 :: v_dual_mov_b32 v34, v58
	s_delay_alu instid0(VALU_DEP_4)
	v_dual_mov_b32 v37, v61 :: v_dual_mov_b32 v44, v52
	v_dual_mov_b32 v49, v57 :: v_dual_mov_b32 v46, v54
	v_mov_b32_e32 v45, v20
	v_dual_mov_b32 v48, v56 :: v_dual_mov_b32 v47, v23
	v_dual_mov_b32 v36, v60 :: v_dual_mov_b32 v39, v63
	v_dual_mov_b32 v38, v62 :: v_dual_mov_b32 v41, v65
	v_dual_mov_b32 v40, v64 :: v_dual_mov_b32 v39, v31
	v_dual_mov_b32 v12, v1 :: v_dual_mov_b32 v43, v51
	v_dual_mov_b32 v46, v22 :: v_dual_mov_b32 v49, v25
	v_dual_mov_b32 v48, v66 :: v_dual_mov_b32 v35, v59
	v_dual_mov_b32 v37, v28 :: v_dual_mov_b32 v38, v30
	v_dual_mov_b32 v40, v17 :: v_dual_mov_b32 v29, v28
	v_mov_b32_e32 v41, v33
	v_dual_mov_b32 v2, v1 :: v_dual_mov_b32 v21, v20
.LBB162_45:
	s_or_b32 exec_lo, exec_lo, s2
	v_mov_b32_e32 v1, v13
	s_mov_b32 s2, exec_lo
	s_delay_alu instid0(VALU_DEP_2)
	v_cmpx_lt_f32_e32 v2, v13
	s_cbranch_execz .LBB162_47
; %bb.46:
	v_dual_mov_b32 v53, v22 :: v_dual_mov_b32 v54, v21
	v_dual_mov_b32 v55, v23 :: v_dual_mov_b32 v56, v66
	;; [unrolled: 1-line block ×4, first 2 shown]
	v_mov_b32_e32 v57, v25
	v_dual_mov_b32 v65, v33 :: v_dual_mov_b32 v42, v50
	v_mov_b32_e32 v34, v58
	v_dual_mov_b32 v12, v13 :: v_dual_mov_b32 v13, v2
	v_dual_mov_b32 v35, v59 :: v_dual_mov_b32 v36, v60
	;; [unrolled: 1-line block ×7, first 2 shown]
	v_mov_b32_e32 v47, v55
	v_mov_b32_e32 v49, v57
	;; [unrolled: 1-line block ×3, first 2 shown]
.LBB162_47:
	s_or_b32 exec_lo, exec_lo, s2
	s_delay_alu instid0(VALU_DEP_1)
	v_cmp_lt_f32_e32 vcc_lo, v1, v14
	v_dual_mov_b32 v20, v10 :: v_dual_mov_b32 v25, v15
	v_mov_b32_e32 v22, v12
	v_dual_mov_b32 v26, v16 :: v_dual_cndmask_b32 v27, v39, v38
	v_cndmask_b32_e32 v38, v38, v39, vcc_lo
	v_dual_cndmask_b32 v28, v47, v46 :: v_dual_mov_b32 v19, v9
	v_dual_cndmask_b32 v46, v46, v47 :: v_dual_cndmask_b32 v23, v13, v14
	v_dual_cndmask_b32 v24, v14, v1 :: v_dual_mov_b32 v21, v11
	s_mov_b32 s2, exec_lo
	v_cmpx_lt_f32_e32 v9, v10
	s_cbranch_execz .LBB162_49
; %bb.48:
	v_dual_mov_b32 v7, v25 :: v_dual_mov_b32 v8, v26
	v_dual_mov_b32 v1, v20 :: v_dual_mov_b32 v2, v19
	;; [unrolled: 1-line block ×4, first 2 shown]
	s_delay_alu instid0(VALU_DEP_4)
	v_dual_mov_b32 v11, v34 :: v_dual_mov_b32 v26, v8
	v_dual_mov_b32 v12, v42 :: v_dual_mov_b32 v25, v7
	v_swap_b32 v34, v35
	v_swap_b32 v42, v43
	v_dual_mov_b32 v24, v6 :: v_dual_mov_b32 v23, v5
	v_dual_mov_b32 v22, v4 :: v_dual_mov_b32 v21, v3
	;; [unrolled: 1-line block ×3, first 2 shown]
	v_mov_b32_e32 v10, v9
.LBB162_49:
	s_or_b32 exec_lo, exec_lo, s2
	v_mov_b32_e32 v47, v28
	v_mov_b32_e32 v39, v27
	v_dual_mov_b32 v1, v42 :: v_dual_mov_b32 v4, v45
	v_dual_mov_b32 v11, v34 :: v_dual_mov_b32 v14, v37
	;; [unrolled: 1-line block ×3, first 2 shown]
	s_delay_alu instid0(VALU_DEP_4)
	v_dual_mov_b32 v16, v39 :: v_dual_mov_b32 v15, v38
	v_dual_mov_b32 v18, v41 :: v_dual_mov_b32 v17, v40
	;; [unrolled: 1-line block ×5, first 2 shown]
	v_mov_b32_e32 v9, v21
	s_mov_b32 s2, exec_lo
	v_cmpx_lt_f32_e32 v10, v21
	s_cbranch_execz .LBB162_51
; %bb.50:
	v_dual_mov_b32 v1, v42 :: v_dual_mov_b32 v2, v43
	v_dual_mov_b32 v5, v46 :: v_dual_mov_b32 v6, v47
	;; [unrolled: 1-line block ×16, first 2 shown]
	v_mov_b32_e32 v18, v41
	v_mov_b32_e32 v36, v35
	;; [unrolled: 1-line block ×3, first 2 shown]
.LBB162_51:
	s_or_b32 exec_lo, exec_lo, s2
	v_mov_b32_e32 v29, v22
	s_mov_b32 s2, exec_lo
	v_cmpx_lt_f32_e32 v9, v22
; %bb.52:
	v_dual_mov_b32 v21, v22 :: v_dual_mov_b32 v22, v9
	v_dual_mov_b32 v3, v45 :: v_dual_mov_b32 v4, v44
	;; [unrolled: 1-line block ×7, first 2 shown]
	v_mov_b32_e32 v29, v9
; %bb.53:
	s_or_b32 exec_lo, exec_lo, s2
	s_delay_alu instid0(VALU_DEP_1)
	v_cmp_lt_f32_e32 vcc_lo, v29, v23
	v_dual_mov_b32 v28, v20 :: v_dual_mov_b32 v33, v25
	v_mov_b32_e32 v32, v24
	v_dual_mov_b32 v34, v26 :: v_dual_cndmask_b32 v9, v15, v14
	v_cndmask_b32_e32 v14, v14, v15, vcc_lo
	v_dual_cndmask_b32 v10, v5, v4 :: v_dual_cndmask_b32 v31, v23, v29
	v_dual_cndmask_b32 v4, v4, v5 :: v_dual_mov_b32 v27, v19
	v_dual_cndmask_b32 v30, v22, v23 :: v_dual_mov_b32 v29, v21
	s_mov_b32 s2, exec_lo
	v_cmpx_lt_f32_e32 v19, v20
	s_cbranch_execz .LBB162_55
; %bb.54:
	v_dual_mov_b32 v20, v28 :: v_dual_mov_b32 v21, v27
	v_dual_mov_b32 v26, v33 :: v_dual_mov_b32 v27, v34
	;; [unrolled: 1-line block ×4, first 2 shown]
	s_delay_alu instid0(VALU_DEP_3) | instskip(SKIP_2) | instid1(VALU_DEP_4)
	v_dual_mov_b32 v15, v1 :: v_dual_mov_b32 v34, v27
	v_mov_b32_e32 v5, v11
	v_swap_b32 v11, v12
	v_mov_b32_e32 v32, v25
	v_swap_b32 v1, v2
	v_dual_mov_b32 v33, v26 :: v_dual_mov_b32 v30, v23
	v_dual_mov_b32 v31, v24 :: v_dual_mov_b32 v28, v21
	v_mov_b32_e32 v29, v22
	v_dual_mov_b32 v27, v20 :: v_dual_mov_b32 v20, v19
.LBB162_55:
	s_or_b32 exec_lo, exec_lo, s2
	v_mov_b32_e32 v5, v10
	v_mov_b32_e32 v15, v9
	;; [unrolled: 1-line block ×3, first 2 shown]
	s_mov_b32 s2, exec_lo
	v_cmpx_lt_f32_e32 v20, v29
	s_cbranch_execz .LBB162_57
; %bb.56:
	v_dual_mov_b32 v50, v18 :: v_dual_mov_b32 v49, v17
	v_dual_mov_b32 v42, v8 :: v_dual_mov_b32 v41, v7
	v_dual_mov_b32 v48, v16 :: v_dual_mov_b32 v47, v15
	v_dual_mov_b32 v44, v12 :: v_dual_mov_b32 v43, v11
	v_dual_mov_b32 v40, v6 :: v_dual_mov_b32 v39, v5
	v_dual_mov_b32 v38, v4 :: v_dual_mov_b32 v37, v3
	v_dual_mov_b32 v36, v2 :: v_dual_mov_b32 v35, v1
	v_dual_mov_b32 v46, v14 :: v_dual_mov_b32 v45, v13
	v_dual_mov_b32 v48, v16 :: v_dual_mov_b32 v49, v17
	v_dual_mov_b32 v36, v3 :: v_dual_mov_b32 v37, v2
	v_dual_mov_b32 v38, v4 :: v_dual_mov_b32 v39, v10
	v_dual_mov_b32 v40, v6 :: v_dual_mov_b32 v41, v7
	v_dual_mov_b32 v44, v13 :: v_dual_mov_b32 v45, v12
	v_dual_mov_b32 v46, v14 :: v_dual_mov_b32 v47, v9
	v_mov_b32_e32 v50, v18
	v_dual_mov_b32 v28, v29 :: v_dual_mov_b32 v29, v20
	v_dual_mov_b32 v42, v8 :: v_dual_mov_b32 v11, v43
	;; [unrolled: 1-line block ×10, first 2 shown]
.LBB162_57:
	s_or_b32 exec_lo, exec_lo, s2
	s_delay_alu instid0(VALU_DEP_1) | instskip(NEXT) | instid1(VALU_DEP_3)
	v_cmp_lt_f32_e32 vcc_lo, v19, v30
	v_dual_mov_b32 v20, v5 :: v_dual_mov_b32 v21, v6
	s_delay_alu instid0(VALU_DEP_3)
	v_dual_mov_b32 v22, v7 :: v_dual_mov_b32 v23, v8
	v_dual_cndmask_b32 v9, v14, v13 :: v_dual_cndmask_b32 v10, v4, v3
	v_dual_cndmask_b32 v35, v13, v14 :: v_dual_cndmask_b32 v36, v3, v4
	;; [unrolled: 1-line block ×3, first 2 shown]
	v_dual_mov_b32 v4, v15 :: v_dual_mov_b32 v13, v16
	v_dual_mov_b32 v14, v17 :: v_dual_mov_b32 v19, v18
	;; [unrolled: 1-line block ×4, first 2 shown]
	v_mov_b32_e32 v29, v34
	s_mov_b32 s2, exec_lo
	v_cmpx_lt_f32_e32 v27, v28
	s_cbranch_execz .LBB162_59
; %bb.58:
	v_dual_mov_b32 v24, v28 :: v_dual_mov_b32 v19, v18
	v_dual_mov_b32 v4, v11 :: v_dual_mov_b32 v13, v16
	;; [unrolled: 1-line block ×3, first 2 shown]
	v_swap_b32 v11, v12
	v_swap_b32 v1, v2
	v_dual_mov_b32 v28, v27 :: v_dual_mov_b32 v21, v6
	v_dual_mov_b32 v4, v15 :: v_dual_mov_b32 v23, v8
	;; [unrolled: 1-line block ×5, first 2 shown]
	v_mov_b32_e32 v24, v31
	v_mov_b32_e32 v26, v33
.LBB162_59:
	s_or_b32 exec_lo, exec_lo, s2
	s_clause 0x1
	s_load_b32 s8, s[0:1], 0x28
	s_load_b128 s[4:7], s[0:1], 0x10
	s_waitcnt lgkmcnt(0)
	s_cmp_lt_i32 s8, 1
	s_cbranch_scc1 .LBB162_65
; %bb.60:
	v_cmp_lt_f32_e32 vcc_lo, v28, v30
	v_mov_b32_e32 v7, 0
	s_mov_b32 s9, 0x76543210
	s_mov_b32 s10, s8
	v_mov_b32_e32 v6, 0
	v_dual_cndmask_b32 v8, v35, v12 :: v_dual_cndmask_b32 v17, v37, v30
	v_cndmask_b32_e32 v5, v36, v2, vcc_lo
	v_cndmask_b32_e32 v15, v2, v36, vcc_lo
	;; [unrolled: 1-line block ×4, first 2 shown]
	v_cmp_lt_f32_e64 s2, v27, v17
	s_delay_alu instid0(VALU_DEP_1)
	v_cndmask_b32_e64 v12, v15, v1, s2
	v_cndmask_b32_e64 v15, v1, v15, s2
	;; [unrolled: 1-line block ×6, first 2 shown]
	v_mov_b32_e32 v27, v0
	v_mov_b32_e32 v1, 0
.LBB162_61:                             ; =>This Inner Loop Header: Depth=1
	v_cmp_eq_u32_e32 vcc_lo, 1, v7
	v_cmp_eq_u32_e64 s2, 2, v7
	v_cmp_gt_u32_e64 s3, 8, v7
	v_dual_cndmask_b32 v28, v17, v16 :: v_dual_cndmask_b32 v31, v11, v18
	v_cndmask_b32_e32 v30, v15, v12, vcc_lo
	v_cmp_eq_u32_e32 vcc_lo, 3, v7
	s_delay_alu instid0(VALU_DEP_3) | instskip(NEXT) | instid1(VALU_DEP_4)
	v_cndmask_b32_e64 v28, v28, v2, s2
	v_cndmask_b32_e64 v31, v31, v8, s2
	s_delay_alu instid0(VALU_DEP_4) | instskip(SKIP_1) | instid1(VALU_DEP_3)
	v_cndmask_b32_e64 v30, v30, v5, s2
	v_cmp_eq_u32_e64 s2, 4, v7
	v_dual_cndmask_b32 v28, v28, v3 :: v_dual_cndmask_b32 v31, v31, v9
	s_delay_alu instid0(VALU_DEP_1) | instskip(NEXT) | instid1(VALU_DEP_2)
	v_cndmask_b32_e64 v28, v28, v24, s2
	v_cndmask_b32_e64 v31, v31, v4, s2
	v_cndmask_b32_e32 v30, v30, v10, vcc_lo
	v_cmp_eq_u32_e32 vcc_lo, 5, v7
	s_delay_alu instid0(VALU_DEP_3) | instskip(SKIP_1) | instid1(VALU_DEP_4)
	v_cndmask_b32_e32 v31, v31, v13, vcc_lo
	v_cndmask_b32_e32 v28, v28, v25, vcc_lo
	v_cndmask_b32_e64 v30, v30, v20, s2
	v_cmp_eq_u32_e64 s2, 6, v7
	s_delay_alu instid0(VALU_DEP_2) | instskip(NEXT) | instid1(VALU_DEP_2)
	v_cndmask_b32_e32 v30, v30, v21, vcc_lo
	v_cndmask_b32_e64 v28, v28, v26, s2
	v_cmp_eq_u32_e32 vcc_lo, 7, v7
	v_cndmask_b32_e64 v31, v31, v14, s2
	s_delay_alu instid0(VALU_DEP_4) | instskip(NEXT) | instid1(VALU_DEP_4)
	v_cndmask_b32_e64 v30, v30, v22, s2
	v_cndmask_b32_e32 v28, v28, v29, vcc_lo
	s_delay_alu instid0(VALU_DEP_2) | instskip(NEXT) | instid1(VALU_DEP_2)
	v_cndmask_b32_e32 v30, v30, v23, vcc_lo
	v_cndmask_b32_e64 v28, 0xff800000, v28, s3
	;;#ASMSTART
	v_max_f32 v32, v28, v28 quad_perm:[1,0,3,2] row_mask:0xf bank_mask:0xf bound_ctrl:1
	;;#ASMEND
	;;#ASMSTART
	v_max_f32 v33, v32, v32 quad_perm:[2,3,0,1] row_mask:0xf bank_mask:0xf bound_ctrl:1
	;;#ASMEND
	;;#ASMSTART
	v_max_f32 v32, v33, v33 row_half_mirror row_mask:0xf bank_mask:0xf bound_ctrl:1
	;;#ASMEND
	;;#ASMSTART
	v_max_f32 v33, v32, v32 row_mirror row_mask:0xf bank_mask:0xf bound_ctrl:1
	;;#ASMEND
	v_permlanex16_b32 v32, v33, s9, 0xfedcba98 op_sel:[1,1]
	s_delay_alu instid0(VALU_DEP_1) | instskip(NEXT) | instid1(VALU_DEP_1)
	v_dual_max_f32 v33, v33, v33 :: v_dual_max_f32 v32, v32, v32
	v_max_f32_e32 v32, v33, v32
	s_delay_alu instid0(VALU_DEP_1) | instskip(SKIP_1) | instid1(VALU_DEP_2)
	v_cmp_eq_f32_e64 s2, v28, v32
	v_cndmask_b32_e64 v28, 0, v30, s3
	s_ctz_i32_b32 s11, s2
	s_cmp_lg_u32 s2, 0
	s_cselect_b32 s2, s11, 0
	s_add_i32 s10, s10, -1
	v_readlane_b32 s11, v28, s2
	v_cndmask_b32_e32 v28, v31, v19, vcc_lo
	s_delay_alu instid0(VALU_DEP_2)
	v_cmp_eq_u32_e32 vcc_lo, s11, v30
	s_and_b32 s2, s11, 31
	s_and_b32 vcc_lo, s3, vcc_lo
	s_cmp_eq_u32 s10, 0
	v_cndmask_b32_e32 v28, 0, v28, vcc_lo
	v_add_co_ci_u32_e32 v7, vcc_lo, 0, v7, vcc_lo
	s_delay_alu instid0(VALU_DEP_2) | instskip(SKIP_2) | instid1(VALU_DEP_2)
	v_readlane_b32 s3, v28, s2
	v_cmp_eq_u32_e64 s2, 0, v27
	v_add_nc_u32_e32 v27, -1, v27
	v_cndmask_b32_e64 v6, v6, s3, s2
	v_cndmask_b32_e64 v1, v1, s11, s2
	s_cbranch_scc0 .LBB162_61
; %bb.62:
	s_mov_b32 s2, exec_lo
	v_cmpx_gt_i32_e64 s8, v0
	s_cbranch_execz .LBB162_64
.LBB162_63:
	s_clause 0x1
	s_load_b64 s[2:3], s[0:1], 0x20
	s_load_b32 s8, s[0:1], 0x30
	s_ashr_i32 s0, s15, 31
	v_lshlrev_b32_e32 v0, 2, v0
	s_waitcnt lgkmcnt(0)
	s_mul_i32 s1, s15, s3
	s_mul_hi_u32 s3, s15, s2
	s_mul_i32 s0, s0, s2
	s_add_i32 s1, s3, s1
	v_mul_f32_e32 v2, s8, v6
	s_add_i32 s1, s1, s0
	s_mul_i32 s0, s15, s2
	s_delay_alu instid0(SALU_CYCLE_1) | instskip(NEXT) | instid1(SALU_CYCLE_1)
	s_lshl_b64 s[0:1], s[0:1], 2
	s_add_u32 s2, s4, s0
	s_addc_u32 s3, s5, s1
	s_add_u32 s0, s6, s0
	s_addc_u32 s1, s7, s1
	s_clause 0x1
	global_store_b32 v0, v2, s[2:3]
	global_store_b32 v0, v1, s[0:1]
.LBB162_64:
	s_nop 0
	s_sendmsg sendmsg(MSG_DEALLOC_VGPRS)
	s_endpgm
.LBB162_65:
	v_dual_mov_b32 v1, 0 :: v_dual_mov_b32 v6, 0
	s_mov_b32 s2, exec_lo
	v_cmpx_gt_i32_e64 s8, v0
	s_cbranch_execnz .LBB162_63
	s_branch .LBB162_64
	.section	.rodata,"a",@progbits
	.p2align	6, 0x0
	.amdhsa_kernel _ZN5aiter24topk_softplus_kernel_optI6__halfS1_Li256ELb0ELi0EEEvPKT_PKT0_PfPimiif
		.amdhsa_group_segment_fixed_size 0
		.amdhsa_private_segment_fixed_size 0
		.amdhsa_kernarg_size 52
		.amdhsa_user_sgpr_count 15
		.amdhsa_user_sgpr_dispatch_ptr 0
		.amdhsa_user_sgpr_queue_ptr 0
		.amdhsa_user_sgpr_kernarg_segment_ptr 1
		.amdhsa_user_sgpr_dispatch_id 0
		.amdhsa_user_sgpr_private_segment_size 0
		.amdhsa_wavefront_size32 1
		.amdhsa_uses_dynamic_stack 0
		.amdhsa_enable_private_segment 0
		.amdhsa_system_sgpr_workgroup_id_x 1
		.amdhsa_system_sgpr_workgroup_id_y 0
		.amdhsa_system_sgpr_workgroup_id_z 0
		.amdhsa_system_sgpr_workgroup_info 0
		.amdhsa_system_vgpr_workitem_id 0
		.amdhsa_next_free_vgpr 96
		.amdhsa_next_free_sgpr 16
		.amdhsa_reserve_vcc 1
		.amdhsa_float_round_mode_32 0
		.amdhsa_float_round_mode_16_64 0
		.amdhsa_float_denorm_mode_32 3
		.amdhsa_float_denorm_mode_16_64 3
		.amdhsa_dx10_clamp 1
		.amdhsa_ieee_mode 1
		.amdhsa_fp16_overflow 0
		.amdhsa_workgroup_processor_mode 1
		.amdhsa_memory_ordered 1
		.amdhsa_forward_progress 0
		.amdhsa_shared_vgpr_count 0
		.amdhsa_exception_fp_ieee_invalid_op 0
		.amdhsa_exception_fp_denorm_src 0
		.amdhsa_exception_fp_ieee_div_zero 0
		.amdhsa_exception_fp_ieee_overflow 0
		.amdhsa_exception_fp_ieee_underflow 0
		.amdhsa_exception_fp_ieee_inexact 0
		.amdhsa_exception_int_div_zero 0
	.end_amdhsa_kernel
	.section	.text._ZN5aiter24topk_softplus_kernel_optI6__halfS1_Li256ELb0ELi0EEEvPKT_PKT0_PfPimiif,"axG",@progbits,_ZN5aiter24topk_softplus_kernel_optI6__halfS1_Li256ELb0ELi0EEEvPKT_PKT0_PfPimiif,comdat
.Lfunc_end162:
	.size	_ZN5aiter24topk_softplus_kernel_optI6__halfS1_Li256ELb0ELi0EEEvPKT_PKT0_PfPimiif, .Lfunc_end162-_ZN5aiter24topk_softplus_kernel_optI6__halfS1_Li256ELb0ELi0EEEvPKT_PKT0_PfPimiif
                                        ; -- End function
	.section	.AMDGPU.csdata,"",@progbits
; Kernel info:
; codeLenInByte = 8512
; NumSgprs: 18
; NumVgprs: 96
; ScratchSize: 0
; MemoryBound: 0
; FloatMode: 240
; IeeeMode: 1
; LDSByteSize: 0 bytes/workgroup (compile time only)
; SGPRBlocks: 2
; VGPRBlocks: 11
; NumSGPRsForWavesPerEU: 18
; NumVGPRsForWavesPerEU: 96
; Occupancy: 16
; WaveLimiterHint : 0
; COMPUTE_PGM_RSRC2:SCRATCH_EN: 0
; COMPUTE_PGM_RSRC2:USER_SGPR: 15
; COMPUTE_PGM_RSRC2:TRAP_HANDLER: 0
; COMPUTE_PGM_RSRC2:TGID_X_EN: 1
; COMPUTE_PGM_RSRC2:TGID_Y_EN: 0
; COMPUTE_PGM_RSRC2:TGID_Z_EN: 0
; COMPUTE_PGM_RSRC2:TIDIG_COMP_CNT: 0
	.section	.text._ZN5aiter24topk_softplus_kernel_optI6__halfS1_Li384ELb1ELi0EEEvPKT_PKT0_PfPimiif,"axG",@progbits,_ZN5aiter24topk_softplus_kernel_optI6__halfS1_Li384ELb1ELi0EEEvPKT_PKT0_PfPimiif,comdat
	.protected	_ZN5aiter24topk_softplus_kernel_optI6__halfS1_Li384ELb1ELi0EEEvPKT_PKT0_PfPimiif ; -- Begin function _ZN5aiter24topk_softplus_kernel_optI6__halfS1_Li384ELb1ELi0EEEvPKT_PKT0_PfPimiif
	.globl	_ZN5aiter24topk_softplus_kernel_optI6__halfS1_Li384ELb1ELi0EEEvPKT_PKT0_PfPimiif
	.p2align	8
	.type	_ZN5aiter24topk_softplus_kernel_optI6__halfS1_Li384ELb1ELi0EEEvPKT_PKT0_PfPimiif,@function
_ZN5aiter24topk_softplus_kernel_optI6__halfS1_Li384ELb1ELi0EEEvPKT_PKT0_PfPimiif: ; @_ZN5aiter24topk_softplus_kernel_optI6__halfS1_Li384ELb1ELi0EEEvPKT_PKT0_PfPimiif
; %bb.0:
	s_load_b128 s[4:7], s[0:1], 0x0
	s_mul_i32 s2, s15, 0x180
	v_lshlrev_b32_e32 v1, 1, v0
	s_ashr_i32 s3, s2, 31
	s_delay_alu instid0(SALU_CYCLE_1)
	s_lshl_b64 s[2:3], s[2:3], 1
	s_waitcnt lgkmcnt(0)
	s_add_u32 s8, s4, s2
	s_addc_u32 s9, s5, s3
	s_mov_b32 s4, 0x3fb8aa3b
	global_load_u16 v2, v1, s[8:9]
	s_cmp_lg_u64 s[6:7], 0
	s_cselect_b32 s3, -1, 0
	s_waitcnt vmcnt(0)
	v_cvt_f32_f16_e32 v3, v2
	s_delay_alu instid0(VALU_DEP_1) | instskip(NEXT) | instid1(VALU_DEP_1)
	v_mul_f32_e32 v4, 0x3fb8aa3b, v3
	v_cmp_gt_f32_e32 vcc_lo, 0xc2fc0000, v4
	v_cndmask_b32_e64 v4, 0, 0x42800000, vcc_lo
	v_cndmask_b32_e64 v5, 1.0, 0x1f800000, vcc_lo
	s_delay_alu instid0(VALU_DEP_2) | instskip(NEXT) | instid1(VALU_DEP_1)
	v_fma_mix_f32 v4, v2, s4, v4 op_sel_hi:[1,0,0]
	v_exp_f32_e32 v4, v4
	s_waitcnt_depctr 0xfff
	v_fma_f32 v4, v4, v5, 1.0
	s_delay_alu instid0(VALU_DEP_1) | instskip(SKIP_1) | instid1(VALU_DEP_1)
	v_cmp_gt_f32_e32 vcc_lo, 0x800000, v4
	v_cndmask_b32_e64 v5, 1.0, 0x4f800000, vcc_lo
	v_mul_f32_e32 v4, v4, v5
	v_cndmask_b32_e64 v5, 0, 0x42000000, vcc_lo
	v_cmp_lt_f16_e32 vcc_lo, 0x4d00, v2
	s_delay_alu instid0(VALU_DEP_3) | instskip(SKIP_2) | instid1(VALU_DEP_1)
	v_log_f32_e32 v4, v4
	s_waitcnt_depctr 0xfff
	v_sub_f32_e32 v4, v4, v5
	v_mul_f32_e32 v4, 0x3f317218, v4
	s_delay_alu instid0(VALU_DEP_1) | instskip(NEXT) | instid1(VALU_DEP_1)
	v_cndmask_b32_e32 v2, v4, v3, vcc_lo
	v_mul_f32_e32 v3, 0x4f800000, v2
	v_cmp_gt_f32_e32 vcc_lo, 0xf800000, v2
	s_delay_alu instid0(VALU_DEP_2) | instskip(NEXT) | instid1(VALU_DEP_1)
	v_cndmask_b32_e32 v2, v2, v3, vcc_lo
	v_sqrt_f32_e32 v3, v2
	s_waitcnt_depctr 0xfff
	v_add_nc_u32_e32 v4, -1, v3
	v_add_nc_u32_e32 v5, 1, v3
	s_delay_alu instid0(VALU_DEP_2) | instskip(NEXT) | instid1(VALU_DEP_2)
	v_fma_f32 v6, -v4, v3, v2
	v_fma_f32 v7, -v5, v3, v2
	s_delay_alu instid0(VALU_DEP_2) | instskip(NEXT) | instid1(VALU_DEP_1)
	v_cmp_ge_f32_e64 s2, 0, v6
	v_cndmask_b32_e64 v3, v3, v4, s2
	s_delay_alu instid0(VALU_DEP_3) | instskip(NEXT) | instid1(VALU_DEP_1)
	v_cmp_lt_f32_e64 s2, 0, v7
	v_cndmask_b32_e64 v3, v3, v5, s2
	v_add_co_u32 v12, s2, s8, v1
	s_delay_alu instid0(VALU_DEP_1) | instskip(NEXT) | instid1(VALU_DEP_3)
	v_add_co_ci_u32_e64 v13, null, s9, 0, s2
	v_mul_f32_e32 v4, 0x37800000, v3
	s_delay_alu instid0(VALU_DEP_1) | instskip(SKIP_1) | instid1(VALU_DEP_2)
	v_cndmask_b32_e32 v3, v3, v4, vcc_lo
	v_cmp_class_f32_e64 vcc_lo, v2, 0x260
	v_cndmask_b32_e32 v49, v3, v2, vcc_lo
	s_and_b32 vcc_lo, exec_lo, s3
	s_delay_alu instid0(VALU_DEP_1)
	v_mov_b32_e32 v37, v49
	s_cbranch_vccz .LBB163_2
; %bb.1:
	global_load_u16 v2, v1, s[6:7]
	s_waitcnt vmcnt(0)
	v_cvt_f32_f16_e32 v2, v2
	s_delay_alu instid0(VALU_DEP_1)
	v_add_f32_e32 v37, v49, v2
.LBB163_2:
	global_load_u16 v2, v[12:13], off offset:64
	v_cndmask_b32_e64 v14, 0, 1, s3
	s_waitcnt vmcnt(0)
	v_cvt_f32_f16_e32 v3, v2
	s_delay_alu instid0(VALU_DEP_1) | instskip(NEXT) | instid1(VALU_DEP_1)
	v_mul_f32_e32 v4, 0x3fb8aa3b, v3
	v_cmp_gt_f32_e32 vcc_lo, 0xc2fc0000, v4
	v_cndmask_b32_e64 v5, 0, 0x42800000, vcc_lo
	v_cndmask_b32_e64 v4, 1.0, 0x1f800000, vcc_lo
	s_delay_alu instid0(VALU_DEP_2) | instskip(NEXT) | instid1(VALU_DEP_1)
	v_fma_mix_f32 v5, v2, s4, v5 op_sel_hi:[1,0,0]
	v_exp_f32_e32 v5, v5
	s_waitcnt_depctr 0xfff
	v_fma_f32 v4, v5, v4, 1.0
	s_delay_alu instid0(VALU_DEP_1) | instskip(SKIP_1) | instid1(VALU_DEP_1)
	v_cmp_gt_f32_e32 vcc_lo, 0x800000, v4
	v_cndmask_b32_e64 v5, 1.0, 0x4f800000, vcc_lo
	v_mul_f32_e32 v4, v4, v5
	v_cndmask_b32_e64 v5, 0, 0x42000000, vcc_lo
	v_cmp_lt_f16_e32 vcc_lo, 0x4d00, v2
	s_delay_alu instid0(VALU_DEP_3) | instskip(SKIP_2) | instid1(VALU_DEP_1)
	v_log_f32_e32 v4, v4
	s_waitcnt_depctr 0xfff
	v_sub_f32_e32 v4, v4, v5
	v_mul_f32_e32 v4, 0x3f317218, v4
	s_delay_alu instid0(VALU_DEP_1) | instskip(NEXT) | instid1(VALU_DEP_1)
	v_cndmask_b32_e32 v2, v4, v3, vcc_lo
	v_mul_f32_e32 v3, 0x4f800000, v2
	v_cmp_gt_f32_e32 vcc_lo, 0xf800000, v2
	s_delay_alu instid0(VALU_DEP_2) | instskip(NEXT) | instid1(VALU_DEP_1)
	v_cndmask_b32_e32 v2, v2, v3, vcc_lo
	v_sqrt_f32_e32 v3, v2
	s_waitcnt_depctr 0xfff
	v_add_nc_u32_e32 v4, -1, v3
	v_add_nc_u32_e32 v5, 1, v3
	s_delay_alu instid0(VALU_DEP_2) | instskip(NEXT) | instid1(VALU_DEP_2)
	v_fma_f32 v6, -v4, v3, v2
	v_fma_f32 v7, -v5, v3, v2
	s_delay_alu instid0(VALU_DEP_2) | instskip(NEXT) | instid1(VALU_DEP_1)
	v_cmp_ge_f32_e64 s2, 0, v6
	v_cndmask_b32_e64 v3, v3, v4, s2
	s_delay_alu instid0(VALU_DEP_3) | instskip(NEXT) | instid1(VALU_DEP_1)
	v_cmp_lt_f32_e64 s2, 0, v7
	v_cndmask_b32_e64 v3, v3, v5, s2
	s_delay_alu instid0(VALU_DEP_1) | instskip(NEXT) | instid1(VALU_DEP_1)
	v_mul_f32_e32 v4, 0x37800000, v3
	v_cndmask_b32_e32 v3, v3, v4, vcc_lo
	v_cmp_class_f32_e64 vcc_lo, v2, 0x260
	s_delay_alu instid0(VALU_DEP_2) | instskip(SKIP_1) | instid1(VALU_DEP_1)
	v_cndmask_b32_e32 v2, v3, v2, vcc_lo
	s_and_not1_b32 vcc_lo, exec_lo, s3
	v_mov_b32_e32 v38, v2
	s_cbranch_vccnz .LBB163_4
; %bb.3:
	global_load_u16 v3, v1, s[6:7] offset:64
	s_waitcnt vmcnt(0)
	v_cvt_f32_f16_e32 v3, v3
	s_delay_alu instid0(VALU_DEP_1)
	v_add_f32_e32 v38, v2, v3
.LBB163_4:
	global_load_u16 v3, v[12:13], off offset:128
	s_mov_b32 s3, 0x3fb8aa3b
	s_waitcnt vmcnt(0)
	v_cvt_f32_f16_e32 v4, v3
	s_delay_alu instid0(VALU_DEP_1) | instskip(NEXT) | instid1(VALU_DEP_1)
	v_mul_f32_e32 v5, 0x3fb8aa3b, v4
	v_cmp_gt_f32_e32 vcc_lo, 0xc2fc0000, v5
	v_cndmask_b32_e64 v6, 0, 0x42800000, vcc_lo
	v_cndmask_b32_e64 v5, 1.0, 0x1f800000, vcc_lo
	s_delay_alu instid0(VALU_DEP_2) | instskip(NEXT) | instid1(VALU_DEP_1)
	v_fma_mix_f32 v6, v3, s3, v6 op_sel_hi:[1,0,0]
	v_exp_f32_e32 v6, v6
	s_waitcnt_depctr 0xfff
	v_fma_f32 v5, v6, v5, 1.0
	s_delay_alu instid0(VALU_DEP_1) | instskip(SKIP_1) | instid1(VALU_DEP_1)
	v_cmp_gt_f32_e32 vcc_lo, 0x800000, v5
	v_cndmask_b32_e64 v6, 1.0, 0x4f800000, vcc_lo
	v_mul_f32_e32 v5, v5, v6
	v_cndmask_b32_e64 v6, 0, 0x42000000, vcc_lo
	v_cmp_lt_f16_e32 vcc_lo, 0x4d00, v3
	s_delay_alu instid0(VALU_DEP_3) | instskip(SKIP_2) | instid1(VALU_DEP_1)
	v_log_f32_e32 v5, v5
	s_waitcnt_depctr 0xfff
	v_sub_f32_e32 v5, v5, v6
	v_mul_f32_e32 v5, 0x3f317218, v5
	s_delay_alu instid0(VALU_DEP_1) | instskip(NEXT) | instid1(VALU_DEP_1)
	v_cndmask_b32_e32 v3, v5, v4, vcc_lo
	v_mul_f32_e32 v4, 0x4f800000, v3
	v_cmp_gt_f32_e32 vcc_lo, 0xf800000, v3
	s_delay_alu instid0(VALU_DEP_2) | instskip(NEXT) | instid1(VALU_DEP_1)
	v_cndmask_b32_e32 v3, v3, v4, vcc_lo
	v_sqrt_f32_e32 v4, v3
	s_waitcnt_depctr 0xfff
	v_add_nc_u32_e32 v5, -1, v4
	v_add_nc_u32_e32 v6, 1, v4
	s_delay_alu instid0(VALU_DEP_2) | instskip(NEXT) | instid1(VALU_DEP_2)
	v_fma_f32 v7, -v5, v4, v3
	v_fma_f32 v8, -v6, v4, v3
	s_delay_alu instid0(VALU_DEP_2) | instskip(NEXT) | instid1(VALU_DEP_1)
	v_cmp_ge_f32_e64 s2, 0, v7
	v_cndmask_b32_e64 v4, v4, v5, s2
	s_delay_alu instid0(VALU_DEP_3) | instskip(NEXT) | instid1(VALU_DEP_1)
	v_cmp_lt_f32_e64 s2, 0, v8
	v_cndmask_b32_e64 v4, v4, v6, s2
	s_delay_alu instid0(VALU_DEP_1) | instskip(NEXT) | instid1(VALU_DEP_1)
	v_mul_f32_e32 v5, 0x37800000, v4
	v_cndmask_b32_e32 v4, v4, v5, vcc_lo
	v_cmp_class_f32_e64 vcc_lo, v3, 0x260
	s_delay_alu instid0(VALU_DEP_2) | instskip(SKIP_1) | instid1(VALU_DEP_2)
	v_cndmask_b32_e32 v3, v4, v3, vcc_lo
	v_cmp_ne_u32_e32 vcc_lo, 1, v14
	v_mov_b32_e32 v39, v3
	s_cbranch_vccnz .LBB163_6
; %bb.5:
	global_load_u16 v4, v1, s[6:7] offset:128
	s_waitcnt vmcnt(0)
	v_cvt_f32_f16_e32 v4, v4
	s_delay_alu instid0(VALU_DEP_1)
	v_add_f32_e32 v39, v3, v4
.LBB163_6:
	global_load_u16 v4, v[12:13], off offset:192
	s_waitcnt vmcnt(0)
	v_cvt_f32_f16_e32 v5, v4
	s_delay_alu instid0(VALU_DEP_1) | instskip(NEXT) | instid1(VALU_DEP_1)
	v_mul_f32_e32 v6, 0x3fb8aa3b, v5
	v_cmp_gt_f32_e32 vcc_lo, 0xc2fc0000, v6
	v_cndmask_b32_e64 v7, 0, 0x42800000, vcc_lo
	v_cndmask_b32_e64 v6, 1.0, 0x1f800000, vcc_lo
	s_delay_alu instid0(VALU_DEP_2) | instskip(NEXT) | instid1(VALU_DEP_1)
	v_fma_mix_f32 v7, v4, s3, v7 op_sel_hi:[1,0,0]
	v_exp_f32_e32 v7, v7
	s_waitcnt_depctr 0xfff
	v_fma_f32 v6, v7, v6, 1.0
	s_delay_alu instid0(VALU_DEP_1) | instskip(SKIP_1) | instid1(VALU_DEP_1)
	v_cmp_gt_f32_e32 vcc_lo, 0x800000, v6
	v_cndmask_b32_e64 v7, 1.0, 0x4f800000, vcc_lo
	v_mul_f32_e32 v6, v6, v7
	v_cndmask_b32_e64 v7, 0, 0x42000000, vcc_lo
	v_cmp_lt_f16_e32 vcc_lo, 0x4d00, v4
	s_delay_alu instid0(VALU_DEP_3) | instskip(SKIP_2) | instid1(VALU_DEP_1)
	v_log_f32_e32 v6, v6
	s_waitcnt_depctr 0xfff
	v_sub_f32_e32 v6, v6, v7
	v_mul_f32_e32 v6, 0x3f317218, v6
	s_delay_alu instid0(VALU_DEP_1) | instskip(NEXT) | instid1(VALU_DEP_1)
	v_cndmask_b32_e32 v4, v6, v5, vcc_lo
	v_mul_f32_e32 v5, 0x4f800000, v4
	v_cmp_gt_f32_e32 vcc_lo, 0xf800000, v4
	s_delay_alu instid0(VALU_DEP_2) | instskip(NEXT) | instid1(VALU_DEP_1)
	v_cndmask_b32_e32 v4, v4, v5, vcc_lo
	v_sqrt_f32_e32 v5, v4
	s_waitcnt_depctr 0xfff
	v_add_nc_u32_e32 v6, -1, v5
	v_add_nc_u32_e32 v7, 1, v5
	s_delay_alu instid0(VALU_DEP_2) | instskip(NEXT) | instid1(VALU_DEP_2)
	v_fma_f32 v8, -v6, v5, v4
	v_fma_f32 v9, -v7, v5, v4
	s_delay_alu instid0(VALU_DEP_2) | instskip(NEXT) | instid1(VALU_DEP_1)
	v_cmp_ge_f32_e64 s2, 0, v8
	v_cndmask_b32_e64 v5, v5, v6, s2
	s_delay_alu instid0(VALU_DEP_3) | instskip(NEXT) | instid1(VALU_DEP_1)
	v_cmp_lt_f32_e64 s2, 0, v9
	v_cndmask_b32_e64 v5, v5, v7, s2
	s_delay_alu instid0(VALU_DEP_1) | instskip(NEXT) | instid1(VALU_DEP_1)
	v_mul_f32_e32 v6, 0x37800000, v5
	v_cndmask_b32_e32 v5, v5, v6, vcc_lo
	v_cmp_class_f32_e64 vcc_lo, v4, 0x260
	s_delay_alu instid0(VALU_DEP_2) | instskip(SKIP_1) | instid1(VALU_DEP_2)
	v_cndmask_b32_e32 v4, v5, v4, vcc_lo
	v_cmp_ne_u32_e32 vcc_lo, 1, v14
	v_mov_b32_e32 v40, v4
	s_cbranch_vccnz .LBB163_8
; %bb.7:
	global_load_u16 v5, v1, s[6:7] offset:192
	s_waitcnt vmcnt(0)
	v_cvt_f32_f16_e32 v5, v5
	s_delay_alu instid0(VALU_DEP_1)
	v_add_f32_e32 v40, v4, v5
.LBB163_8:
	global_load_u16 v5, v[12:13], off offset:256
	;; [unrolled: 59-line block ×8, first 2 shown]
	s_waitcnt vmcnt(0)
	v_cvt_f32_f16_e32 v15, v11
	s_delay_alu instid0(VALU_DEP_1) | instskip(NEXT) | instid1(VALU_DEP_1)
	v_mul_f32_e32 v16, 0x3fb8aa3b, v15
	v_cmp_gt_f32_e32 vcc_lo, 0xc2fc0000, v16
	v_cndmask_b32_e64 v17, 0, 0x42800000, vcc_lo
	v_cndmask_b32_e64 v16, 1.0, 0x1f800000, vcc_lo
	s_delay_alu instid0(VALU_DEP_2) | instskip(NEXT) | instid1(VALU_DEP_1)
	v_fma_mix_f32 v17, v11, s3, v17 op_sel_hi:[1,0,0]
	v_exp_f32_e32 v17, v17
	s_waitcnt_depctr 0xfff
	v_fma_f32 v16, v17, v16, 1.0
	s_delay_alu instid0(VALU_DEP_1) | instskip(SKIP_1) | instid1(VALU_DEP_1)
	v_cmp_gt_f32_e32 vcc_lo, 0x800000, v16
	v_cndmask_b32_e64 v17, 1.0, 0x4f800000, vcc_lo
	v_mul_f32_e32 v16, v16, v17
	v_cndmask_b32_e64 v17, 0, 0x42000000, vcc_lo
	v_cmp_lt_f16_e32 vcc_lo, 0x4d00, v11
	s_delay_alu instid0(VALU_DEP_3) | instskip(SKIP_2) | instid1(VALU_DEP_1)
	v_log_f32_e32 v16, v16
	s_waitcnt_depctr 0xfff
	v_sub_f32_e32 v16, v16, v17
	v_mul_f32_e32 v16, 0x3f317218, v16
	s_delay_alu instid0(VALU_DEP_1) | instskip(NEXT) | instid1(VALU_DEP_1)
	v_cndmask_b32_e32 v11, v16, v15, vcc_lo
	v_mul_f32_e32 v15, 0x4f800000, v11
	v_cmp_gt_f32_e32 vcc_lo, 0xf800000, v11
	s_delay_alu instid0(VALU_DEP_2) | instskip(NEXT) | instid1(VALU_DEP_1)
	v_cndmask_b32_e32 v11, v11, v15, vcc_lo
	v_sqrt_f32_e32 v15, v11
	s_waitcnt_depctr 0xfff
	v_add_nc_u32_e32 v17, 1, v15
	v_add_nc_u32_e32 v16, -1, v15
	s_delay_alu instid0(VALU_DEP_2) | instskip(NEXT) | instid1(VALU_DEP_2)
	v_fma_f32 v19, -v17, v15, v11
	v_fma_f32 v18, -v16, v15, v11
	s_delay_alu instid0(VALU_DEP_1) | instskip(NEXT) | instid1(VALU_DEP_1)
	v_cmp_ge_f32_e64 s2, 0, v18
	v_cndmask_b32_e64 v15, v15, v16, s2
	s_delay_alu instid0(VALU_DEP_4) | instskip(NEXT) | instid1(VALU_DEP_1)
	v_cmp_lt_f32_e64 s2, 0, v19
	v_cndmask_b32_e64 v15, v15, v17, s2
	s_delay_alu instid0(VALU_DEP_1) | instskip(NEXT) | instid1(VALU_DEP_1)
	v_mul_f32_e32 v16, 0x37800000, v15
	v_cndmask_b32_e32 v15, v15, v16, vcc_lo
	v_cmp_class_f32_e64 vcc_lo, v11, 0x260
	s_delay_alu instid0(VALU_DEP_2) | instskip(SKIP_1) | instid1(VALU_DEP_2)
	v_cndmask_b32_e32 v11, v15, v11, vcc_lo
	v_cmp_ne_u32_e32 vcc_lo, 1, v14
	v_mov_b32_e32 v47, v11
	s_cbranch_vccnz .LBB163_22
; %bb.21:
	global_load_u16 v15, v1, s[6:7] offset:640
	s_waitcnt vmcnt(0)
	v_cvt_f32_f16_e32 v15, v15
	s_delay_alu instid0(VALU_DEP_1)
	v_add_f32_e32 v47, v11, v15
.LBB163_22:
	global_load_u16 v12, v[12:13], off offset:704
	s_waitcnt vmcnt(0)
	v_cvt_f32_f16_e32 v13, v12
	s_delay_alu instid0(VALU_DEP_1) | instskip(NEXT) | instid1(VALU_DEP_1)
	v_mul_f32_e32 v15, 0x3fb8aa3b, v13
	v_cmp_gt_f32_e32 vcc_lo, 0xc2fc0000, v15
	v_cndmask_b32_e64 v16, 0, 0x42800000, vcc_lo
	v_cndmask_b32_e64 v15, 1.0, 0x1f800000, vcc_lo
	s_delay_alu instid0(VALU_DEP_2) | instskip(NEXT) | instid1(VALU_DEP_1)
	v_fma_mix_f32 v16, v12, s3, v16 op_sel_hi:[1,0,0]
	v_exp_f32_e32 v16, v16
	s_waitcnt_depctr 0xfff
	v_fma_f32 v15, v16, v15, 1.0
	s_delay_alu instid0(VALU_DEP_1) | instskip(SKIP_1) | instid1(VALU_DEP_1)
	v_cmp_gt_f32_e32 vcc_lo, 0x800000, v15
	v_cndmask_b32_e64 v16, 1.0, 0x4f800000, vcc_lo
	v_mul_f32_e32 v15, v15, v16
	v_cndmask_b32_e64 v16, 0, 0x42000000, vcc_lo
	v_cmp_lt_f16_e32 vcc_lo, 0x4d00, v12
	s_delay_alu instid0(VALU_DEP_3) | instskip(SKIP_2) | instid1(VALU_DEP_1)
	v_log_f32_e32 v15, v15
	s_waitcnt_depctr 0xfff
	v_sub_f32_e32 v15, v15, v16
	v_mul_f32_e32 v15, 0x3f317218, v15
	s_delay_alu instid0(VALU_DEP_1) | instskip(NEXT) | instid1(VALU_DEP_1)
	v_cndmask_b32_e32 v12, v15, v13, vcc_lo
	v_mul_f32_e32 v13, 0x4f800000, v12
	v_cmp_gt_f32_e32 vcc_lo, 0xf800000, v12
	s_delay_alu instid0(VALU_DEP_2) | instskip(NEXT) | instid1(VALU_DEP_1)
	v_cndmask_b32_e32 v12, v12, v13, vcc_lo
	v_sqrt_f32_e32 v13, v12
	s_waitcnt_depctr 0xfff
	v_add_nc_u32_e32 v15, -1, v13
	v_add_nc_u32_e32 v16, 1, v13
	s_delay_alu instid0(VALU_DEP_2) | instskip(NEXT) | instid1(VALU_DEP_2)
	v_fma_f32 v17, -v15, v13, v12
	v_fma_f32 v18, -v16, v13, v12
	s_delay_alu instid0(VALU_DEP_2) | instskip(NEXT) | instid1(VALU_DEP_1)
	v_cmp_ge_f32_e64 s2, 0, v17
	v_cndmask_b32_e64 v13, v13, v15, s2
	s_delay_alu instid0(VALU_DEP_3) | instskip(NEXT) | instid1(VALU_DEP_1)
	v_cmp_lt_f32_e64 s2, 0, v18
	v_cndmask_b32_e64 v13, v13, v16, s2
	s_delay_alu instid0(VALU_DEP_1) | instskip(NEXT) | instid1(VALU_DEP_1)
	v_mul_f32_e32 v15, 0x37800000, v13
	v_cndmask_b32_e32 v13, v13, v15, vcc_lo
	v_cmp_class_f32_e64 vcc_lo, v12, 0x260
	s_delay_alu instid0(VALU_DEP_2)
	v_cndmask_b32_e32 v12, v13, v12, vcc_lo
	v_cmp_ne_u32_e32 vcc_lo, 1, v14
	s_cbranch_vccnz .LBB163_24
; %bb.23:
	global_load_u16 v1, v1, s[6:7] offset:704
	s_waitcnt vmcnt(0)
	v_cvt_f32_f16_e32 v1, v1
	s_delay_alu instid0(VALU_DEP_1)
	v_add_f32_e32 v48, v12, v1
	s_branch .LBB163_25
.LBB163_24:
	s_delay_alu instid0(VALU_DEP_2)
	v_mov_b32_e32 v48, v12
.LBB163_25:
	v_dual_mov_b32 v13, v37 :: v_dual_add_nc_u32 v26, 32, v0
	v_dual_mov_b32 v14, v38 :: v_dual_add_nc_u32 v27, 64, v0
	;; [unrolled: 1-line block ×11, first 2 shown]
	v_dual_mov_b32 v24, v48 :: v_dual_mov_b32 v1, v49
	v_mov_b32_e32 v25, v0
	s_mov_b32 s2, exec_lo
	v_cmpx_lt_f32_e32 v37, v38
	s_xor_b32 s2, exec_lo, s2
; %bb.26:
	v_dual_mov_b32 v13, v38 :: v_dual_mov_b32 v14, v37
	v_dual_mov_b32 v15, v39 :: v_dual_mov_b32 v16, v40
	;; [unrolled: 1-line block ×8, first 2 shown]
	v_mov_b32_e32 v26, v0
; %bb.27:
	s_or_b32 exec_lo, exec_lo, s2
	v_dual_mov_b32 v37, v15 :: v_dual_mov_b32 v86, v12
	v_dual_mov_b32 v75, v1 :: v_dual_mov_b32 v146, v12
	;; [unrolled: 1-line block ×36, first 2 shown]
	s_clause 0x8
	scratch_store_b128 off, v[1:4], off
	scratch_store_b128 off, v[5:8], off offset:16
	scratch_store_b128 off, v[9:12], off offset:32
	scratch_store_b128 off, v[1:4], off offset:48
	scratch_store_b128 off, v[5:8], off offset:64
	scratch_store_b128 off, v[9:12], off offset:80
	scratch_store_b128 off, v[1:4], off offset:96
	scratch_store_b128 off, v[5:8], off offset:112
	scratch_store_b128 off, v[9:12], off offset:128
	v_dual_mov_b32 v73, v35 :: v_dual_mov_b32 v72, v34
	v_dual_mov_b32 v71, v33 :: v_dual_mov_b32 v70, v32
	;; [unrolled: 1-line block ×30, first 2 shown]
	v_mov_b32_e32 v159, v25
	s_clause 0x2
	scratch_store_b128 off, v[25:28], off offset:144
	scratch_store_b128 off, v[29:32], off offset:160
	;; [unrolled: 1-line block ×3, first 2 shown]
	s_mov_b32 s2, exec_lo
	v_dual_mov_b32 v182, v36 :: v_dual_mov_b32 v181, v35
	v_dual_mov_b32 v180, v34 :: v_dual_mov_b32 v179, v33
	;; [unrolled: 1-line block ×6, first 2 shown]
	v_cmpx_lt_f32_e32 v38, v15
	s_cbranch_execz .LBB163_29
; %bb.28:
	v_dual_mov_b32 v37, v38 :: v_dual_mov_b32 v182, v36
	v_dual_mov_b32 v173, v27 :: v_dual_mov_b32 v172, v26
	;; [unrolled: 1-line block ×14, first 2 shown]
	v_mov_b32_e32 v125, v2
	v_dual_mov_b32 v159, v171 :: v_dual_mov_b32 v162, v174
	v_dual_mov_b32 v161, v173 :: v_dual_mov_b32 v164, v176
	;; [unrolled: 1-line block ×6, first 2 shown]
	v_mov_b32_e32 v162, v28
	s_clause 0x2
	scratch_store_b128 off, v[123:126], off offset:96
	scratch_store_b128 off, v[127:130], off offset:112
	;; [unrolled: 1-line block ×3, first 2 shown]
	v_dual_mov_b32 v14, v15 :: v_dual_mov_b32 v15, v38
	v_dual_mov_b32 v43, v164 :: v_dual_mov_b32 v44, v165
	;; [unrolled: 1-line block ×7, first 2 shown]
	s_clause 0x2
	scratch_store_b128 off, v[38:41], off offset:144
	scratch_store_b128 off, v[42:45], off offset:160
	;; [unrolled: 1-line block ×3, first 2 shown]
	v_mov_b32_e32 v163, v29
	v_mov_b32_e32 v27, v26
	v_dual_mov_b32 v43, v128 :: v_dual_mov_b32 v44, v129
	v_dual_mov_b32 v47, v132 :: v_dual_mov_b32 v38, v123
	;; [unrolled: 1-line block ×5, first 2 shown]
	v_mov_b32_e32 v41, v126
	v_dual_mov_b32 v147, v159 :: v_dual_mov_b32 v154, v166
	v_mov_b32_e32 v148, v160
	v_mov_b32_e32 v150, v162
	s_clause 0x2
	scratch_store_b128 off, v[38:41], off offset:48
	scratch_store_b128 off, v[42:45], off offset:64
	;; [unrolled: 1-line block ×3, first 2 shown]
	v_dual_mov_b32 v127, v5 :: v_dual_mov_b32 v152, v164
	v_dual_mov_b32 v153, v165 :: v_dual_mov_b32 v152, v30
	;; [unrolled: 1-line block ×7, first 2 shown]
	v_mov_b32_e32 v41, v126
	v_dual_mov_b32 v128, v6 :: v_dual_mov_b32 v99, v147
	v_dual_mov_b32 v105, v153 :: v_dual_mov_b32 v106, v154
	;; [unrolled: 1-line block ×3, first 2 shown]
	v_mov_b32_e32 v105, v31
	v_dual_mov_b32 v103, v151 :: v_dual_mov_b32 v104, v152
	v_dual_mov_b32 v107, v155 :: v_dual_mov_b32 v108, v156
	;; [unrolled: 1-line block ×6, first 2 shown]
	v_mov_b32_e32 v60, v132
	v_dual_mov_b32 v52, v124 :: v_dual_mov_b32 v55, v127
	v_dual_mov_b32 v58, v130 :: v_dual_mov_b32 v61, v133
	v_mov_b32_e32 v57, v7
	v_dual_mov_b32 v53, v125 :: v_dual_mov_b32 v56, v128
	s_clause 0x2
	scratch_store_b128 off, v[38:41], off
	scratch_store_b128 off, v[42:45], off offset:16
	scratch_store_b128 off, v[46:49], off offset:32
	v_dual_mov_b32 v39, v99 :: v_dual_mov_b32 v44, v104
	v_dual_mov_b32 v45, v105 :: v_dual_mov_b32 v50, v110
	;; [unrolled: 1-line block ×6, first 2 shown]
	v_mov_b32_e32 v122, v62
	v_dual_mov_b32 v46, v32 :: v_dual_mov_b32 v111, v51
	v_dual_mov_b32 v121, v61 :: v_dual_mov_b32 v120, v60
	;; [unrolled: 1-line block ×6, first 2 shown]
	v_mov_b32_e32 v118, v8
	v_dual_mov_b32 v98, v50 :: v_dual_mov_b32 v97, v49
	v_dual_mov_b32 v96, v48 :: v_dual_mov_b32 v95, v47
	;; [unrolled: 1-line block ×7, first 2 shown]
	v_mov_b32_e32 v135, v111
	v_dual_mov_b32 v3, v2 :: v_dual_mov_b32 v144, v120
	v_dual_mov_b32 v145, v121 :: v_dual_mov_b32 v142, v118
	;; [unrolled: 1-line block ×5, first 2 shown]
	v_mov_b32_e32 v137, v113
	v_mov_b32_e32 v143, v9
	v_dual_mov_b32 v63, v87 :: v_dual_mov_b32 v70, v94
	v_mov_b32_e32 v64, v88
	v_mov_b32_e32 v66, v90
	v_dual_mov_b32 v68, v92 :: v_dual_mov_b32 v75, v135
	v_dual_mov_b32 v80, v140 :: v_dual_mov_b32 v65, v89
	;; [unrolled: 1-line block ×13, first 2 shown]
.LBB163_29:
	s_or_b32 exec_lo, exec_lo, s2
	v_mov_b32_e32 v1, v16
	s_mov_b32 s2, exec_lo
	v_cmpx_lt_f32_e32 v37, v16
	s_cbranch_execz .LBB163_31
; %bb.30:
	s_clause 0x2
	scratch_load_b128 v[38:41], off, off offset:96
	scratch_load_b128 v[42:45], off, off offset:112
	scratch_load_b128 v[46:49], off, off offset:128
	v_mov_b32_e32 v173, v28
	v_dual_mov_b32 v15, v16 :: v_dual_mov_b32 v16, v37
	v_dual_mov_b32 v1, v37 :: v_dual_mov_b32 v28, v27
	s_waitcnt vmcnt(2)
	v_dual_mov_b32 v124, v39 :: v_dual_mov_b32 v123, v38
	s_waitcnt vmcnt(0)
	v_dual_mov_b32 v134, v49 :: v_dual_mov_b32 v125, v4
	v_dual_mov_b32 v159, v171 :: v_dual_mov_b32 v160, v172
	v_mov_b32_e32 v162, v174
	v_dual_mov_b32 v38, v123 :: v_dual_mov_b32 v39, v124
	v_dual_mov_b32 v161, v173 :: v_dual_mov_b32 v164, v176
	;; [unrolled: 1-line block ×10, first 2 shown]
	v_mov_b32_e32 v126, v41
	s_clause 0x2
	scratch_store_b128 off, v[38:41], off offset:96
	scratch_store_b128 off, v[42:45], off offset:112
	;; [unrolled: 1-line block ×3, first 2 shown]
	v_dual_mov_b32 v43, v164 :: v_dual_mov_b32 v38, v159
	v_dual_mov_b32 v41, v162 :: v_dual_mov_b32 v126, v3
	;; [unrolled: 1-line block ×7, first 2 shown]
	s_clause 0x2
	scratch_store_b128 off, v[38:41], off offset:144
	scratch_store_b128 off, v[42:45], off offset:160
	;; [unrolled: 1-line block ×3, first 2 shown]
	v_dual_mov_b32 v43, v128 :: v_dual_mov_b32 v46, v131
	v_dual_mov_b32 v49, v134 :: v_dual_mov_b32 v38, v123
	;; [unrolled: 1-line block ×5, first 2 shown]
	v_mov_b32_e32 v41, v126
	v_dual_mov_b32 v147, v159 :: v_dual_mov_b32 v152, v164
	v_dual_mov_b32 v148, v160 :: v_dual_mov_b32 v127, v5
	;; [unrolled: 1-line block ×7, first 2 shown]
	s_clause 0x2
	scratch_store_b128 off, v[38:41], off offset:48
	scratch_store_b128 off, v[42:45], off offset:64
	;; [unrolled: 1-line block ×3, first 2 shown]
	v_dual_mov_b32 v38, v123 :: v_dual_mov_b32 v39, v124
	v_dual_mov_b32 v40, v125 :: v_dual_mov_b32 v41, v126
	v_mov_b32_e32 v42, v127
	v_dual_mov_b32 v128, v6 :: v_dual_mov_b32 v99, v147
	v_dual_mov_b32 v106, v154 :: v_dual_mov_b32 v107, v155
	;; [unrolled: 1-line block ×3, first 2 shown]
	v_mov_b32_e32 v52, v124
	v_dual_mov_b32 v100, v148 :: v_dual_mov_b32 v101, v149
	v_dual_mov_b32 v102, v150 :: v_dual_mov_b32 v103, v151
	v_dual_mov_b32 v108, v156 :: v_dual_mov_b32 v109, v157
	v_dual_mov_b32 v61, v133 :: v_dual_mov_b32 v62, v134
	v_dual_mov_b32 v104, v152 :: v_dual_mov_b32 v105, v153
	v_dual_mov_b32 v59, v131 :: v_dual_mov_b32 v60, v132
	v_mov_b32_e32 v105, v31
	v_dual_mov_b32 v57, v129 :: v_dual_mov_b32 v58, v130
	v_dual_mov_b32 v53, v125 :: v_dual_mov_b32 v54, v126
	v_dual_mov_b32 v55, v127 :: v_dual_mov_b32 v56, v128
	v_mov_b32_e32 v57, v7
	s_clause 0x2
	scratch_store_b128 off, v[38:41], off
	scratch_store_b128 off, v[42:45], off offset:16
	scratch_store_b128 off, v[46:49], off offset:32
	v_dual_mov_b32 v39, v99 :: v_dual_mov_b32 v42, v102
	v_dual_mov_b32 v47, v107 :: v_dual_mov_b32 v50, v110
	;; [unrolled: 1-line block ×9, first 2 shown]
	v_mov_b32_e32 v46, v32
	v_dual_mov_b32 v118, v58 :: v_dual_mov_b32 v117, v57
	v_dual_mov_b32 v116, v56 :: v_dual_mov_b32 v115, v55
	;; [unrolled: 1-line block ×3, first 2 shown]
	v_mov_b32_e32 v118, v8
	v_dual_mov_b32 v98, v50 :: v_dual_mov_b32 v95, v47
	v_dual_mov_b32 v97, v49 :: v_dual_mov_b32 v90, v42
	;; [unrolled: 1-line block ×9, first 2 shown]
	v_mov_b32_e32 v89, v41
	v_dual_mov_b32 v143, v9 :: v_dual_mov_b32 v142, v118
	v_dual_mov_b32 v141, v117 :: v_dual_mov_b32 v140, v116
	;; [unrolled: 1-line block ×3, first 2 shown]
	v_mov_b32_e32 v137, v113
	v_dual_mov_b32 v63, v87 :: v_dual_mov_b32 v66, v90
	v_dual_mov_b32 v64, v88 :: v_dual_mov_b32 v75, v135
	;; [unrolled: 1-line block ×13, first 2 shown]
	v_mov_b32_e32 v82, v142
	v_dual_mov_b32 v84, v10 :: v_dual_mov_b32 v85, v11
	v_mov_b32_e32 v86, v12
.LBB163_31:
	s_or_b32 exec_lo, exec_lo, s2
	v_mov_b32_e32 v2, v17
	s_mov_b32 s2, exec_lo
	v_cmpx_lt_f32_e32 v1, v17
	s_cbranch_execz .LBB163_33
; %bb.32:
	s_clause 0x2
	scratch_load_b128 v[37:40], off, off offset:96
	scratch_load_b128 v[41:44], off, off offset:112
	;; [unrolled: 1-line block ×3, first 2 shown]
	v_mov_b32_e32 v174, v29
	v_dual_mov_b32 v2, v1 :: v_dual_mov_b32 v29, v28
	v_mov_b32_e32 v16, v17
	s_waitcnt vmcnt(0)
	v_dual_mov_b32 v74, v48 :: v_dual_mov_b32 v71, v45
	v_dual_mov_b32 v68, v42 :: v_dual_mov_b32 v65, v39
	;; [unrolled: 1-line block ×18, first 2 shown]
	v_mov_b32_e32 v125, v65
	v_mov_b32_e32 v127, v4
	v_dual_mov_b32 v147, v159 :: v_dual_mov_b32 v148, v160
	v_dual_mov_b32 v153, v165 :: v_dual_mov_b32 v156, v168
	;; [unrolled: 1-line block ×3, first 2 shown]
	v_mov_b32_e32 v157, v169
	v_dual_mov_b32 v151, v163 :: v_dual_mov_b32 v154, v166
	v_dual_mov_b32 v149, v161 :: v_dual_mov_b32 v152, v164
	;; [unrolled: 1-line block ×4, first 2 shown]
	v_mov_b32_e32 v38, v124
	v_dual_mov_b32 v152, v30 :: v_dual_mov_b32 v45, v131
	v_dual_mov_b32 v46, v132 :: v_dual_mov_b32 v47, v133
	;; [unrolled: 1-line block ×13, first 2 shown]
	s_clause 0x2
	scratch_store_b128 off, v[37:40], off
	scratch_store_b128 off, v[41:44], off offset:16
	scratch_store_b128 off, v[45:48], off offset:32
	v_dual_mov_b32 v57, v129 :: v_dual_mov_b32 v60, v132
	v_dual_mov_b32 v55, v127 :: v_dual_mov_b32 v58, v130
	v_mov_b32_e32 v61, v133
	v_mov_b32_e32 v57, v7
	v_dual_mov_b32 v39, v99 :: v_dual_mov_b32 v44, v104
	v_dual_mov_b32 v17, v1 :: v_dual_mov_b32 v52, v124
	;; [unrolled: 1-line block ×8, first 2 shown]
	v_mov_b32_e32 v122, v62
	v_dual_mov_b32 v46, v32 :: v_dual_mov_b32 v119, v59
	v_dual_mov_b32 v118, v58 :: v_dual_mov_b32 v111, v51
	;; [unrolled: 1-line block ×6, first 2 shown]
	v_mov_b32_e32 v112, v52
	v_dual_mov_b32 v98, v50 :: v_dual_mov_b32 v97, v49
	v_dual_mov_b32 v96, v48 :: v_dual_mov_b32 v95, v47
	;; [unrolled: 1-line block ×8, first 2 shown]
	v_mov_b32_e32 v135, v111
	v_dual_mov_b32 v145, v121 :: v_dual_mov_b32 v144, v120
	v_dual_mov_b32 v141, v117 :: v_dual_mov_b32 v140, v116
	v_mov_b32_e32 v143, v9
	v_dual_mov_b32 v139, v115 :: v_dual_mov_b32 v138, v114
	v_dual_mov_b32 v137, v113 :: v_dual_mov_b32 v136, v112
	s_clause 0x5
	scratch_store_b128 off, v[63:66], off offset:48
	scratch_store_b128 off, v[67:70], off offset:64
	;; [unrolled: 1-line block ×6, first 2 shown]
	v_dual_mov_b32 v63, v87 :: v_dual_mov_b32 v68, v92
	v_mov_b32_e32 v64, v88
	v_dual_mov_b32 v66, v90 :: v_dual_mov_b32 v75, v135
	v_dual_mov_b32 v78, v138 :: v_dual_mov_b32 v67, v91
	;; [unrolled: 1-line block ×14, first 2 shown]
.LBB163_33:
	s_or_b32 exec_lo, exec_lo, s2
	v_mov_b32_e32 v1, v18
	s_mov_b32 s2, exec_lo
	v_cmpx_lt_f32_e32 v2, v18
	s_cbranch_execz .LBB163_35
; %bb.34:
	s_clause 0x2
	scratch_load_b128 v[37:40], off, off offset:144
	scratch_load_b128 v[41:44], off, off offset:160
	;; [unrolled: 1-line block ×3, first 2 shown]
	s_waitcnt vmcnt(0)
	v_dual_mov_b32 v17, v18 :: v_dual_mov_b32 v170, v48
	v_dual_mov_b32 v169, v47 :: v_dual_mov_b32 v162, v40
	;; [unrolled: 1-line block ×6, first 2 shown]
	s_clause 0x2
	scratch_load_b128 v[37:40], off, off offset:48
	scratch_load_b128 v[41:44], off, off offset:64
	scratch_load_b128 v[45:48], off, off offset:80
	v_dual_mov_b32 v163, v30 :: v_dual_mov_b32 v30, v29
	s_waitcnt vmcnt(0)
	v_mov_b32_e32 v74, v48
	v_dual_mov_b32 v66, v40 :: v_dual_mov_b32 v63, v37
	v_dual_mov_b32 v73, v47 :: v_dual_mov_b32 v64, v38
	;; [unrolled: 1-line block ×5, first 2 shown]
	v_mov_b32_e32 v69, v43
	v_dual_mov_b32 v67, v6 :: v_dual_mov_b32 v148, v160
	v_dual_mov_b32 v134, v74 :: v_dual_mov_b32 v133, v73
	;; [unrolled: 1-line block ×12, first 2 shown]
	v_mov_b32_e32 v128, v5
	v_dual_mov_b32 v152, v29 :: v_dual_mov_b32 v51, v123
	v_dual_mov_b32 v99, v147 :: v_dual_mov_b32 v108, v156
	;; [unrolled: 1-line block ×13, first 2 shown]
	v_mov_b32_e32 v57, v7
	v_dual_mov_b32 v39, v99 :: v_dual_mov_b32 v40, v100
	v_dual_mov_b32 v49, v109 :: v_dual_mov_b32 v50, v110
	s_delay_alu instid0(VALU_DEP_4)
	v_dual_mov_b32 v122, v62 :: v_dual_mov_b32 v121, v61
	v_dual_mov_b32 v43, v103 :: v_dual_mov_b32 v44, v104
	;; [unrolled: 1-line block ×10, first 2 shown]
	v_mov_b32_e32 v46, v32
	v_mov_b32_e32 v118, v8
	v_dual_mov_b32 v98, v50 :: v_dual_mov_b32 v93, v45
	v_dual_mov_b32 v97, v49 :: v_dual_mov_b32 v146, v122
	;; [unrolled: 1-line block ×13, first 2 shown]
	v_mov_b32_e32 v137, v113
	s_clause 0x2
	scratch_store_b128 off, v[63:66], off
	scratch_store_b128 off, v[67:70], off offset:16
	scratch_store_b128 off, v[71:74], off offset:32
	v_dual_mov_b32 v63, v87 :: v_dual_mov_b32 v66, v90
	v_dual_mov_b32 v75, v135 :: v_dual_mov_b32 v78, v138
	;; [unrolled: 1-line block ×15, first 2 shown]
	v_mov_b32_e32 v86, v12
	v_mov_b32_e32 v6, v5
.LBB163_35:
	s_or_b32 exec_lo, exec_lo, s2
	v_mov_b32_e32 v2, v19
	s_mov_b32 s2, exec_lo
	v_cmpx_lt_f32_e32 v1, v19
	s_cbranch_execz .LBB163_37
; %bb.36:
	s_clause 0x2
	scratch_load_b128 v[37:40], off, off
	scratch_load_b128 v[41:44], off, off offset:16
	scratch_load_b128 v[45:48], off, off offset:32
	v_mov_b32_e32 v164, v31
	v_dual_mov_b32 v2, v1 :: v_dual_mov_b32 v31, v30
	v_mov_b32_e32 v18, v19
	s_waitcnt vmcnt(0)
	v_dual_mov_b32 v134, v48 :: v_dual_mov_b32 v133, v47
	v_dual_mov_b32 v130, v44 :: v_dual_mov_b32 v127, v41
	v_dual_mov_b32 v124, v38 :: v_dual_mov_b32 v123, v37
	v_dual_mov_b32 v132, v46 :: v_dual_mov_b32 v129, v43
	v_dual_mov_b32 v131, v45 :: v_dual_mov_b32 v128, v7
	v_dual_mov_b32 v126, v40 :: v_dual_mov_b32 v125, v39
	v_dual_mov_b32 v99, v159 :: v_dual_mov_b32 v100, v160
	v_dual_mov_b32 v101, v161 :: v_dual_mov_b32 v110, v170
	v_dual_mov_b32 v51, v123 :: v_dual_mov_b32 v104, v164
	v_dual_mov_b32 v105, v165 :: v_dual_mov_b32 v56, v128
	v_dual_mov_b32 v57, v129 :: v_dual_mov_b32 v102, v162
	v_dual_mov_b32 v103, v163 :: v_dual_mov_b32 v106, v166
	v_dual_mov_b32 v107, v167 :: v_dual_mov_b32 v108, v168
	v_dual_mov_b32 v109, v169 :: v_dual_mov_b32 v52, v124
	v_dual_mov_b32 v53, v125 :: v_dual_mov_b32 v54, v126
	v_dual_mov_b32 v55, v127 :: v_dual_mov_b32 v58, v130
	v_dual_mov_b32 v59, v131 :: v_dual_mov_b32 v60, v132
	v_mov_b32_e32 v61, v133
	v_mov_b32_e32 v57, v6
	v_mov_b32_e32 v105, v30
	v_dual_mov_b32 v62, v134 :: v_dual_mov_b32 v39, v99
	v_dual_mov_b32 v147, v159 :: v_dual_mov_b32 v148, v160
	s_delay_alu instid0(VALU_DEP_2)
	v_dual_mov_b32 v149, v161 :: v_dual_mov_b32 v122, v62
	v_dual_mov_b32 v120, v60 :: v_dual_mov_b32 v49, v109
	v_mov_b32_e32 v50, v110
	v_dual_mov_b32 v40, v100 :: v_dual_mov_b32 v119, v59
	v_dual_mov_b32 v118, v58 :: v_dual_mov_b32 v115, v55
	;; [unrolled: 1-line block ×6, first 2 shown]
	v_mov_b32_e32 v121, v61
	v_dual_mov_b32 v117, v57 :: v_dual_mov_b32 v116, v56
	v_dual_mov_b32 v113, v53 :: v_dual_mov_b32 v112, v52
	;; [unrolled: 1-line block ×3, first 2 shown]
	v_mov_b32_e32 v46, v32
	v_mov_b32_e32 v118, v8
	v_dual_mov_b32 v98, v50 :: v_dual_mov_b32 v95, v47
	v_dual_mov_b32 v97, v49 :: v_dual_mov_b32 v146, v122
	;; [unrolled: 1-line block ×4, first 2 shown]
	v_mov_b32_e32 v87, v39
	v_dual_mov_b32 v143, v9 :: v_dual_mov_b32 v96, v48
	v_dual_mov_b32 v93, v45 :: v_dual_mov_b32 v88, v40
	;; [unrolled: 1-line block ×8, first 2 shown]
	v_mov_b32_e32 v137, v113
	v_dual_mov_b32 v75, v135 :: v_dual_mov_b32 v78, v138
	v_dual_mov_b32 v63, v87 :: v_dual_mov_b32 v66, v90
	;; [unrolled: 1-line block ×14, first 2 shown]
	v_mov_b32_e32 v74, v36
	v_dual_mov_b32 v84, v10 :: v_dual_mov_b32 v85, v11
	v_dual_mov_b32 v150, v162 :: v_dual_mov_b32 v151, v163
	;; [unrolled: 1-line block ×5, first 2 shown]
	v_mov_b32_e32 v158, v170
	v_mov_b32_e32 v7, v6
.LBB163_37:
	s_or_b32 exec_lo, exec_lo, s2
	v_mov_b32_e32 v1, v20
	s_mov_b32 s2, exec_lo
	v_cmpx_lt_f32_e32 v2, v20
	s_cbranch_execz .LBB163_39
; %bb.38:
	v_mov_b32_e32 v129, v8
	v_mov_b32_e32 v153, v32
	v_dual_mov_b32 v111, v123 :: v_dual_mov_b32 v114, v126
	v_dual_mov_b32 v39, v147 :: v_dual_mov_b32 v40, v148
	;; [unrolled: 1-line block ×10, first 2 shown]
	v_mov_b32_e32 v120, v132
	v_dual_mov_b32 v116, v128 :: v_dual_mov_b32 v121, v133
	v_mov_b32_e32 v46, v31
	v_dual_mov_b32 v119, v131 :: v_dual_mov_b32 v98, v50
	v_dual_mov_b32 v118, v7 :: v_dual_mov_b32 v97, v49
	;; [unrolled: 1-line block ×13, first 2 shown]
	v_mov_b32_e32 v95, v33
	v_dual_mov_b32 v19, v20 :: v_dual_mov_b32 v20, v2
	v_mov_b32_e32 v143, v9
	v_dual_mov_b32 v63, v87 :: v_dual_mov_b32 v68, v92
	v_dual_mov_b32 v64, v88 :: v_dual_mov_b32 v75, v135
	;; [unrolled: 1-line block ×11, first 2 shown]
	v_mov_b32_e32 v70, v94
	v_dual_mov_b32 v66, v90 :: v_dual_mov_b32 v71, v95
	v_dual_mov_b32 v76, v136 :: v_dual_mov_b32 v77, v137
	;; [unrolled: 1-line block ×15, first 2 shown]
	v_mov_b32_e32 v110, v158
	v_dual_mov_b32 v1, v2 :: v_dual_mov_b32 v8, v7
	v_mov_b32_e32 v32, v31
.LBB163_39:
	s_or_b32 exec_lo, exec_lo, s2
	v_mov_b32_e32 v2, v21
	s_mov_b32 s2, exec_lo
	v_cmpx_lt_f32_e32 v1, v21
	s_cbranch_execz .LBB163_41
; %bb.40:
	v_mov_b32_e32 v58, v9
	v_mov_b32_e32 v106, v33
	v_dual_mov_b32 v146, v62 :: v_dual_mov_b32 v143, v59
	v_mov_b32_e32 v87, v99
	s_delay_alu instid0(VALU_DEP_3)
	v_dual_mov_b32 v141, v57 :: v_dual_mov_b32 v94, v106
	v_dual_mov_b32 v95, v107 :: v_dual_mov_b32 v140, v56
	;; [unrolled: 1-line block ×6, first 2 shown]
	v_mov_b32_e32 v95, v32
	v_dual_mov_b32 v143, v8 :: v_dual_mov_b32 v20, v21
	v_dual_mov_b32 v88, v100 :: v_dual_mov_b32 v89, v101
	;; [unrolled: 1-line block ×7, first 2 shown]
	s_delay_alu instid0(VALU_DEP_2)
	v_dual_mov_b32 v75, v135 :: v_dual_mov_b32 v76, v136
	v_dual_mov_b32 v122, v62 :: v_dual_mov_b32 v117, v57
	v_dual_mov_b32 v71, v95 :: v_dual_mov_b32 v72, v96
	v_dual_mov_b32 v73, v97 :: v_dual_mov_b32 v74, v98
	v_dual_mov_b32 v83, v143 :: v_dual_mov_b32 v84, v144
	v_dual_mov_b32 v85, v145 :: v_dual_mov_b32 v86, v146
	v_dual_mov_b32 v114, v54 :: v_dual_mov_b32 v39, v99
	v_dual_mov_b32 v65, v89 :: v_dual_mov_b32 v66, v90
	v_dual_mov_b32 v67, v91 :: v_dual_mov_b32 v68, v92
	v_dual_mov_b32 v69, v93 :: v_dual_mov_b32 v70, v94
	v_dual_mov_b32 v77, v137 :: v_dual_mov_b32 v78, v138
	v_dual_mov_b32 v79, v139 :: v_dual_mov_b32 v80, v140
	v_dual_mov_b32 v81, v141 :: v_dual_mov_b32 v82, v142
	v_dual_mov_b32 v72, v34 :: v_dual_mov_b32 v73, v35
	v_dual_mov_b32 v74, v36 :: v_dual_mov_b32 v85, v11
	v_dual_mov_b32 v84, v10 :: v_dual_mov_b32 v121, v61
	v_dual_mov_b32 v86, v12 :: v_dual_mov_b32 v119, v59
	v_dual_mov_b32 v120, v60 :: v_dual_mov_b32 v115, v55
	v_dual_mov_b32 v118, v58 :: v_dual_mov_b32 v113, v53
	v_dual_mov_b32 v116, v56 :: v_dual_mov_b32 v111, v51
	v_dual_mov_b32 v112, v52 :: v_dual_mov_b32 v41, v101
	v_dual_mov_b32 v40, v100 :: v_dual_mov_b32 v43, v103
	v_dual_mov_b32 v42, v102 :: v_dual_mov_b32 v45, v105
	v_dual_mov_b32 v44, v104 :: v_dual_mov_b32 v47, v107
	v_dual_mov_b32 v46, v106 :: v_dual_mov_b32 v49, v109
	v_mov_b32_e32 v48, v108
	v_dual_mov_b32 v50, v110 :: v_dual_mov_b32 v9, v8
	v_dual_mov_b32 v2, v1 :: v_dual_mov_b32 v33, v32
.LBB163_41:
	s_or_b32 exec_lo, exec_lo, s2
	v_mov_b32_e32 v3, v22
	s_mov_b32 s2, exec_lo
	s_delay_alu instid0(VALU_DEP_2)
	v_cmpx_lt_f32_e32 v2, v22
	s_cbranch_execz .LBB163_43
; %bb.42:
	v_mov_b32_e32 v47, v34
	v_mov_b32_e32 v74, v50
	v_dual_mov_b32 v21, v22 :: v_dual_mov_b32 v72, v48
	v_dual_mov_b32 v72, v33 :: v_dual_mov_b32 v119, v10
	v_dual_mov_b32 v68, v44 :: v_dual_mov_b32 v75, v111
	v_mov_b32_e32 v78, v114
	v_dual_mov_b32 v22, v2 :: v_dual_mov_b32 v73, v49
	v_dual_mov_b32 v81, v117 :: v_dual_mov_b32 v84, v120
	;; [unrolled: 1-line block ×7, first 2 shown]
	v_mov_b32_e32 v69, v45
	v_dual_mov_b32 v67, v43 :: v_dual_mov_b32 v66, v42
	v_dual_mov_b32 v65, v41 :: v_dual_mov_b32 v64, v40
	;; [unrolled: 1-line block ×18, first 2 shown]
	v_mov_b32_e32 v34, v33
.LBB163_43:
	s_or_b32 exec_lo, exec_lo, s2
	v_mov_b32_e32 v1, v23
	s_mov_b32 s2, exec_lo
	v_cmpx_lt_f32_e32 v3, v23
	s_cbranch_execz .LBB163_45
; %bb.44:
	v_dual_mov_b32 v144, v11 :: v_dual_mov_b32 v145, v10
	v_dual_mov_b32 v96, v35 :: v_dual_mov_b32 v97, v34
	v_mov_b32_e32 v146, v12
	v_mov_b32_e32 v22, v23
	v_dual_mov_b32 v23, v3 :: v_dual_mov_b32 v98, v36
	v_dual_mov_b32 v75, v135 :: v_dual_mov_b32 v84, v144
	;; [unrolled: 1-line block ×3, first 2 shown]
	v_mov_b32_e32 v79, v139
	v_dual_mov_b32 v77, v137 :: v_dual_mov_b32 v78, v138
	v_dual_mov_b32 v81, v141 :: v_dual_mov_b32 v80, v140
	;; [unrolled: 1-line block ×10, first 2 shown]
.LBB163_45:
	s_or_b32 exec_lo, exec_lo, s2
	s_delay_alu instid0(VALU_DEP_1)
	v_cmp_lt_f32_e32 vcc_lo, v1, v24
	v_mov_b32_e32 v42, v78
	v_cmp_lt_f32_e64 s2, v13, v14
	v_dual_mov_b32 v40, v76 :: v_dual_mov_b32 v41, v77
	v_dual_cndmask_b32 v12, v24, v1 :: v_dual_mov_b32 v43, v79
	v_dual_cndmask_b32 v23, v23, v24 :: v_dual_cndmask_b32 v50, v86, v85
	s_delay_alu instid0(VALU_DEP_2) | instskip(SKIP_2) | instid1(VALU_DEP_3)
	v_dual_mov_b32 v39, v75 :: v_dual_mov_b32 v24, v12
	v_dual_cndmask_b32 v49, v85, v86 :: v_dual_mov_b32 v44, v80
	v_dual_cndmask_b32 v61, v73, v74 :: v_dual_cndmask_b32 v62, v74, v73
	v_dual_mov_b32 v38, v24 :: v_dual_mov_b32 v35, v21
	v_dual_mov_b32 v37, v23 :: v_dual_mov_b32 v36, v22
	;; [unrolled: 1-line block ×13, first 2 shown]
	s_and_saveexec_b32 s3, s2
	s_delay_alu instid0(SALU_CYCLE_1)
	s_xor_b32 s2, exec_lo, s3
	s_cbranch_execz .LBB163_47
; %bb.46:
	v_dual_mov_b32 v1, v14 :: v_dual_mov_b32 v2, v13
	v_dual_mov_b32 v3, v15 :: v_dual_mov_b32 v4, v16
	v_dual_mov_b32 v5, v17 :: v_dual_mov_b32 v6, v18
	v_dual_mov_b32 v7, v19 :: v_dual_mov_b32 v8, v20
	v_dual_mov_b32 v9, v21 :: v_dual_mov_b32 v10, v22
	v_dual_mov_b32 v11, v23 :: v_dual_mov_b32 v14, v13
	s_delay_alu instid0(VALU_DEP_2) | instskip(NEXT) | instid1(VALU_DEP_2)
	v_dual_mov_b32 v38, v12 :: v_dual_mov_b32 v35, v9
	v_dual_mov_b32 v36, v10 :: v_dual_mov_b32 v37, v11
	;; [unrolled: 1-line block ×16, first 2 shown]
.LBB163_47:
	s_or_b32 exec_lo, exec_lo, s2
	v_dual_mov_b32 v13, v29 :: v_dual_mov_b32 v122, v50
	v_dual_mov_b32 v15, v39 :: v_dual_mov_b32 v16, v40
	;; [unrolled: 1-line block ×30, first 2 shown]
	v_mov_b32_e32 v135, v39
	s_clause 0x2
	scratch_store_b128 off, v[39:42], off offset:48
	scratch_store_b128 off, v[43:46], off offset:64
	;; [unrolled: 1-line block ×3, first 2 shown]
	v_dual_mov_b32 v1, v51 :: v_dual_mov_b32 v4, v54
	v_dual_mov_b32 v11, v61 :: v_dual_mov_b32 v74, v62
	;; [unrolled: 1-line block ×34, first 2 shown]
	v_mov_b32_e32 v159, v51
	s_mov_b32 s2, exec_lo
	v_dual_mov_b32 v73, v61 :: v_dual_mov_b32 v72, v60
	v_mov_b32_e32 v2, v52
	s_clause 0x2
	scratch_store_b128 off, v[51:54], off
	scratch_store_b128 off, v[55:58], off offset:16
	scratch_store_b128 off, v[59:62], off offset:32
	v_dual_mov_b32 v182, v50 :: v_dual_mov_b32 v181, v49
	v_dual_mov_b32 v180, v48 :: v_dual_mov_b32 v179, v47
	;; [unrolled: 1-line block ×6, first 2 shown]
	v_cmpx_lt_f32_e32 v14, v29
	s_cbranch_execz .LBB163_49
; %bb.48:
	v_dual_mov_b32 v170, v62 :: v_dual_mov_b32 v169, v61
	v_dual_mov_b32 v162, v54 :: v_dual_mov_b32 v161, v53
	;; [unrolled: 1-line block ×7, first 2 shown]
	s_clause 0x2
	scratch_store_b128 off, v[159:162], off
	scratch_store_b128 off, v[163:166], off offset:16
	scratch_store_b128 off, v[167:170], off offset:32
	v_dual_mov_b32 v182, v50 :: v_dual_mov_b32 v181, v49
	v_dual_mov_b32 v172, v40 :: v_dual_mov_b32 v171, v39
	;; [unrolled: 1-line block ×8, first 2 shown]
	s_delay_alu instid0(VALU_DEP_3)
	v_dual_mov_b32 v140, v176 :: v_dual_mov_b32 v141, v177
	v_dual_mov_b32 v138, v174 :: v_dual_mov_b32 v139, v175
	v_dual_mov_b32 v144, v180 :: v_dual_mov_b32 v145, v181
	v_mov_b32_e32 v146, v182
	v_dual_mov_b32 v136, v172 :: v_dual_mov_b32 v137, v173
	v_mov_b32_e32 v138, v42
	v_dual_mov_b32 v142, v178 :: v_dual_mov_b32 v143, v179
	v_mov_b32_e32 v53, v52
	v_mov_b32_e32 v139, v43
	;; [unrolled: 1-line block ×3, first 2 shown]
	v_dual_mov_b32 v147, v159 :: v_dual_mov_b32 v148, v160
	v_mov_b32_e32 v151, v163
	v_dual_mov_b32 v149, v161 :: v_dual_mov_b32 v150, v162
	v_dual_mov_b32 v153, v165 :: v_dual_mov_b32 v152, v164
	v_dual_mov_b32 v155, v167 :: v_dual_mov_b32 v156, v168
	v_dual_mov_b32 v151, v55 :: v_dual_mov_b32 v158, v170
	v_dual_mov_b32 v154, v166 :: v_dual_mov_b32 v157, v169
	v_dual_mov_b32 v6, v140 :: v_dual_mov_b32 v9, v143
	v_dual_mov_b32 v10, v144 :: v_dual_mov_b32 v1, v135
	v_dual_mov_b32 v7, v141 :: v_dual_mov_b32 v2, v136
	v_dual_mov_b32 v4, v138 :: v_dual_mov_b32 v123, v147
	v_dual_mov_b32 v124, v148 :: v_dual_mov_b32 v125, v149
	v_dual_mov_b32 v126, v150 :: v_dual_mov_b32 v127, v151
	v_dual_mov_b32 v128, v152 :: v_dual_mov_b32 v129, v153
	v_dual_mov_b32 v132, v156 :: v_dual_mov_b32 v133, v157
	v_dual_mov_b32 v134, v158 :: v_dual_mov_b32 v111, v135
	v_dual_mov_b32 v130, v154 :: v_dual_mov_b32 v131, v155
	v_dual_mov_b32 v128, v56 :: v_dual_mov_b32 v113, v137
	v_mov_b32_e32 v122, v146
	v_dual_mov_b32 v114, v138 :: v_dual_mov_b32 v117, v141
	v_dual_mov_b32 v116, v140 :: v_dual_mov_b32 v119, v143
	;; [unrolled: 1-line block ×14, first 2 shown]
	v_mov_b32_e32 v82, v118
	v_dual_mov_b32 v76, v112 :: v_dual_mov_b32 v81, v117
	v_dual_mov_b32 v80, v116 :: v_dual_mov_b32 v85, v121
	;; [unrolled: 1-line block ×6, first 2 shown]
	v_mov_b32_e32 v81, v45
	v_dual_mov_b32 v65, v89 :: v_dual_mov_b32 v72, v96
	v_mov_b32_e32 v29, v14
	s_delay_alu instid0(VALU_DEP_3)
	v_dual_mov_b32 v110, v86 :: v_dual_mov_b32 v105, v81
	v_dual_mov_b32 v70, v94 :: v_dual_mov_b32 v73, v97
	;; [unrolled: 1-line block ×11, first 2 shown]
	v_mov_b32_e32 v106, v46
	s_clause 0x2
	scratch_store_b128 off, v[1:4], off offset:48
	scratch_store_b128 off, v[5:8], off offset:64
	;; [unrolled: 1-line block ×3, first 2 shown]
	v_dual_mov_b32 v100, v76 :: v_dual_mov_b32 v1, v63
	v_dual_mov_b32 v10, v72 :: v_dual_mov_b32 v3, v65
	;; [unrolled: 1-line block ×16, first 2 shown]
	v_mov_b32_e32 v26, v50
.LBB163_49:
	s_or_b32 exec_lo, exec_lo, s2
	v_mov_b32_e32 v14, v30
	s_mov_b32 s2, exec_lo
	v_cmpx_lt_f32_e32 v13, v30
	s_cbranch_execz .LBB163_51
; %bb.50:
	s_clause 0x2
	scratch_load_b128 v[1:4], off, off
	scratch_load_b128 v[5:8], off, off offset:16
	scratch_load_b128 v[9:12], off, off offset:32
	v_mov_b32_e32 v161, v54
	v_dual_mov_b32 v29, v30 :: v_dual_mov_b32 v30, v13
	v_mov_b32_e32 v54, v53
	s_waitcnt vmcnt(0)
	v_dual_mov_b32 v170, v12 :: v_dual_mov_b32 v169, v11
	v_mov_b32_e32 v162, v4
	v_dual_mov_b32 v162, v53 :: v_dual_mov_b32 v173, v42
	v_dual_mov_b32 v160, v2 :: v_dual_mov_b32 v135, v171
	;; [unrolled: 1-line block ×4, first 2 shown]
	v_mov_b32_e32 v165, v7
	s_delay_alu instid0(VALU_DEP_3)
	v_dual_mov_b32 v1, v159 :: v_dual_mov_b32 v2, v160
	v_dual_mov_b32 v136, v172 :: v_dual_mov_b32 v3, v161
	v_mov_b32_e32 v138, v174
	v_dual_mov_b32 v164, v6 :: v_dual_mov_b32 v163, v5
	s_clause 0x2
	scratch_store_b128 off, v[1:4], off
	scratch_store_b128 off, v[5:8], off offset:16
	scratch_store_b128 off, v[9:12], off offset:32
	v_dual_mov_b32 v137, v173 :: v_dual_mov_b32 v140, v176
	v_dual_mov_b32 v138, v41 :: v_dual_mov_b32 v147, v159
	;; [unrolled: 1-line block ×12, first 2 shown]
	v_mov_b32_e32 v139, v43
	v_dual_mov_b32 v123, v147 :: v_dual_mov_b32 v126, v150
	v_dual_mov_b32 v124, v148 :: v_dual_mov_b32 v111, v135
	v_dual_mov_b32 v112, v136 :: v_dual_mov_b32 v125, v149
	s_delay_alu instid0(VALU_DEP_4)
	v_dual_mov_b32 v128, v152 :: v_dual_mov_b32 v115, v139
	v_dual_mov_b32 v116, v140 :: v_dual_mov_b32 v121, v145
	;; [unrolled: 1-line block ×6, first 2 shown]
	v_mov_b32_e32 v128, v56
	v_dual_mov_b32 v116, v44 :: v_dual_mov_b32 v87, v123
	v_dual_mov_b32 v113, v137 :: v_dual_mov_b32 v114, v138
	;; [unrolled: 1-line block ×17, first 2 shown]
	v_mov_b32_e32 v81, v45
	v_dual_mov_b32 v7, v141 :: v_dual_mov_b32 v8, v142
	v_dual_mov_b32 v9, v143 :: v_dual_mov_b32 v10, v144
	;; [unrolled: 1-line block ×5, first 2 shown]
	v_mov_b32_e32 v64, v88
	v_dual_mov_b32 v110, v86 :: v_dual_mov_b32 v109, v85
	v_dual_mov_b32 v65, v89 :: v_dual_mov_b32 v68, v92
	;; [unrolled: 1-line block ×10, first 2 shown]
	v_mov_b32_e32 v102, v78
	v_dual_mov_b32 v42, v41 :: v_dual_mov_b32 v103, v79
	v_mov_b32_e32 v100, v76
	v_mov_b32_e32 v106, v46
	s_clause 0x2
	scratch_store_b128 off, v[1:4], off offset:48
	scratch_store_b128 off, v[5:8], off offset:64
	;; [unrolled: 1-line block ×3, first 2 shown]
	v_mov_b32_e32 v1, v63
	v_mov_b32_e32 v5, v67
	v_dual_mov_b32 v3, v65 :: v_dual_mov_b32 v12, v74
	v_dual_mov_b32 v15, v99 :: v_dual_mov_b32 v4, v66
	;; [unrolled: 1-line block ×14, first 2 shown]
	v_mov_b32_e32 v24, v48
	v_mov_b32_e32 v26, v50
.LBB163_51:
	s_or_b32 exec_lo, exec_lo, s2
	v_mov_b32_e32 v13, v31
	s_mov_b32 s2, exec_lo
	v_cmpx_lt_f32_e32 v14, v31
	s_cbranch_execz .LBB163_53
; %bb.52:
	s_clause 0x2
	scratch_load_b128 v[1:4], off, off
	scratch_load_b128 v[5:8], off, off offset:16
	scratch_load_b128 v[9:12], off, off offset:32
	v_dual_mov_b32 v30, v31 :: v_dual_mov_b32 v31, v14
	v_dual_mov_b32 v13, v14 :: v_dual_mov_b32 v162, v55
	v_mov_b32_e32 v55, v54
	s_waitcnt vmcnt(2)
	v_dual_mov_b32 v161, v3 :: v_dual_mov_b32 v160, v2
	s_waitcnt vmcnt(0)
	v_dual_mov_b32 v159, v1 :: v_dual_mov_b32 v170, v12
	v_dual_mov_b32 v169, v11 :: v_dual_mov_b32 v168, v10
	;; [unrolled: 1-line block ×8, first 2 shown]
	s_delay_alu instid0(VALU_DEP_4)
	v_dual_mov_b32 v151, v163 :: v_dual_mov_b32 v156, v168
	v_dual_mov_b32 v157, v169 :: v_dual_mov_b32 v136, v172
	;; [unrolled: 1-line block ×8, first 2 shown]
	v_mov_b32_e32 v145, v181
	v_mov_b32_e32 v139, v42
	;; [unrolled: 1-line block ×3, first 2 shown]
	v_dual_mov_b32 v146, v182 :: v_dual_mov_b32 v123, v147
	v_dual_mov_b32 v111, v135 :: v_dual_mov_b32 v112, v136
	;; [unrolled: 1-line block ×3, first 2 shown]
	s_delay_alu instid0(VALU_DEP_4)
	v_dual_mov_b32 v124, v148 :: v_dual_mov_b32 v127, v151
	v_dual_mov_b32 v128, v152 :: v_dual_mov_b32 v131, v155
	;; [unrolled: 1-line block ×9, first 2 shown]
	v_mov_b32_e32 v120, v144
	v_dual_mov_b32 v116, v44 :: v_dual_mov_b32 v87, v123
	v_mov_b32_e32 v114, v138
	v_dual_mov_b32 v98, v134 :: v_dual_mov_b32 v75, v111
	v_dual_mov_b32 v88, v124 :: v_dual_mov_b32 v89, v125
	;; [unrolled: 1-line block ×3, first 2 shown]
	v_mov_b32_e32 v86, v122
	v_dual_mov_b32 v90, v126 :: v_dual_mov_b32 v91, v127
	v_dual_mov_b32 v92, v128 :: v_dual_mov_b32 v93, v129
	;; [unrolled: 1-line block ×8, first 2 shown]
	v_mov_b32_e32 v79, v115
	v_mov_b32_e32 v81, v45
	v_dual_mov_b32 v63, v87 :: v_dual_mov_b32 v66, v90
	v_dual_mov_b32 v64, v88 :: v_dual_mov_b32 v73, v97
	;; [unrolled: 1-line block ×9, first 2 shown]
	v_mov_b32_e32 v108, v84
	v_dual_mov_b32 v106, v46 :: v_dual_mov_b32 v1, v63
	v_dual_mov_b32 v105, v81 :: v_dual_mov_b32 v104, v80
	;; [unrolled: 1-line block ×19, first 2 shown]
	v_mov_b32_e32 v26, v50
	v_mov_b32_e32 v43, v42
	s_clause 0x2
	scratch_store_b128 off, v[171:174], off offset:48
	scratch_store_b128 off, v[175:178], off offset:64
	;; [unrolled: 1-line block ×3, first 2 shown]
.LBB163_53:
	s_or_b32 exec_lo, exec_lo, s2
	v_mov_b32_e32 v14, v32
	s_mov_b32 s2, exec_lo
	v_cmpx_lt_f32_e32 v13, v32
	s_cbranch_execz .LBB163_55
; %bb.54:
	s_clause 0x2
	scratch_load_b128 v[1:4], off, off offset:48
	scratch_load_b128 v[5:8], off, off offset:64
	;; [unrolled: 1-line block ×3, first 2 shown]
	v_dual_mov_b32 v163, v56 :: v_dual_mov_b32 v14, v13
	v_dual_mov_b32 v56, v55 :: v_dual_mov_b32 v31, v32
	s_waitcnt vmcnt(2)
	v_dual_mov_b32 v138, v4 :: v_dual_mov_b32 v137, v3
	s_waitcnt vmcnt(0)
	v_dual_mov_b32 v146, v12 :: v_dual_mov_b32 v145, v11
	v_dual_mov_b32 v136, v2 :: v_dual_mov_b32 v135, v1
	;; [unrolled: 1-line block ×17, first 2 shown]
	v_mov_b32_e32 v120, v144
	v_mov_b32_e32 v116, v43
	v_dual_mov_b32 v87, v123 :: v_dual_mov_b32 v88, v124
	v_dual_mov_b32 v89, v125 :: v_dual_mov_b32 v98, v134
	;; [unrolled: 1-line block ×12, first 2 shown]
	v_mov_b32_e32 v79, v115
	v_mov_b32_e32 v81, v45
	v_dual_mov_b32 v63, v87 :: v_dual_mov_b32 v66, v90
	v_dual_mov_b32 v64, v88 :: v_dual_mov_b32 v73, v97
	;; [unrolled: 1-line block ×8, first 2 shown]
	v_mov_b32_e32 v70, v58
	v_dual_mov_b32 v106, v46 :: v_dual_mov_b32 v65, v89
	v_dual_mov_b32 v68, v92 :: v_dual_mov_b32 v105, v81
	;; [unrolled: 1-line block ×4, first 2 shown]
	v_mov_b32_e32 v100, v76
	v_dual_mov_b32 v32, v13 :: v_dual_mov_b32 v1, v63
	v_dual_mov_b32 v12, v74 :: v_dual_mov_b32 v15, v99
	v_mov_b32_e32 v26, v110
	v_dual_mov_b32 v8, v70 :: v_dual_mov_b32 v9, v71
	v_dual_mov_b32 v10, v72 :: v_dual_mov_b32 v11, v73
	;; [unrolled: 1-line block ×20, first 2 shown]
	v_mov_b32_e32 v44, v43
.LBB163_55:
	s_or_b32 exec_lo, exec_lo, s2
	v_mov_b32_e32 v13, v33
	s_mov_b32 s2, exec_lo
	v_cmpx_lt_f32_e32 v14, v33
	s_cbranch_execz .LBB163_57
; %bb.56:
	v_mov_b32_e32 v140, v45
	v_dual_mov_b32 v152, v57 :: v_dual_mov_b32 v75, v135
	v_dual_mov_b32 v87, v147 :: v_dual_mov_b32 v90, v150
	v_dual_mov_b32 v91, v151 :: v_dual_mov_b32 v86, v146
	s_delay_alu instid0(VALU_DEP_3)
	v_dual_mov_b32 v92, v152 :: v_dual_mov_b32 v93, v153
	v_dual_mov_b32 v76, v136 :: v_dual_mov_b32 v79, v139
	;; [unrolled: 1-line block ×6, first 2 shown]
	v_mov_b32_e32 v93, v56
	v_dual_mov_b32 v84, v144 :: v_dual_mov_b32 v63, v87
	v_dual_mov_b32 v78, v138 :: v_dual_mov_b32 v81, v141
	;; [unrolled: 1-line block ×5, first 2 shown]
	s_delay_alu instid0(VALU_DEP_3) | instskip(SKIP_1) | instid1(VALU_DEP_4)
	v_dual_mov_b32 v110, v86 :: v_dual_mov_b32 v109, v85
	v_dual_mov_b32 v100, v76 :: v_dual_mov_b32 v99, v75
	;; [unrolled: 1-line block ×11, first 2 shown]
	v_mov_b32_e32 v106, v46
	v_dual_mov_b32 v70, v58 :: v_dual_mov_b32 v15, v99
	v_dual_mov_b32 v1, v63 :: v_dual_mov_b32 v24, v108
	;; [unrolled: 1-line block ×3, first 2 shown]
	s_delay_alu instid0(VALU_DEP_3)
	v_dual_mov_b32 v8, v70 :: v_dual_mov_b32 v9, v71
	v_dual_mov_b32 v10, v72 :: v_dual_mov_b32 v11, v73
	;; [unrolled: 1-line block ×26, first 2 shown]
	v_mov_b32_e32 v13, v14
	v_dual_mov_b32 v134, v158 :: v_dual_mov_b32 v45, v44
	v_mov_b32_e32 v57, v56
.LBB163_57:
	s_or_b32 exec_lo, exec_lo, s2
	v_mov_b32_e32 v14, v34
	s_mov_b32 s2, exec_lo
	v_cmpx_lt_f32_e32 v13, v34
	s_cbranch_execz .LBB163_59
; %bb.58:
	v_mov_b32_e32 v129, v58
	v_dual_mov_b32 v63, v123 :: v_dual_mov_b32 v70, v130
	v_dual_mov_b32 v70, v57 :: v_dual_mov_b32 v71, v131
	;; [unrolled: 1-line block ×22, first 2 shown]
	v_mov_b32_e32 v34, v13
	v_dual_mov_b32 v3, v65 :: v_dual_mov_b32 v4, v66
	v_dual_mov_b32 v5, v67 :: v_dual_mov_b32 v6, v68
	;; [unrolled: 1-line block ×20, first 2 shown]
	v_mov_b32_e32 v14, v13
	v_mov_b32_e32 v46, v45
	;; [unrolled: 1-line block ×3, first 2 shown]
.LBB163_59:
	s_or_b32 exec_lo, exec_lo, s2
	v_mov_b32_e32 v13, v35
	s_mov_b32 s2, exec_lo
	v_cmpx_lt_f32_e32 v14, v35
	s_cbranch_execz .LBB163_61
; %bb.60:
	v_mov_b32_e32 v94, v59
	v_dual_mov_b32 v34, v35 :: v_dual_mov_b32 v35, v14
	v_mov_b32_e32 v82, v47
	v_dual_mov_b32 v1, v87 :: v_dual_mov_b32 v2, v88
	v_dual_mov_b32 v10, v96 :: v_dual_mov_b32 v7, v93
	;; [unrolled: 1-line block ×13, first 2 shown]
	v_mov_b32_e32 v5, v91
	v_mov_b32_e32 v9, v58
	v_dual_mov_b32 v12, v62 :: v_dual_mov_b32 v17, v77
	v_dual_mov_b32 v16, v76 :: v_dual_mov_b32 v19, v79
	;; [unrolled: 1-line block ×14, first 2 shown]
	v_mov_b32_e32 v47, v46
	v_mov_b32_e32 v59, v58
	;; [unrolled: 1-line block ×3, first 2 shown]
.LBB163_61:
	s_or_b32 exec_lo, exec_lo, s2
	v_mov_b32_e32 v39, v36
	s_mov_b32 s2, exec_lo
	v_cmpx_lt_f32_e32 v13, v36
	s_cbranch_execz .LBB163_63
; %bb.62:
	v_dual_mov_b32 v71, v60 :: v_dual_mov_b32 v72, v59
	v_dual_mov_b32 v73, v61 :: v_dual_mov_b32 v108, v47
	;; [unrolled: 1-line block ×17, first 2 shown]
	v_mov_b32_e32 v39, v13
.LBB163_63:
	s_or_b32 exec_lo, exec_lo, s2
	s_delay_alu instid0(VALU_DEP_1)
	v_cmp_lt_f32_e32 vcc_lo, v39, v37
	v_dual_mov_b32 v40, v28 :: v_dual_mov_b32 v43, v31
	v_dual_mov_b32 v42, v30 :: v_dual_mov_b32 v45, v33
	v_dual_cndmask_b32 v13, v25, v24 :: v_dual_cndmask_b32 v24, v24, v25
	v_dual_cndmask_b32 v14, v11, v10 :: v_dual_cndmask_b32 v49, v37, v39
	v_dual_cndmask_b32 v10, v10, v11 :: v_dual_mov_b32 v39, v27
	v_dual_cndmask_b32 v48, v36, v37 :: v_dual_mov_b32 v41, v29
	v_dual_mov_b32 v44, v32 :: v_dual_mov_b32 v47, v35
	v_mov_b32_e32 v46, v34
	v_mov_b32_e32 v50, v38
	s_mov_b32 s2, exec_lo
	v_cmpx_lt_f32_e32 v27, v28
	s_cbranch_execz .LBB163_65
; %bb.64:
	v_dual_mov_b32 v28, v40 :: v_dual_mov_b32 v29, v39
	v_dual_mov_b32 v38, v49 :: v_dual_mov_b32 v39, v50
	v_dual_mov_b32 v30, v41 :: v_dual_mov_b32 v31, v42
	v_dual_mov_b32 v32, v43 :: v_dual_mov_b32 v33, v44
	v_dual_mov_b32 v34, v45 :: v_dual_mov_b32 v35, v46
	v_dual_mov_b32 v36, v47 :: v_dual_mov_b32 v37, v48
	v_dual_mov_b32 v25, v1 :: v_dual_mov_b32 v50, v39
	v_mov_b32_e32 v11, v15
	v_swap_b32 v15, v16
	s_delay_alu instid0(VALU_DEP_4)
	v_mov_b32_e32 v48, v37
	v_swap_b32 v1, v2
	v_dual_mov_b32 v49, v38 :: v_dual_mov_b32 v46, v35
	v_dual_mov_b32 v47, v36 :: v_dual_mov_b32 v44, v33
	;; [unrolled: 1-line block ×4, first 2 shown]
	v_mov_b32_e32 v41, v30
	v_dual_mov_b32 v39, v28 :: v_dual_mov_b32 v28, v27
.LBB163_65:
	s_or_b32 exec_lo, exec_lo, s2
	v_mov_b32_e32 v11, v14
	v_dual_mov_b32 v25, v13 :: v_dual_mov_b32 v62, v12
	v_dual_mov_b32 v74, v26 :: v_dual_mov_b32 v63, v15
	v_mov_b32_e32 v86, v26
	v_dual_mov_b32 v72, v24 :: v_dual_mov_b32 v75, v15
	v_dual_mov_b32 v110, v26 :: v_dual_mov_b32 v53, v3
	;; [unrolled: 1-line block ×61, first 2 shown]
	v_mov_b32_e32 v149, v3
	v_mov_b32_e32 v147, v1
	;; [unrolled: 1-line block ×3, first 2 shown]
	s_mov_b32 s2, exec_lo
	v_dual_mov_b32 v85, v25 :: v_dual_mov_b32 v84, v24
	v_dual_mov_b32 v83, v23 :: v_dual_mov_b32 v82, v22
	s_clause 0x2
	scratch_store_b128 off, v[1:4], off
	scratch_store_b128 off, v[5:8], off offset:16
	scratch_store_b128 off, v[9:12], off offset:32
	v_cmpx_lt_f32_e32 v28, v41
	s_cbranch_execz .LBB163_67
; %bb.66:
	v_dual_mov_b32 v158, v12 :: v_dual_mov_b32 v157, v11
	v_dual_mov_b32 v150, v4 :: v_dual_mov_b32 v149, v3
	;; [unrolled: 1-line block ×7, first 2 shown]
	s_clause 0x2
	scratch_store_b128 off, v[147:150], off
	scratch_store_b128 off, v[151:154], off offset:16
	scratch_store_b128 off, v[155:158], off offset:32
	v_dual_mov_b32 v182, v26 :: v_dual_mov_b32 v181, v25
	v_dual_mov_b32 v172, v16 :: v_dual_mov_b32 v171, v15
	;; [unrolled: 1-line block ×8, first 2 shown]
	s_delay_alu instid0(VALU_DEP_4) | instskip(SKIP_1) | instid1(VALU_DEP_4)
	v_dual_mov_b32 v160, v172 :: v_dual_mov_b32 v161, v173
	v_dual_mov_b32 v162, v174 :: v_dual_mov_b32 v163, v175
	;; [unrolled: 1-line block ×4, first 2 shown]
	v_mov_b32_e32 v170, v182
	v_dual_mov_b32 v166, v178 :: v_dual_mov_b32 v167, v179
	v_mov_b32_e32 v162, v18
	v_dual_mov_b32 v40, v41 :: v_dual_mov_b32 v41, v28
	v_mov_b32_e32 v3, v2
	v_mov_b32_e32 v17, v16
	;; [unrolled: 1-line block ×3, first 2 shown]
	v_dual_mov_b32 v137, v149 :: v_dual_mov_b32 v144, v156
	v_dual_mov_b32 v123, v159 :: v_dual_mov_b32 v136, v148
	v_dual_mov_b32 v139, v151 :: v_dual_mov_b32 v124, v160
	v_dual_mov_b32 v127, v163 :: v_dual_mov_b32 v140, v152
	v_dual_mov_b32 v143, v155 :: v_dual_mov_b32 v128, v164
	v_dual_mov_b32 v131, v167 :: v_dual_mov_b32 v132, v168
	v_dual_mov_b32 v139, v5 :: v_dual_mov_b32 v134, v170
	v_dual_mov_b32 v127, v19 :: v_dual_mov_b32 v138, v150
	v_dual_mov_b32 v141, v153 :: v_dual_mov_b32 v142, v154
	v_dual_mov_b32 v145, v157 :: v_dual_mov_b32 v146, v158
	v_dual_mov_b32 v125, v161 :: v_dual_mov_b32 v126, v162
	v_dual_mov_b32 v129, v165 :: v_dual_mov_b32 v130, v166
	v_mov_b32_e32 v133, v169
	v_dual_mov_b32 v111, v135 :: v_dual_mov_b32 v112, v136
	v_dual_mov_b32 v99, v123 :: v_dual_mov_b32 v100, v124
	;; [unrolled: 1-line block ×12, first 2 shown]
	v_mov_b32_e32 v104, v20
	v_dual_mov_b32 v116, v6 :: v_dual_mov_b32 v75, v99
	v_mov_b32_e32 v87, v111
	v_dual_mov_b32 v93, v117 :: v_dual_mov_b32 v78, v102
	s_delay_alu instid0(VALU_DEP_3)
	v_dual_mov_b32 v81, v105 :: v_dual_mov_b32 v92, v116
	v_dual_mov_b32 v90, v114 :: v_dual_mov_b32 v91, v115
	;; [unrolled: 1-line block ×11, first 2 shown]
	v_mov_b32_e32 v51, v87
	v_dual_mov_b32 v63, v75 :: v_dual_mov_b32 v66, v78
	v_dual_mov_b32 v55, v91 :: v_dual_mov_b32 v58, v94
	v_dual_mov_b32 v57, v93 :: v_dual_mov_b32 v60, v96
	v_dual_mov_b32 v59, v95 :: v_dual_mov_b32 v62, v98
	v_dual_mov_b32 v61, v97 :: v_dual_mov_b32 v64, v76
	v_dual_mov_b32 v67, v79 :: v_dual_mov_b32 v70, v82
	v_dual_mov_b32 v69, v81 :: v_dual_mov_b32 v72, v84
	v_dual_mov_b32 v71, v83 :: v_dual_mov_b32 v74, v86
	v_dual_mov_b32 v73, v85 :: v_dual_mov_b32 v58, v8
	v_dual_mov_b32 v11, v28 :: v_dual_mov_b32 v54, v90
	v_dual_mov_b32 v52, v88 :: v_dual_mov_b32 v53, v89
	v_dual_mov_b32 v56, v92 :: v_dual_mov_b32 v65, v77
	v_dual_mov_b32 v68, v80 :: v_dual_mov_b32 v59, v9
	v_mov_b32_e32 v60, v10
	v_dual_mov_b32 v61, v14 :: v_dual_mov_b32 v62, v12
	v_dual_mov_b32 v70, v22 :: v_dual_mov_b32 v71, v23
	v_dual_mov_b32 v72, v24 :: v_dual_mov_b32 v73, v13
	v_mov_b32_e32 v74, v26
.LBB163_67:
	s_or_b32 exec_lo, exec_lo, s2
	v_mov_b32_e32 v1, v42
	v_cmp_lt_f32_e32 vcc_lo, v11, v42
	s_mov_b32 s2, exec_lo
	s_clause 0x2
	scratch_load_b128 v[27:30], off, off
	scratch_load_b128 v[31:34], off, off offset:16
	scratch_load_b128 v[35:38], off, off offset:32
	s_and_b32 s3, s2, vcc_lo
	s_delay_alu instid0(SALU_CYCLE_1)
	s_mov_b32 exec_lo, s3
	s_cbranch_execz .LBB163_69
; %bb.68:
	v_mov_b32_e32 v173, v18
	s_waitcnt vmcnt(2)
	v_mov_b32_e32 v29, v4
	v_dual_mov_b32 v159, v171 :: v_dual_mov_b32 v162, v174
	s_waitcnt vmcnt(0)
	v_dual_mov_b32 v158, v38 :: v_dual_mov_b32 v157, v37
	v_dual_mov_b32 v156, v36 :: v_dual_mov_b32 v147, v27
	v_dual_mov_b32 v160, v172 :: v_dual_mov_b32 v153, v33
	v_dual_mov_b32 v152, v32 :: v_dual_mov_b32 v151, v31
	v_dual_mov_b32 v150, v30 :: v_dual_mov_b32 v149, v29
	v_dual_mov_b32 v148, v28 :: v_dual_mov_b32 v163, v175
	v_mov_b32_e32 v168, v180
	v_dual_mov_b32 v164, v176 :: v_dual_mov_b32 v165, v177
	v_dual_mov_b32 v170, v182 :: v_dual_mov_b32 v155, v35
	;; [unrolled: 1-line block ×4, first 2 shown]
	v_mov_b32_e32 v162, v17
	v_dual_mov_b32 v169, v181 :: v_dual_mov_b32 v150, v3
	v_dual_mov_b32 v123, v159 :: v_dual_mov_b32 v124, v160
	;; [unrolled: 1-line block ×3, first 2 shown]
	s_delay_alu instid0(VALU_DEP_3)
	v_dual_mov_b32 v137, v149 :: v_dual_mov_b32 v138, v150
	v_dual_mov_b32 v139, v151 :: v_dual_mov_b32 v140, v152
	;; [unrolled: 1-line block ×10, first 2 shown]
	v_mov_b32_e32 v127, v19
	v_mov_b32_e32 v139, v5
	v_dual_mov_b32 v99, v123 :: v_dual_mov_b32 v100, v124
	v_dual_mov_b32 v111, v135 :: v_dual_mov_b32 v114, v138
	;; [unrolled: 1-line block ×4, first 2 shown]
	v_mov_b32_e32 v120, v144
	v_dual_mov_b32 v104, v128 :: v_dual_mov_b32 v105, v129
	v_dual_mov_b32 v110, v134 :: v_dual_mov_b32 v115, v139
	v_dual_mov_b32 v118, v142 :: v_dual_mov_b32 v119, v143
	v_dual_mov_b32 v122, v146 :: v_dual_mov_b32 v121, v145
	v_dual_mov_b32 v102, v126 :: v_dual_mov_b32 v101, v125
	v_dual_mov_b32 v106, v130 :: v_dual_mov_b32 v103, v127
	v_dual_mov_b32 v108, v132 :: v_dual_mov_b32 v107, v131
	v_dual_mov_b32 v116, v6 :: v_dual_mov_b32 v109, v133
	v_dual_mov_b32 v104, v20 :: v_dual_mov_b32 v87, v111
	v_dual_mov_b32 v88, v112 :: v_dual_mov_b32 v75, v99
	v_dual_mov_b32 v76, v100 :: v_dual_mov_b32 v93, v117
	v_dual_mov_b32 v94, v118 :: v_dual_mov_b32 v81, v105
	v_dual_mov_b32 v82, v106 :: v_dual_mov_b32 v89, v113
	v_dual_mov_b32 v90, v114 :: v_dual_mov_b32 v91, v115
	v_dual_mov_b32 v92, v116 :: v_dual_mov_b32 v95, v119
	v_dual_mov_b32 v96, v120 :: v_dual_mov_b32 v97, v121
	v_dual_mov_b32 v98, v122 :: v_dual_mov_b32 v77, v101
	v_dual_mov_b32 v78, v102 :: v_dual_mov_b32 v79, v103
	v_dual_mov_b32 v80, v104 :: v_dual_mov_b32 v83, v107
	v_dual_mov_b32 v84, v108 :: v_dual_mov_b32 v85, v109
	v_dual_mov_b32 v86, v110 :: v_dual_mov_b32 v81, v21
	v_dual_mov_b32 v41, v42 :: v_dual_mov_b32 v42, v11
	v_mov_b32_e32 v93, v7
	v_dual_mov_b32 v63, v75 :: v_dual_mov_b32 v68, v80
	v_dual_mov_b32 v64, v76 :: v_dual_mov_b32 v51, v87
	;; [unrolled: 1-line block ×3, first 2 shown]
	s_delay_alu instid0(VALU_DEP_4)
	v_dual_mov_b32 v58, v94 :: v_dual_mov_b32 v57, v93
	v_dual_mov_b32 v60, v96 :: v_dual_mov_b32 v59, v95
	;; [unrolled: 1-line block ×8, first 2 shown]
	v_mov_b32_e32 v60, v10
	v_dual_mov_b32 v52, v88 :: v_dual_mov_b32 v53, v89
	v_dual_mov_b32 v56, v92 :: v_dual_mov_b32 v59, v9
	;; [unrolled: 1-line block ×3, first 2 shown]
	v_mov_b32_e32 v72, v24
	v_dual_mov_b32 v70, v22 :: v_dual_mov_b32 v71, v23
	v_dual_mov_b32 v73, v13 :: v_dual_mov_b32 v74, v26
	;; [unrolled: 1-line block ×3, first 2 shown]
	v_mov_b32_e32 v4, v3
.LBB163_69:
	s_or_b32 exec_lo, exec_lo, s2
	v_mov_b32_e32 v2, v43
	s_mov_b32 s2, exec_lo
	v_cmpx_lt_f32_e32 v1, v43
	s_cbranch_execz .LBB163_71
; %bb.70:
	v_mov_b32_e32 v174, v19
	s_waitcnt vmcnt(2)
	v_dual_mov_b32 v30, v5 :: v_dual_mov_b32 v123, v171
	s_waitcnt vmcnt(0)
	v_dual_mov_b32 v146, v38 :: v_dual_mov_b32 v143, v35
	v_dual_mov_b32 v145, v37 :: v_dual_mov_b32 v142, v34
	s_delay_alu instid0(VALU_DEP_3)
	v_dual_mov_b32 v139, v31 :: v_dual_mov_b32 v138, v30
	v_dual_mov_b32 v135, v27 :: v_dual_mov_b32 v124, v172
	;; [unrolled: 1-line block ×5, first 2 shown]
	v_mov_b32_e32 v127, v18
	v_dual_mov_b32 v134, v182 :: v_dual_mov_b32 v139, v4
	v_dual_mov_b32 v144, v36 :: v_dual_mov_b32 v141, v33
	;; [unrolled: 1-line block ×5, first 2 shown]
	s_delay_alu instid0(VALU_DEP_3)
	v_dual_mov_b32 v111, v135 :: v_dual_mov_b32 v112, v136
	v_dual_mov_b32 v99, v123 :: v_dual_mov_b32 v100, v124
	;; [unrolled: 1-line block ×12, first 2 shown]
	v_mov_b32_e32 v104, v20
	v_dual_mov_b32 v116, v6 :: v_dual_mov_b32 v75, v99
	v_mov_b32_e32 v87, v111
	v_dual_mov_b32 v93, v117 :: v_dual_mov_b32 v78, v102
	s_delay_alu instid0(VALU_DEP_3)
	v_dual_mov_b32 v81, v105 :: v_dual_mov_b32 v92, v116
	v_dual_mov_b32 v80, v104 :: v_dual_mov_b32 v83, v107
	;; [unrolled: 1-line block ×11, first 2 shown]
	v_mov_b32_e32 v63, v75
	s_delay_alu instid0(VALU_DEP_4)
	v_dual_mov_b32 v51, v87 :: v_dual_mov_b32 v52, v88
	v_dual_mov_b32 v71, v83 :: v_dual_mov_b32 v72, v84
	v_dual_mov_b32 v57, v93 :: v_dual_mov_b32 v58, v94
	v_dual_mov_b32 v59, v95 :: v_dual_mov_b32 v60, v96
	v_dual_mov_b32 v61, v97 :: v_dual_mov_b32 v62, v98
	v_dual_mov_b32 v69, v81 :: v_dual_mov_b32 v70, v82
	v_dual_mov_b32 v73, v85 :: v_dual_mov_b32 v74, v86
	v_dual_mov_b32 v72, v24 :: v_dual_mov_b32 v159, v171
	v_dual_mov_b32 v158, v38 :: v_dual_mov_b32 v153, v33
	v_dual_mov_b32 v42, v43 :: v_dual_mov_b32 v43, v1
	v_dual_mov_b32 v53, v89 :: v_dual_mov_b32 v54, v90
	v_dual_mov_b32 v55, v91 :: v_dual_mov_b32 v56, v92
	v_dual_mov_b32 v64, v76 :: v_dual_mov_b32 v65, v77
	v_dual_mov_b32 v66, v78 :: v_dual_mov_b32 v67, v79
	v_mov_b32_e32 v68, v80
	v_dual_mov_b32 v58, v8 :: v_dual_mov_b32 v59, v9
	v_dual_mov_b32 v60, v10 :: v_dual_mov_b32 v71, v23
	v_dual_mov_b32 v61, v14 :: v_dual_mov_b32 v62, v12
	v_dual_mov_b32 v70, v22 :: v_dual_mov_b32 v73, v13
	v_dual_mov_b32 v74, v26 :: v_dual_mov_b32 v161, v173
	v_dual_mov_b32 v160, v172 :: v_dual_mov_b32 v163, v175
	v_dual_mov_b32 v162, v174 :: v_dual_mov_b32 v165, v177
	v_dual_mov_b32 v164, v176 :: v_dual_mov_b32 v167, v179
	v_dual_mov_b32 v166, v178 :: v_dual_mov_b32 v169, v181
	v_dual_mov_b32 v168, v180 :: v_dual_mov_b32 v157, v37
	v_dual_mov_b32 v170, v182 :: v_dual_mov_b32 v155, v35
	v_dual_mov_b32 v156, v36 :: v_dual_mov_b32 v151, v31
	v_dual_mov_b32 v154, v34 :: v_dual_mov_b32 v149, v29
	v_dual_mov_b32 v152, v32 :: v_dual_mov_b32 v147, v27
	v_dual_mov_b32 v150, v30 :: v_dual_mov_b32 v5, v4
	v_dual_mov_b32 v148, v28 :: v_dual_mov_b32 v19, v18
	v_mov_b32_e32 v2, v1
.LBB163_71:
	s_or_b32 exec_lo, exec_lo, s2
	v_mov_b32_e32 v1, v44
	s_mov_b32 s2, exec_lo
	s_delay_alu instid0(VALU_DEP_2)
	v_cmpx_lt_f32_e32 v2, v44
	s_cbranch_execz .LBB163_73
; %bb.72:
	v_mov_b32_e32 v163, v20
	v_mov_b32_e32 v151, v6
	v_dual_mov_b32 v99, v159 :: v_dual_mov_b32 v100, v160
	v_dual_mov_b32 v111, v147 :: v_dual_mov_b32 v112, v148
	v_dual_mov_b32 v113, v149 :: v_dual_mov_b32 v116, v152
	v_dual_mov_b32 v114, v150 :: v_dual_mov_b32 v117, v153
	v_dual_mov_b32 v120, v156 :: v_dual_mov_b32 v105, v165
	v_dual_mov_b32 v110, v170 :: v_dual_mov_b32 v115, v151
	v_dual_mov_b32 v118, v154 :: v_dual_mov_b32 v119, v155
	v_dual_mov_b32 v122, v158 :: v_dual_mov_b32 v121, v157
	v_dual_mov_b32 v102, v162 :: v_dual_mov_b32 v101, v161
	v_dual_mov_b32 v106, v166 :: v_dual_mov_b32 v103, v163
	v_mov_b32_e32 v108, v168
	v_dual_mov_b32 v104, v164 :: v_dual_mov_b32 v107, v167
	v_mov_b32_e32 v116, v5
	v_dual_mov_b32 v109, v169 :: v_dual_mov_b32 v104, v19
	v_dual_mov_b32 v87, v111 :: v_dual_mov_b32 v88, v112
	;; [unrolled: 1-line block ×13, first 2 shown]
	v_mov_b32_e32 v93, v7
	v_dual_mov_b32 v43, v44 :: v_dual_mov_b32 v44, v2
	v_mov_b32_e32 v81, v21
	v_dual_mov_b32 v51, v87 :: v_dual_mov_b32 v56, v92
	v_dual_mov_b32 v52, v88 :: v_dual_mov_b32 v63, v75
	;; [unrolled: 1-line block ×14, first 2 shown]
	v_mov_b32_e32 v136, v148
	v_dual_mov_b32 v54, v90 :: v_dual_mov_b32 v59, v9
	v_dual_mov_b32 v62, v12 :: v_dual_mov_b32 v61, v14
	v_mov_b32_e32 v72, v24
	v_dual_mov_b32 v70, v22 :: v_dual_mov_b32 v71, v23
	v_dual_mov_b32 v73, v13 :: v_dual_mov_b32 v74, v26
	;; [unrolled: 1-line block ×13, first 2 shown]
	v_mov_b32_e32 v6, v5
.LBB163_73:
	s_or_b32 exec_lo, exec_lo, s2
	v_mov_b32_e32 v2, v45
	s_mov_b32 s2, exec_lo
	v_cmpx_lt_f32_e32 v1, v45
	s_cbranch_execz .LBB163_75
; %bb.74:
	v_mov_b32_e32 v140, v7
	v_dual_mov_b32 v128, v21 :: v_dual_mov_b32 v87, v135
	v_mov_b32_e32 v93, v141
	v_mov_b32_e32 v93, v6
	;; [unrolled: 1-line block ×3, first 2 shown]
	v_dual_mov_b32 v92, v140 :: v_dual_mov_b32 v95, v143
	v_dual_mov_b32 v96, v144 :: v_dual_mov_b32 v97, v145
	;; [unrolled: 1-line block ×42, first 2 shown]
	v_mov_b32_e32 v2, v1
.LBB163_75:
	s_or_b32 exec_lo, exec_lo, s2
	v_mov_b32_e32 v1, v46
	s_mov_b32 s2, exec_lo
	s_delay_alu instid0(VALU_DEP_2)
	v_cmpx_lt_f32_e32 v2, v46
	s_cbranch_execz .LBB163_77
; %bb.76:
	v_mov_b32_e32 v117, v8
	v_mov_b32_e32 v45, v46
	;; [unrolled: 1-line block ×4, first 2 shown]
	v_dual_mov_b32 v51, v111 :: v_dual_mov_b32 v54, v114
	v_dual_mov_b32 v56, v116 :: v_dual_mov_b32 v63, v99
	v_dual_mov_b32 v66, v102 :: v_dual_mov_b32 v53, v113
	v_dual_mov_b32 v58, v118 :: v_dual_mov_b32 v55, v115
	v_dual_mov_b32 v60, v120 :: v_dual_mov_b32 v57, v117
	v_dual_mov_b32 v62, v122 :: v_dual_mov_b32 v59, v119
	v_dual_mov_b32 v60, v10 :: v_dual_mov_b32 v61, v121
	v_mov_b32_e32 v58, v7
	v_dual_mov_b32 v67, v103 :: v_dual_mov_b32 v70, v106
	v_dual_mov_b32 v69, v105 :: v_dual_mov_b32 v72, v108
	v_dual_mov_b32 v71, v107 :: v_dual_mov_b32 v74, v110
	v_dual_mov_b32 v73, v109 :: v_dual_mov_b32 v72, v24
	v_dual_mov_b32 v75, v99 :: v_dual_mov_b32 v76, v100
	v_dual_mov_b32 v87, v111 :: v_dual_mov_b32 v88, v112
	v_dual_mov_b32 v52, v112 :: v_dual_mov_b32 v59, v9
	v_dual_mov_b32 v62, v12 :: v_dual_mov_b32 v61, v14
	v_dual_mov_b32 v64, v100 :: v_dual_mov_b32 v65, v101
	v_mov_b32_e32 v68, v104
	v_dual_mov_b32 v70, v21 :: v_dual_mov_b32 v71, v23
	v_dual_mov_b32 v73, v13 :: v_dual_mov_b32 v74, v26
	v_dual_mov_b32 v77, v101 :: v_dual_mov_b32 v78, v102
	v_dual_mov_b32 v79, v103 :: v_dual_mov_b32 v80, v104
	v_dual_mov_b32 v81, v105 :: v_dual_mov_b32 v82, v106
	v_dual_mov_b32 v89, v113 :: v_dual_mov_b32 v90, v114
	v_dual_mov_b32 v91, v115 :: v_dual_mov_b32 v92, v116
	v_dual_mov_b32 v93, v117 :: v_dual_mov_b32 v94, v118
	v_dual_mov_b32 v1, v2 :: v_dual_mov_b32 v22, v21
	v_mov_b32_e32 v8, v7
	v_dual_mov_b32 v83, v107 :: v_dual_mov_b32 v84, v108
	v_dual_mov_b32 v85, v109 :: v_dual_mov_b32 v86, v110
	v_dual_mov_b32 v95, v119 :: v_dual_mov_b32 v96, v120
	v_dual_mov_b32 v97, v121 :: v_dual_mov_b32 v98, v122
.LBB163_77:
	s_or_b32 exec_lo, exec_lo, s2
	v_mov_b32_e32 v2, v47
	s_mov_b32 s2, exec_lo
	v_cmpx_lt_f32_e32 v1, v47
	s_cbranch_execz .LBB163_79
; %bb.78:
	v_dual_mov_b32 v83, v22 :: v_dual_mov_b32 v84, v24
	v_dual_mov_b32 v94, v9 :: v_dual_mov_b32 v95, v8
	;; [unrolled: 1-line block ×4, first 2 shown]
	v_mov_b32_e32 v86, v26
	v_dual_mov_b32 v46, v47 :: v_dual_mov_b32 v47, v1
	v_dual_mov_b32 v98, v12 :: v_dual_mov_b32 v63, v75
	;; [unrolled: 1-line block ×13, first 2 shown]
	v_mov_b32_e32 v62, v98
	v_mov_b32_e32 v2, v1
.LBB163_79:
	s_or_b32 exec_lo, exec_lo, s2
	s_delay_alu instid0(VALU_DEP_1)
	v_cmp_lt_f32_e32 vcc_lo, v2, v48
	v_dual_mov_b32 v1, v39 :: v_dual_mov_b32 v6, v44
	v_dual_mov_b32 v3, v41 :: v_dual_mov_b32 v8, v46
	s_waitcnt vmcnt(0)
	v_dual_cndmask_b32 v37, v72, v71 :: v_dual_mov_b32 v4, v42
	v_dual_cndmask_b32 v71, v71, v72 :: v_dual_cndmask_b32 v38, v60, v59
	v_dual_cndmask_b32 v59, v59, v60 :: v_dual_cndmask_b32 v10, v48, v2
	v_dual_cndmask_b32 v9, v47, v48 :: v_dual_mov_b32 v2, v40
	v_dual_mov_b32 v5, v43 :: v_dual_mov_b32 v12, v50
	v_mov_b32_e32 v7, v45
	v_mov_b32_e32 v11, v49
	s_mov_b32 s2, exec_lo
	v_cmpx_lt_f32_e32 v39, v40
	s_cbranch_execz .LBB163_81
; %bb.80:
	v_dual_mov_b32 v13, v2 :: v_dual_mov_b32 v14, v1
	v_dual_mov_b32 v15, v3 :: v_dual_mov_b32 v16, v4
	;; [unrolled: 1-line block ×6, first 2 shown]
	v_mov_b32_e32 v25, v63
	v_dual_mov_b32 v26, v51 :: v_dual_mov_b32 v1, v13
	v_swap_b32 v63, v64
	v_swap_b32 v51, v52
	v_dual_mov_b32 v2, v14 :: v_dual_mov_b32 v3, v15
	v_dual_mov_b32 v4, v16 :: v_dual_mov_b32 v5, v17
	;; [unrolled: 1-line block ×5, first 2 shown]
	v_mov_b32_e32 v12, v24
	v_mov_b32_e32 v40, v39
.LBB163_81:
	s_or_b32 exec_lo, exec_lo, s2
	v_mov_b32_e32 v60, v38
	v_dual_mov_b32 v72, v37 :: v_dual_mov_b32 v13, v51
	v_dual_mov_b32 v25, v63 :: v_dual_mov_b32 v98, v74
	v_dual_mov_b32 v95, v71 :: v_dual_mov_b32 v110, v74
	v_dual_mov_b32 v107, v71 :: v_dual_mov_b32 v158, v74
	v_dual_mov_b32 v155, v71 :: v_dual_mov_b32 v146, v74
	v_dual_mov_b32 v143, v71 :: v_dual_mov_b32 v86, v62
	v_dual_mov_b32 v81, v57 :: v_dual_mov_b32 v122, v62
	v_dual_mov_b32 v117, v57 :: v_dual_mov_b32 v170, v62
	v_dual_mov_b32 v165, v57 :: v_dual_mov_b32 v134, v62
	v_dual_mov_b32 v129, v57 :: v_dual_mov_b32 v26, v64
	v_dual_mov_b32 v27, v65 :: v_dual_mov_b32 v28, v66
	v_dual_mov_b32 v29, v67 :: v_dual_mov_b32 v30, v68
	v_dual_mov_b32 v31, v69 :: v_dual_mov_b32 v32, v70
	v_dual_mov_b32 v33, v71 :: v_dual_mov_b32 v34, v72
	v_dual_mov_b32 v35, v73 :: v_dual_mov_b32 v36, v74
	v_dual_mov_b32 v97, v73 :: v_dual_mov_b32 v94, v70
	v_dual_mov_b32 v91, v67 :: v_dual_mov_b32 v92, v68
	v_dual_mov_b32 v89, v65 :: v_dual_mov_b32 v90, v66
	v_dual_mov_b32 v87, v63 :: v_dual_mov_b32 v88, v64
	v_dual_mov_b32 v109, v73 :: v_dual_mov_b32 v108, v72
	v_dual_mov_b32 v105, v69 :: v_dual_mov_b32 v106, v70
	v_dual_mov_b32 v103, v67 :: v_dual_mov_b32 v104, v68
	v_dual_mov_b32 v101, v65 :: v_dual_mov_b32 v102, v66
	v_dual_mov_b32 v99, v63 :: v_dual_mov_b32 v100, v64
	v_dual_mov_b32 v157, v73 :: v_dual_mov_b32 v156, v72
	v_dual_mov_b32 v153, v69 :: v_dual_mov_b32 v154, v70
	v_dual_mov_b32 v151, v67 :: v_dual_mov_b32 v152, v68
	v_dual_mov_b32 v149, v65 :: v_dual_mov_b32 v150, v66
	v_dual_mov_b32 v147, v63 :: v_dual_mov_b32 v148, v64
	v_dual_mov_b32 v145, v73 :: v_dual_mov_b32 v144, v72
	v_dual_mov_b32 v141, v69 :: v_dual_mov_b32 v142, v70
	v_dual_mov_b32 v139, v67 :: v_dual_mov_b32 v140, v68
	v_dual_mov_b32 v137, v65 :: v_dual_mov_b32 v138, v66
	v_dual_mov_b32 v135, v63 :: v_dual_mov_b32 v136, v64
	v_dual_mov_b32 v15, v53 :: v_dual_mov_b32 v14, v52
	v_dual_mov_b32 v17, v55 :: v_dual_mov_b32 v16, v54
	v_dual_mov_b32 v19, v57 :: v_dual_mov_b32 v18, v56
	v_dual_mov_b32 v21, v59 :: v_dual_mov_b32 v20, v58
	v_dual_mov_b32 v23, v61 :: v_dual_mov_b32 v22, v60
	v_dual_mov_b32 v85, v61 :: v_dual_mov_b32 v24, v62
	v_dual_mov_b32 v83, v59 :: v_dual_mov_b32 v84, v60
	v_dual_mov_b32 v79, v55 :: v_dual_mov_b32 v82, v58
	v_dual_mov_b32 v77, v53 :: v_dual_mov_b32 v80, v56
	v_dual_mov_b32 v75, v51 :: v_dual_mov_b32 v78, v54
	v_dual_mov_b32 v121, v61 :: v_dual_mov_b32 v76, v52
	v_dual_mov_b32 v119, v59 :: v_dual_mov_b32 v120, v60
	v_dual_mov_b32 v115, v55 :: v_dual_mov_b32 v118, v58
	v_dual_mov_b32 v113, v53 :: v_dual_mov_b32 v116, v56
	v_dual_mov_b32 v111, v51 :: v_dual_mov_b32 v114, v54
	v_dual_mov_b32 v169, v61 :: v_dual_mov_b32 v112, v52
	v_dual_mov_b32 v167, v59 :: v_dual_mov_b32 v168, v60
	v_dual_mov_b32 v163, v55 :: v_dual_mov_b32 v166, v58
	v_dual_mov_b32 v161, v53 :: v_dual_mov_b32 v164, v56
	v_dual_mov_b32 v159, v51 :: v_dual_mov_b32 v162, v54
	v_dual_mov_b32 v133, v61 :: v_dual_mov_b32 v160, v52
	v_dual_mov_b32 v131, v59 :: v_dual_mov_b32 v132, v60
	v_dual_mov_b32 v127, v55 :: v_dual_mov_b32 v130, v58
	v_dual_mov_b32 v125, v53 :: v_dual_mov_b32 v128, v56
	v_dual_mov_b32 v123, v51 :: v_dual_mov_b32 v126, v54
	v_dual_mov_b32 v39, v3 :: v_dual_mov_b32 v124, v52
	s_mov_b32 s2, exec_lo
	v_dual_mov_b32 v96, v72 :: v_dual_mov_b32 v93, v69
	v_cmpx_lt_f32_e32 v40, v3
	s_cbranch_execz .LBB163_83
; %bb.82:
	v_dual_mov_b32 v134, v62 :: v_dual_mov_b32 v133, v61
	v_dual_mov_b32 v124, v52 :: v_dual_mov_b32 v123, v51
	v_mov_b32_e32 v124, v53
	v_dual_mov_b32 v128, v56 :: v_dual_mov_b32 v127, v55
	v_dual_mov_b32 v132, v60 :: v_dual_mov_b32 v131, v59
	;; [unrolled: 1-line block ×11, first 2 shown]
	v_mov_b32_e32 v141, v69
	v_dual_mov_b32 v136, v65 :: v_dual_mov_b32 v137, v64
	v_dual_mov_b32 v160, v124 :: v_dual_mov_b32 v159, v123
	;; [unrolled: 1-line block ×40, first 2 shown]
	v_mov_b32_e32 v22, v84
	v_dual_mov_b32 v22, v38 :: v_dual_mov_b32 v25, v87
	v_dual_mov_b32 v16, v78 :: v_dual_mov_b32 v19, v81
	;; [unrolled: 1-line block ×16, first 2 shown]
	v_mov_b32_e32 v35, v73
	v_dual_mov_b32 v34, v37 :: v_dual_mov_b32 v39, v40
	v_dual_mov_b32 v36, v74 :: v_dual_mov_b32 v65, v64
	v_mov_b32_e32 v53, v52
.LBB163_83:
	s_or_b32 exec_lo, exec_lo, s2
	v_mov_b32_e32 v40, v4
	s_mov_b32 s2, exec_lo
	v_cmpx_lt_f32_e32 v39, v4
	s_cbranch_execz .LBB163_85
; %bb.84:
	v_mov_b32_e32 v137, v66
	v_mov_b32_e32 v125, v54
	;; [unrolled: 1-line block ×4, first 2 shown]
	v_dual_mov_b32 v170, v134 :: v_dual_mov_b32 v169, v133
	v_dual_mov_b32 v168, v132 :: v_dual_mov_b32 v159, v123
	;; [unrolled: 1-line block ×9, first 2 shown]
	v_mov_b32_e32 v157, v145
	v_dual_mov_b32 v155, v143 :: v_dual_mov_b32 v152, v140
	v_mov_b32_e32 v162, v53
	v_mov_b32_e32 v149, v137
	v_dual_mov_b32 v150, v65 :: v_dual_mov_b32 v111, v159
	v_dual_mov_b32 v112, v160 :: v_dual_mov_b32 v99, v147
	;; [unrolled: 1-line block ×13, first 2 shown]
	v_mov_b32_e32 v115, v55
	v_dual_mov_b32 v87, v99 :: v_dual_mov_b32 v88, v100
	v_dual_mov_b32 v75, v111 :: v_dual_mov_b32 v78, v114
	;; [unrolled: 1-line block ×3, first 2 shown]
	s_delay_alu instid0(VALU_DEP_4)
	v_dual_mov_b32 v80, v116 :: v_dual_mov_b32 v79, v115
	v_dual_mov_b32 v82, v118 :: v_dual_mov_b32 v81, v117
	;; [unrolled: 1-line block ×6, first 2 shown]
	v_mov_b32_e32 v96, v108
	v_dual_mov_b32 v92, v104 :: v_dual_mov_b32 v93, v105
	v_dual_mov_b32 v98, v110 :: v_dual_mov_b32 v95, v107
	;; [unrolled: 1-line block ×21, first 2 shown]
	v_mov_b32_e32 v34, v37
	v_dual_mov_b32 v35, v73 :: v_dual_mov_b32 v36, v74
	v_mov_b32_e32 v40, v39
	v_mov_b32_e32 v66, v65
	;; [unrolled: 1-line block ×3, first 2 shown]
.LBB163_85:
	s_or_b32 exec_lo, exec_lo, s2
	v_mov_b32_e32 v39, v5
	s_mov_b32 s2, exec_lo
	v_cmpx_lt_f32_e32 v40, v5
	s_cbranch_execz .LBB163_87
; %bb.86:
	v_mov_b32_e32 v126, v55
	v_mov_b32_e32 v111, v123
	;; [unrolled: 1-line block ×3, first 2 shown]
	v_dual_mov_b32 v115, v54 :: v_dual_mov_b32 v116, v128
	v_dual_mov_b32 v138, v67 :: v_dual_mov_b32 v113, v125
	v_mov_b32_e32 v112, v124
	v_dual_mov_b32 v118, v130 :: v_dual_mov_b32 v119, v131
	v_dual_mov_b32 v120, v132 :: v_dual_mov_b32 v121, v133
	;; [unrolled: 1-line block ×24, first 2 shown]
	v_mov_b32_e32 v22, v84
	v_dual_mov_b32 v22, v38 :: v_dual_mov_b32 v25, v87
	v_dual_mov_b32 v16, v78 :: v_dual_mov_b32 v19, v81
	;; [unrolled: 1-line block ×18, first 2 shown]
	v_mov_b32_e32 v35, v73
	v_dual_mov_b32 v34, v37 :: v_dual_mov_b32 v155, v143
	v_dual_mov_b32 v36, v74 :: v_dual_mov_b32 v157, v145
	;; [unrolled: 1-line block ×12, first 2 shown]
	v_mov_b32_e32 v55, v54
.LBB163_87:
	s_or_b32 exec_lo, exec_lo, s2
	v_mov_b32_e32 v40, v6
	s_mov_b32 s2, exec_lo
	v_cmpx_lt_f32_e32 v39, v6
	s_cbranch_execz .LBB163_89
; %bb.88:
	v_mov_b32_e32 v163, v56
	v_dual_mov_b32 v75, v159 :: v_dual_mov_b32 v80, v164
	v_dual_mov_b32 v80, v55 :: v_dual_mov_b32 v81, v165
	;; [unrolled: 1-line block ×7, first 2 shown]
	v_mov_b32_e32 v85, v169
	v_dual_mov_b32 v89, v149 :: v_dual_mov_b32 v92, v152
	v_dual_mov_b32 v91, v151 :: v_dual_mov_b32 v94, v154
	;; [unrolled: 1-line block ×6, first 2 shown]
	v_mov_b32_e32 v88, v148
	v_mov_b32_e32 v6, v39
	s_delay_alu instid0(VALU_DEP_3) | instskip(NEXT) | instid1(VALU_DEP_3)
	v_dual_mov_b32 v13, v75 :: v_dual_mov_b32 v14, v76
	v_dual_mov_b32 v25, v87 :: v_dual_mov_b32 v26, v88
	v_dual_mov_b32 v19, v81 :: v_dual_mov_b32 v20, v82
	v_dual_mov_b32 v21, v83 :: v_dual_mov_b32 v22, v84
	v_dual_mov_b32 v23, v85 :: v_dual_mov_b32 v24, v86
	v_dual_mov_b32 v31, v93 :: v_dual_mov_b32 v32, v94
	v_dual_mov_b32 v33, v95 :: v_dual_mov_b32 v34, v96
	v_dual_mov_b32 v35, v97 :: v_dual_mov_b32 v36, v98
	v_dual_mov_b32 v99, v147 :: v_dual_mov_b32 v100, v148
	v_dual_mov_b32 v111, v159 :: v_dual_mov_b32 v112, v160
	v_dual_mov_b32 v15, v77 :: v_dual_mov_b32 v16, v78
	v_dual_mov_b32 v17, v79 :: v_dual_mov_b32 v18, v80
	v_dual_mov_b32 v19, v57 :: v_dual_mov_b32 v20, v58
	v_dual_mov_b32 v21, v59 :: v_dual_mov_b32 v22, v38
	v_dual_mov_b32 v23, v61 :: v_dual_mov_b32 v24, v62
	v_dual_mov_b32 v27, v89 :: v_dual_mov_b32 v28, v90
	v_dual_mov_b32 v29, v91 :: v_dual_mov_b32 v30, v92
	v_dual_mov_b32 v31, v69 :: v_dual_mov_b32 v32, v70
	v_dual_mov_b32 v33, v71 :: v_dual_mov_b32 v34, v37
	v_dual_mov_b32 v35, v73 :: v_dual_mov_b32 v36, v74
	v_dual_mov_b32 v101, v149 :: v_dual_mov_b32 v102, v150
	v_dual_mov_b32 v103, v151 :: v_dual_mov_b32 v104, v152
	v_dual_mov_b32 v105, v153 :: v_dual_mov_b32 v106, v154
	v_dual_mov_b32 v107, v155 :: v_dual_mov_b32 v108, v156
	v_dual_mov_b32 v109, v157 :: v_dual_mov_b32 v110, v158
	v_dual_mov_b32 v113, v161 :: v_dual_mov_b32 v114, v162
	v_dual_mov_b32 v115, v163 :: v_dual_mov_b32 v116, v164
	v_dual_mov_b32 v117, v165 :: v_dual_mov_b32 v118, v166
	v_dual_mov_b32 v119, v167 :: v_dual_mov_b32 v120, v168
	v_dual_mov_b32 v121, v169 :: v_dual_mov_b32 v122, v170
	v_mov_b32_e32 v40, v39
	v_mov_b32_e32 v68, v67
	;; [unrolled: 1-line block ×3, first 2 shown]
.LBB163_89:
	s_or_b32 exec_lo, exec_lo, s2
	v_mov_b32_e32 v39, v7
	s_mov_b32 s2, exec_lo
	v_cmpx_lt_f32_e32 v40, v7
	s_cbranch_execz .LBB163_91
; %bb.90:
	v_mov_b32_e32 v116, v57
	v_dual_mov_b32 v6, v7 :: v_dual_mov_b32 v7, v40
	v_dual_mov_b32 v104, v69 :: v_dual_mov_b32 v13, v111
	v_mov_b32_e32 v22, v120
	v_dual_mov_b32 v22, v38 :: v_dual_mov_b32 v25, v99
	v_mov_b32_e32 v34, v108
	v_dual_mov_b32 v34, v37 :: v_dual_mov_b32 v87, v99
	v_dual_mov_b32 v16, v114 :: v_dual_mov_b32 v19, v117
	;; [unrolled: 1-line block ×12, first 2 shown]
	v_mov_b32_e32 v23, v61
	v_dual_mov_b32 v21, v59 :: v_dual_mov_b32 v24, v62
	v_dual_mov_b32 v27, v101 :: v_dual_mov_b32 v26, v100
	;; [unrolled: 1-line block ×3, first 2 shown]
	v_mov_b32_e32 v35, v73
	v_dual_mov_b32 v33, v71 :: v_dual_mov_b32 v36, v74
	v_dual_mov_b32 v89, v101 :: v_dual_mov_b32 v88, v100
	v_dual_mov_b32 v91, v103 :: v_dual_mov_b32 v90, v102
	v_dual_mov_b32 v93, v105 :: v_dual_mov_b32 v92, v104
	v_dual_mov_b32 v95, v107 :: v_dual_mov_b32 v98, v110
	v_dual_mov_b32 v77, v113 :: v_dual_mov_b32 v76, v112
	v_dual_mov_b32 v79, v115 :: v_dual_mov_b32 v78, v114
	v_dual_mov_b32 v81, v117 :: v_dual_mov_b32 v80, v116
	v_dual_mov_b32 v83, v119 :: v_dual_mov_b32 v86, v122
	v_mov_b32_e32 v39, v40
	v_mov_b32_e32 v69, v68
	v_dual_mov_b32 v57, v56 :: v_dual_mov_b32 v94, v106
	v_dual_mov_b32 v97, v109 :: v_dual_mov_b32 v82, v118
	;; [unrolled: 1-line block ×3, first 2 shown]
.LBB163_91:
	s_or_b32 exec_lo, exec_lo, s2
	v_mov_b32_e32 v40, v8
	s_mov_b32 s2, exec_lo
	v_cmpx_lt_f32_e32 v39, v8
	s_cbranch_execz .LBB163_93
; %bb.92:
	v_dual_mov_b32 v81, v58 :: v_dual_mov_b32 v82, v57
	v_dual_mov_b32 v83, v59 :: v_dual_mov_b32 v84, v38
	;; [unrolled: 1-line block ×19, first 2 shown]
	v_mov_b32_e32 v40, v39
.LBB163_93:
	s_or_b32 exec_lo, exec_lo, s2
	s_delay_alu instid0(VALU_DEP_1)
	v_cmp_lt_f32_e32 vcc_lo, v40, v9
	v_dual_mov_b32 v38, v2 :: v_dual_mov_b32 v41, v5
	v_dual_mov_b32 v42, v6 :: v_dual_mov_b32 v47, v11
	v_dual_cndmask_b32 v145, v33, v32 :: v_dual_cndmask_b32 v32, v32, v33
	v_dual_cndmask_b32 v146, v21, v20 :: v_dual_mov_b32 v39, v3
	v_dual_cndmask_b32 v20, v20, v21 :: v_dual_cndmask_b32 v45, v9, v40
	v_dual_cndmask_b32 v44, v8, v9 :: v_dual_mov_b32 v37, v1
	v_dual_mov_b32 v40, v4 :: v_dual_mov_b32 v43, v7
	v_mov_b32_e32 v46, v10
	v_mov_b32_e32 v48, v12
	s_mov_b32 s2, exec_lo
	v_cmpx_lt_f32_e32 v1, v2
	s_cbranch_execz .LBB163_95
; %bb.94:
	v_dual_mov_b32 v49, v38 :: v_dual_mov_b32 v50, v37
	v_dual_mov_b32 v51, v39 :: v_dual_mov_b32 v52, v40
	;; [unrolled: 1-line block ×6, first 2 shown]
	v_mov_b32_e32 v3, v25
	v_mov_b32_e32 v4, v13
	v_dual_mov_b32 v37, v49 :: v_dual_mov_b32 v40, v52
	v_swap_b32 v25, v26
	v_swap_b32 v13, v14
	v_dual_mov_b32 v38, v50 :: v_dual_mov_b32 v39, v51
	v_dual_mov_b32 v41, v53 :: v_dual_mov_b32 v42, v54
	;; [unrolled: 1-line block ×5, first 2 shown]
	v_mov_b32_e32 v2, v1
.LBB163_95:
	s_or_b32 exec_lo, exec_lo, s2
	v_mov_b32_e32 v21, v146
	v_dual_mov_b32 v33, v145 :: v_dual_mov_b32 v60, v24
	v_dual_mov_b32 v72, v36 :: v_dual_mov_b32 v61, v25
	;; [unrolled: 1-line block ×43, first 2 shown]
	v_mov_b32_e32 v97, v13
	v_mov_b32_e32 v1, v39
	s_mov_b32 s2, exec_lo
	v_dual_mov_b32 v95, v35 :: v_dual_mov_b32 v94, v34
	v_dual_mov_b32 v93, v33 :: v_dual_mov_b32 v92, v32
	;; [unrolled: 1-line block ×5, first 2 shown]
	v_cmpx_lt_f32_e32 v2, v39
	s_cbranch_execz .LBB163_97
; %bb.96:
	v_dual_mov_b32 v108, v24 :: v_dual_mov_b32 v107, v23
	v_dual_mov_b32 v98, v14 :: v_dual_mov_b32 v97, v13
	v_mov_b32_e32 v98, v15
	v_dual_mov_b32 v104, v20 :: v_dual_mov_b32 v103, v19
	v_dual_mov_b32 v100, v16 :: v_dual_mov_b32 v99, v15
	;; [unrolled: 1-line block ×26, first 2 shown]
	v_mov_b32_e32 v84, v144
	v_dual_mov_b32 v74, v134 :: v_dual_mov_b32 v77, v137
	v_mov_b32_e32 v75, v135
	v_dual_mov_b32 v38, v39 :: v_dual_mov_b32 v85, v121
	v_dual_mov_b32 v76, v136 :: v_dual_mov_b32 v79, v139
	;; [unrolled: 1-line block ×10, first 2 shown]
	v_mov_b32_e32 v39, v2
	v_dual_mov_b32 v49, v73 :: v_dual_mov_b32 v50, v74
	v_dual_mov_b32 v59, v83 :: v_dual_mov_b32 v60, v84
	;; [unrolled: 1-line block ×18, first 2 shown]
	v_mov_b32_e32 v70, v34
	v_dual_mov_b32 v72, v36 :: v_dual_mov_b32 v1, v2
	v_mov_b32_e32 v27, v26
	v_mov_b32_e32 v15, v14
.LBB163_97:
	s_or_b32 exec_lo, exec_lo, s2
	v_mov_b32_e32 v2, v40
	s_mov_b32 s2, exec_lo
	v_cmpx_lt_f32_e32 v1, v40
	s_cbranch_execz .LBB163_99
; %bb.98:
	v_mov_b32_e32 v99, v16
	v_mov_b32_e32 v144, v108
	;; [unrolled: 1-line block ×3, first 2 shown]
	v_dual_mov_b32 v136, v15 :: v_dual_mov_b32 v111, v28
	v_dual_mov_b32 v142, v106 :: v_dual_mov_b32 v133, v97
	;; [unrolled: 1-line block ×4, first 2 shown]
	v_mov_b32_e32 v135, v99
	v_dual_mov_b32 v125, v113 :: v_dual_mov_b32 v124, v112
	v_mov_b32_e32 v143, v107
	v_dual_mov_b32 v141, v105 :: v_dual_mov_b32 v140, v104
	v_dual_mov_b32 v139, v103 :: v_dual_mov_b32 v138, v102
	;; [unrolled: 1-line block ×18, first 2 shown]
	v_mov_b32_e32 v95, v131
	v_dual_mov_b32 v89, v29 :: v_dual_mov_b32 v88, v124
	v_dual_mov_b32 v49, v73 :: v_dual_mov_b32 v54, v78
	v_mov_b32_e32 v50, v74
	v_dual_mov_b32 v52, v76 :: v_dual_mov_b32 v61, v85
	s_delay_alu instid0(VALU_DEP_4)
	v_dual_mov_b32 v64, v88 :: v_dual_mov_b32 v51, v75
	v_dual_mov_b32 v56, v80 :: v_dual_mov_b32 v53, v77
	v_dual_mov_b32 v58, v82 :: v_dual_mov_b32 v55, v79
	v_dual_mov_b32 v60, v84 :: v_dual_mov_b32 v57, v81
	v_dual_mov_b32 v54, v18 :: v_dual_mov_b32 v59, v83
	v_dual_mov_b32 v56, v20 :: v_dual_mov_b32 v63, v87
	v_dual_mov_b32 v66, v90 :: v_dual_mov_b32 v65, v89
	v_dual_mov_b32 v68, v92 :: v_dual_mov_b32 v67, v91
	v_dual_mov_b32 v70, v94 :: v_dual_mov_b32 v69, v93
	v_dual_mov_b32 v72, v96 :: v_dual_mov_b32 v71, v95
	v_dual_mov_b32 v66, v30 :: v_dual_mov_b32 v39, v40
	v_dual_mov_b32 v40, v1 :: v_dual_mov_b32 v55, v19
	v_mov_b32_e32 v58, v22
	v_dual_mov_b32 v57, v146 :: v_dual_mov_b32 v60, v24
	v_dual_mov_b32 v59, v23 :: v_dual_mov_b32 v62, v86
	;; [unrolled: 1-line block ×5, first 2 shown]
	v_mov_b32_e32 v2, v1
	v_mov_b32_e32 v28, v27
	;; [unrolled: 1-line block ×3, first 2 shown]
.LBB163_99:
	s_or_b32 exec_lo, exec_lo, s2
	v_mov_b32_e32 v1, v41
	s_mov_b32 s2, exec_lo
	v_cmpx_lt_f32_e32 v2, v41
	s_cbranch_execz .LBB163_101
; %bb.100:
	v_mov_b32_e32 v100, v17
	v_mov_b32_e32 v73, v97
	;; [unrolled: 1-line block ×3, first 2 shown]
	v_dual_mov_b32 v77, v16 :: v_dual_mov_b32 v78, v102
	v_dual_mov_b32 v112, v29 :: v_dual_mov_b32 v75, v99
	;; [unrolled: 1-line block ×3, first 2 shown]
	v_mov_b32_e32 v84, v108
	v_dual_mov_b32 v74, v98 :: v_dual_mov_b32 v85, v109
	v_mov_b32_e32 v86, v110
	v_dual_mov_b32 v76, v100 :: v_dual_mov_b32 v79, v103
	v_dual_mov_b32 v80, v104 :: v_dual_mov_b32 v81, v105
	v_dual_mov_b32 v40, v41 :: v_dual_mov_b32 v87, v111
	v_dual_mov_b32 v41, v2 :: v_dual_mov_b32 v88, v112
	v_dual_mov_b32 v89, v113 :: v_dual_mov_b32 v90, v114
	v_dual_mov_b32 v91, v115 :: v_dual_mov_b32 v92, v116
	v_dual_mov_b32 v93, v117 :: v_dual_mov_b32 v94, v118
	v_dual_mov_b32 v95, v119 :: v_dual_mov_b32 v96, v120
	v_mov_b32_e32 v49, v73
	v_dual_mov_b32 v89, v28 :: v_dual_mov_b32 v50, v74
	v_dual_mov_b32 v59, v83 :: v_dual_mov_b32 v60, v84
	;; [unrolled: 1-line block ×32, first 2 shown]
	v_mov_b32_e32 v17, v16
.LBB163_101:
	s_or_b32 exec_lo, exec_lo, s2
	v_mov_b32_e32 v2, v42
	s_mov_b32 s2, exec_lo
	v_cmpx_lt_f32_e32 v1, v42
	s_cbranch_execz .LBB163_103
; %bb.102:
	v_mov_b32_e32 v137, v18
	v_mov_b32_e32 v125, v30
	v_dual_mov_b32 v41, v42 :: v_dual_mov_b32 v42, v1
	v_dual_mov_b32 v49, v133 :: v_dual_mov_b32 v50, v134
	;; [unrolled: 1-line block ×13, first 2 shown]
	v_mov_b32_e32 v66, v29
	v_dual_mov_b32 v85, v121 :: v_dual_mov_b32 v86, v122
	v_dual_mov_b32 v73, v133 :: v_dual_mov_b32 v74, v134
	;; [unrolled: 1-line block ×4, first 2 shown]
	v_mov_b32_e32 v64, v124
	v_dual_mov_b32 v58, v22 :: v_dual_mov_b32 v59, v23
	v_dual_mov_b32 v67, v31 :: v_dual_mov_b32 v68, v32
	;; [unrolled: 1-line block ×8, first 2 shown]
	v_mov_b32_e32 v2, v1
	v_mov_b32_e32 v30, v29
	v_dual_mov_b32 v18, v17 :: v_dual_mov_b32 v91, v127
	v_dual_mov_b32 v92, v128 :: v_dual_mov_b32 v93, v129
	v_dual_mov_b32 v94, v130 :: v_dual_mov_b32 v95, v131
	v_dual_mov_b32 v96, v132 :: v_dual_mov_b32 v79, v139
	v_dual_mov_b32 v80, v140 :: v_dual_mov_b32 v81, v141
	v_dual_mov_b32 v82, v142 :: v_dual_mov_b32 v83, v143
	v_mov_b32_e32 v84, v144
.LBB163_103:
	s_or_b32 exec_lo, exec_lo, s2
	v_mov_b32_e32 v1, v43
	s_mov_b32 s2, exec_lo
	v_cmpx_lt_f32_e32 v2, v43
	s_cbranch_execz .LBB163_105
; %bb.104:
	v_dual_mov_b32 v94, v34 :: v_dual_mov_b32 v95, v35
	v_dual_mov_b32 v78, v19 :: v_dual_mov_b32 v79, v18
	;; [unrolled: 1-line block ×6, first 2 shown]
	v_mov_b32_e32 v96, v36
	v_dual_mov_b32 v42, v43 :: v_dual_mov_b32 v43, v2
	v_dual_mov_b32 v84, v24 :: v_dual_mov_b32 v61, v85
	;; [unrolled: 1-line block ×14, first 2 shown]
.LBB163_105:
	s_or_b32 exec_lo, exec_lo, s2
	s_delay_alu instid0(VALU_DEP_1)
	v_cmp_lt_f32_e32 vcc_lo, v1, v44
	v_dual_mov_b32 v3, v39 :: v_dual_mov_b32 v10, v46
	v_dual_mov_b32 v5, v41 :: v_dual_mov_b32 v12, v48
	v_dual_cndmask_b32 v121, v68, v67 :: v_dual_mov_b32 v2, v38
	v_dual_cndmask_b32 v67, v67, v68 :: v_dual_cndmask_b32 v122, v56, v55
	v_dual_cndmask_b32 v55, v55, v56 :: v_dual_cndmask_b32 v8, v44, v1
	v_dual_cndmask_b32 v7, v43, v44 :: v_dual_mov_b32 v4, v40
	v_dual_mov_b32 v1, v37 :: v_dual_mov_b32 v6, v42
	v_mov_b32_e32 v9, v45
	v_mov_b32_e32 v11, v47
	s_mov_b32 s2, exec_lo
	v_cmpx_lt_f32_e32 v37, v38
	s_cbranch_execz .LBB163_107
; %bb.106:
	v_dual_mov_b32 v13, v2 :: v_dual_mov_b32 v14, v1
	v_dual_mov_b32 v15, v3 :: v_dual_mov_b32 v16, v4
	;; [unrolled: 1-line block ×6, first 2 shown]
	v_mov_b32_e32 v25, v61
	v_mov_b32_e32 v26, v49
	v_dual_mov_b32 v1, v13 :: v_dual_mov_b32 v4, v16
	v_swap_b32 v61, v62
	v_swap_b32 v49, v50
	v_dual_mov_b32 v2, v14 :: v_dual_mov_b32 v3, v15
	v_dual_mov_b32 v5, v17 :: v_dual_mov_b32 v6, v18
	;; [unrolled: 1-line block ×5, first 2 shown]
	v_mov_b32_e32 v38, v37
.LBB163_107:
	s_or_b32 exec_lo, exec_lo, s2
	v_mov_b32_e32 v56, v122
	v_mov_b32_e32 v68, v121
	;; [unrolled: 1-line block ×3, first 2 shown]
	v_dual_mov_b32 v27, v51 :: v_dual_mov_b32 v84, v72
	v_mov_b32_e32 v81, v69
	v_dual_mov_b32 v83, v71 :: v_dual_mov_b32 v96, v60
	v_dual_mov_b32 v91, v55 :: v_dual_mov_b32 v120, v72
	;; [unrolled: 1-line block ×31, first 2 shown]
	v_mov_b32_e32 v24, v60
	s_mov_b32 s2, exec_lo
	v_dual_mov_b32 v118, v70 :: v_dual_mov_b32 v115, v67
	v_dual_mov_b32 v116, v68 :: v_dual_mov_b32 v113, v65
	;; [unrolled: 1-line block ×3, first 2 shown]
	v_cmpx_lt_f32_e32 v38, v3
	s_cbranch_execz .LBB163_109
; %bb.108:
	v_dual_mov_b32 v13, v49 :: v_dual_mov_b32 v14, v50
	v_dual_mov_b32 v23, v59 :: v_dual_mov_b32 v24, v60
	;; [unrolled: 1-line block ×30, first 2 shown]
	v_mov_b32_e32 v112, v64
	v_dual_mov_b32 v34, v94 :: v_dual_mov_b32 v35, v95
	v_dual_mov_b32 v35, v59 :: v_dual_mov_b32 v34, v58
	;; [unrolled: 1-line block ×15, first 2 shown]
	v_mov_b32_e32 v81, v69
	v_dual_mov_b32 v80, v121 :: v_dual_mov_b32 v83, v71
	v_mov_b32_e32 v82, v70
	v_dual_mov_b32 v84, v72 :: v_dual_mov_b32 v37, v38
	v_mov_b32_e32 v63, v62
	v_mov_b32_e32 v51, v50
.LBB163_109:
	s_or_b32 exec_lo, exec_lo, s2
	v_mov_b32_e32 v38, v4
	s_mov_b32 s2, exec_lo
	v_cmpx_lt_f32_e32 v37, v4
	s_cbranch_execz .LBB163_111
; %bb.110:
	v_mov_b32_e32 v15, v52
	v_mov_b32_e32 v96, v24
	;; [unrolled: 1-line block ×3, first 2 shown]
	v_dual_mov_b32 v88, v51 :: v_dual_mov_b32 v99, v64
	v_dual_mov_b32 v94, v22 :: v_dual_mov_b32 v85, v13
	;; [unrolled: 1-line block ×3, first 2 shown]
	v_mov_b32_e32 v95, v23
	v_dual_mov_b32 v93, v21 :: v_dual_mov_b32 v92, v20
	v_dual_mov_b32 v91, v19 :: v_dual_mov_b32 v90, v18
	;; [unrolled: 1-line block ×7, first 2 shown]
	v_mov_b32_e32 v87, v15
	v_dual_mov_b32 v111, v99 :: v_dual_mov_b32 v110, v98
	v_dual_mov_b32 v112, v63 :: v_dual_mov_b32 v25, v85
	;; [unrolled: 1-line block ×3, first 2 shown]
	s_delay_alu instid0(VALU_DEP_3)
	v_dual_mov_b32 v74, v110 :: v_dual_mov_b32 v29, v89
	v_dual_mov_b32 v30, v90 :: v_dual_mov_b32 v31, v91
	;; [unrolled: 1-line block ×8, first 2 shown]
	v_mov_b32_e32 v84, v120
	v_dual_mov_b32 v3, v4 :: v_dual_mov_b32 v4, v37
	v_dual_mov_b32 v27, v87 :: v_dual_mov_b32 v28, v88
	v_dual_mov_b32 v29, v53 :: v_dual_mov_b32 v30, v54
	v_dual_mov_b32 v31, v55 :: v_dual_mov_b32 v32, v122
	v_dual_mov_b32 v33, v57 :: v_dual_mov_b32 v34, v58
	v_dual_mov_b32 v35, v59 :: v_dual_mov_b32 v36, v60
	v_dual_mov_b32 v75, v111 :: v_dual_mov_b32 v76, v112
	v_dual_mov_b32 v77, v65 :: v_dual_mov_b32 v78, v66
	v_dual_mov_b32 v79, v67 :: v_dual_mov_b32 v80, v121
	v_dual_mov_b32 v81, v69 :: v_dual_mov_b32 v82, v70
	v_dual_mov_b32 v83, v71 :: v_dual_mov_b32 v84, v72
	v_mov_b32_e32 v38, v37
	v_mov_b32_e32 v64, v63
	;; [unrolled: 1-line block ×3, first 2 shown]
.LBB163_111:
	s_or_b32 exec_lo, exec_lo, s2
	v_mov_b32_e32 v16, v5
	s_mov_b32 s2, exec_lo
	v_cmpx_lt_f32_e32 v38, v5
	s_cbranch_execz .LBB163_113
; %bb.112:
	v_mov_b32_e32 v100, v65
	v_mov_b32_e32 v16, v53
	v_dual_mov_b32 v4, v5 :: v_dual_mov_b32 v5, v38
	v_dual_mov_b32 v36, v24 :: v_dual_mov_b32 v33, v21
	;; [unrolled: 1-line block ×3, first 2 shown]
	v_mov_b32_e32 v31, v19
	v_dual_mov_b32 v35, v59 :: v_dual_mov_b32 v34, v58
	v_dual_mov_b32 v73, v97 :: v_dual_mov_b32 v32, v20
	;; [unrolled: 1-line block ×8, first 2 shown]
	v_mov_b32_e32 v77, v64
	v_dual_mov_b32 v84, v108 :: v_dual_mov_b32 v79, v67
	v_dual_mov_b32 v120, v108 :: v_dual_mov_b32 v115, v103
	;; [unrolled: 1-line block ×19, first 2 shown]
	v_mov_b32_e32 v88, v16
	v_dual_mov_b32 v86, v14 :: v_dual_mov_b32 v65, v64
	v_dual_mov_b32 v16, v38 :: v_dual_mov_b32 v53, v52
	;; [unrolled: 1-line block ×3, first 2 shown]
.LBB163_113:
	s_or_b32 exec_lo, exec_lo, s2
	v_mov_b32_e32 v13, v6
	s_mov_b32 s2, exec_lo
	v_cmpx_lt_f32_e32 v16, v6
	s_cbranch_execz .LBB163_115
; %bb.114:
	v_dual_mov_b32 v89, v54 :: v_dual_mov_b32 v90, v53
	v_dual_mov_b32 v91, v55 :: v_dual_mov_b32 v92, v122
	;; [unrolled: 1-line block ×21, first 2 shown]
	v_mov_b32_e32 v13, v16
.LBB163_115:
	s_or_b32 exec_lo, exec_lo, s2
	s_delay_alu instid0(VALU_DEP_1)
	v_cmp_lt_f32_e32 vcc_lo, v13, v7
	v_dual_mov_b32 v14, v2 :: v_dual_mov_b32 v17, v5
	v_dual_mov_b32 v16, v4 :: v_dual_mov_b32 v21, v9
	v_dual_cndmask_b32 v37, v79, v78 :: v_dual_cndmask_b32 v78, v78, v79
	v_cndmask_b32_e32 v38, v31, v30, vcc_lo
	v_dual_cndmask_b32 v30, v30, v31 :: v_dual_cndmask_b32 v19, v7, v13
	v_dual_cndmask_b32 v18, v6, v7 :: v_dual_mov_b32 v15, v3
	v_dual_mov_b32 v13, v1 :: v_dual_mov_b32 v20, v8
	v_dual_mov_b32 v23, v11 :: v_dual_mov_b32 v22, v10
	v_mov_b32_e32 v24, v12
	s_mov_b32 s2, exec_lo
	v_cmpx_lt_f32_e32 v1, v2
	s_cbranch_execz .LBB163_117
; %bb.116:
	v_dual_mov_b32 v2, v14 :: v_dual_mov_b32 v3, v13
	v_dual_mov_b32 v12, v23 :: v_dual_mov_b32 v13, v24
	;; [unrolled: 1-line block ×6, first 2 shown]
	v_mov_b32_e32 v24, v13
	v_mov_b32_e32 v31, v73
	v_dual_mov_b32 v39, v25 :: v_dual_mov_b32 v18, v7
	v_swap_b32 v73, v74
	v_swap_b32 v25, v26
	v_dual_mov_b32 v23, v12 :: v_dual_mov_b32 v20, v9
	v_dual_mov_b32 v22, v11 :: v_dual_mov_b32 v21, v10
	;; [unrolled: 1-line block ×4, first 2 shown]
	v_mov_b32_e32 v15, v4
	v_dual_mov_b32 v13, v2 :: v_dual_mov_b32 v2, v1
.LBB163_117:
	s_or_b32 exec_lo, exec_lo, s2
	v_mov_b32_e32 v31, v38
	v_dual_mov_b32 v79, v37 :: v_dual_mov_b32 v50, v36
	v_dual_mov_b32 v51, v73 :: v_dual_mov_b32 v52, v74
	;; [unrolled: 1-line block ×24, first 2 shown]
	v_mov_b32_e32 v85, v25
	v_mov_b32_e32 v1, v15
	s_mov_b32 s2, exec_lo
	v_cmpx_lt_f32_e32 v2, v15
	s_cbranch_execz .LBB163_119
; %bb.118:
	v_dual_mov_b32 v96, v36 :: v_dual_mov_b32 v95, v35
	v_dual_mov_b32 v86, v26 :: v_dual_mov_b32 v85, v25
	;; [unrolled: 1-line block ×8, first 2 shown]
	v_mov_b32_e32 v105, v81
	v_dual_mov_b32 v43, v89 :: v_dual_mov_b32 v44, v90
	v_dual_mov_b32 v100, v76 :: v_dual_mov_b32 v97, v73
	;; [unrolled: 1-line block ×6, first 2 shown]
	v_mov_b32_e32 v98, v74
	v_dual_mov_b32 v98, v75 :: v_dual_mov_b32 v99, v74
	v_dual_mov_b32 v49, v95 :: v_dual_mov_b32 v50, v96
	;; [unrolled: 1-line block ×12, first 2 shown]
	v_mov_b32_e32 v40, v86
	v_dual_mov_b32 v42, v28 :: v_dual_mov_b32 v43, v29
	v_dual_mov_b32 v45, v38 :: v_dual_mov_b32 v46, v32
	;; [unrolled: 1-line block ×9, first 2 shown]
	v_mov_b32_e32 v75, v74
	v_mov_b32_e32 v27, v26
.LBB163_119:
	s_or_b32 exec_lo, exec_lo, s2
	v_mov_b32_e32 v2, v16
	s_mov_b32 s2, exec_lo
	v_cmpx_lt_f32_e32 v1, v16
	s_cbranch_execz .LBB163_121
; %bb.120:
	v_mov_b32_e32 v87, v28
	v_mov_b32_e32 v99, v76
	v_dual_mov_b32 v15, v16 :: v_dual_mov_b32 v16, v1
	v_dual_mov_b32 v39, v85 :: v_dual_mov_b32 v42, v88
	;; [unrolled: 1-line block ×13, first 2 shown]
	v_mov_b32_e32 v56, v78
	v_mov_b32_e32 v40, v86
	v_dual_mov_b32 v42, v27 :: v_dual_mov_b32 v43, v29
	v_dual_mov_b32 v45, v38 :: v_dual_mov_b32 v46, v32
	;; [unrolled: 1-line block ×8, first 2 shown]
	v_mov_b32_e32 v2, v1
	v_mov_b32_e32 v76, v75
	;; [unrolled: 1-line block ×3, first 2 shown]
.LBB163_121:
	s_or_b32 exec_lo, exec_lo, s2
	v_mov_b32_e32 v1, v17
	s_mov_b32 s2, exec_lo
	v_cmpx_lt_f32_e32 v2, v17
	s_cbranch_execz .LBB163_123
; %bb.122:
	v_dual_mov_b32 v106, v82 :: v_dual_mov_b32 v107, v83
	v_dual_mov_b32 v88, v29 :: v_dual_mov_b32 v89, v28
	;; [unrolled: 1-line block ×8, first 2 shown]
	v_mov_b32_e32 v108, v84
	v_dual_mov_b32 v16, v17 :: v_dual_mov_b32 v17, v2
	v_dual_mov_b32 v96, v36 :: v_dual_mov_b32 v51, v97
	;; [unrolled: 1-line block ×14, first 2 shown]
.LBB163_123:
	s_or_b32 exec_lo, exec_lo, s2
	s_delay_alu instid0(VALU_DEP_1)
	v_cmp_lt_f32_e32 vcc_lo, v1, v18
	v_dual_mov_b32 v27, v13 :: v_dual_mov_b32 v34, v20
	v_dual_mov_b32 v29, v15 :: v_dual_mov_b32 v36, v22
	v_dual_cndmask_b32 v63, v56, v55 :: v_dual_cndmask_b32 v32, v18, v1
	v_dual_cndmask_b32 v55, v55, v56 :: v_dual_cndmask_b32 v64, v44, v43
	v_dual_cndmask_b32 v43, v43, v44 :: v_dual_mov_b32 v28, v14
	v_dual_cndmask_b32 v31, v17, v18 :: v_dual_mov_b32 v30, v16
	v_dual_mov_b32 v33, v19 :: v_dual_mov_b32 v38, v24
	v_mov_b32_e32 v35, v21
	v_mov_b32_e32 v37, v23
	s_mov_b32 s2, exec_lo
	v_cmpx_lt_f32_e32 v13, v14
	s_cbranch_execz .LBB163_125
; %bb.124:
	s_delay_alu instid0(VALU_DEP_2)
	v_dual_mov_b32 v11, v37 :: v_dual_mov_b32 v12, v38
	v_dual_mov_b32 v1, v28 :: v_dual_mov_b32 v2, v27
	;; [unrolled: 1-line block ×7, first 2 shown]
	s_delay_alu instid0(VALU_DEP_2)
	v_dual_mov_b32 v16, v39 :: v_dual_mov_b32 v35, v9
	v_swap_b32 v51, v52
	v_swap_b32 v39, v40
	v_dual_mov_b32 v37, v11 :: v_dual_mov_b32 v36, v10
	v_dual_mov_b32 v34, v8 :: v_dual_mov_b32 v33, v7
	;; [unrolled: 1-line block ×5, first 2 shown]
	v_mov_b32_e32 v14, v13
.LBB163_125:
	s_or_b32 exec_lo, exec_lo, s2
	v_mov_b32_e32 v44, v64
	v_mov_b32_e32 v56, v63
	;; [unrolled: 1-line block ×4, first 2 shown]
	v_dual_mov_b32 v15, v51 :: v_dual_mov_b32 v2, v40
	v_dual_mov_b32 v16, v52 :: v_dual_mov_b32 v17, v53
	;; [unrolled: 1-line block ×11, first 2 shown]
	v_mov_b32_e32 v12, v50
	s_mov_b32 s2, exec_lo
	v_cmpx_lt_f32_e32 v14, v29
	s_cbranch_execz .LBB163_127
; %bb.126:
	v_dual_mov_b32 v1, v39 :: v_dual_mov_b32 v2, v40
	v_dual_mov_b32 v11, v49 :: v_dual_mov_b32 v12, v50
	;; [unrolled: 1-line block ×25, first 2 shown]
	v_mov_b32_e32 v41, v40
.LBB163_127:
	s_or_b32 exec_lo, exec_lo, s2
	v_mov_b32_e32 v39, v30
	s_mov_b32 s2, exec_lo
	v_cmpx_lt_f32_e32 v13, v30
	s_cbranch_execz .LBB163_129
; %bb.128:
	v_dual_mov_b32 v29, v30 :: v_dual_mov_b32 v30, v13
	v_dual_mov_b32 v3, v42 :: v_dual_mov_b32 v4, v41
	;; [unrolled: 1-line block ×11, first 2 shown]
	v_mov_b32_e32 v39, v13
.LBB163_129:
	s_or_b32 exec_lo, exec_lo, s2
	s_delay_alu instid0(VALU_DEP_1)
	v_cmp_lt_f32_e32 vcc_lo, v39, v31
	v_dual_mov_b32 v40, v28 :: v_dual_mov_b32 v45, v33
	v_dual_mov_b32 v44, v32 :: v_dual_mov_b32 v47, v35
	v_dual_cndmask_b32 v13, v19, v18 :: v_dual_cndmask_b32 v18, v18, v19
	v_dual_cndmask_b32 v14, v5, v4 :: v_dual_cndmask_b32 v43, v31, v39
	v_dual_cndmask_b32 v4, v4, v5 :: v_dual_mov_b32 v39, v27
	v_dual_cndmask_b32 v42, v30, v31 :: v_dual_mov_b32 v41, v29
	v_dual_mov_b32 v46, v34 :: v_dual_mov_b32 v49, v37
	v_mov_b32_e32 v48, v36
	v_mov_b32_e32 v50, v38
	s_mov_b32 s2, exec_lo
	v_cmpx_lt_f32_e32 v27, v28
	s_cbranch_execz .LBB163_131
; %bb.130:
	v_dual_mov_b32 v28, v40 :: v_dual_mov_b32 v29, v39
	v_dual_mov_b32 v38, v49 :: v_dual_mov_b32 v39, v50
	;; [unrolled: 1-line block ×7, first 2 shown]
	v_mov_b32_e32 v5, v15
	v_swap_b32 v15, v16
	s_delay_alu instid0(VALU_DEP_4)
	v_mov_b32_e32 v48, v37
	v_swap_b32 v1, v2
	v_dual_mov_b32 v49, v38 :: v_dual_mov_b32 v46, v35
	v_dual_mov_b32 v47, v36 :: v_dual_mov_b32 v44, v33
	;; [unrolled: 1-line block ×4, first 2 shown]
	v_mov_b32_e32 v41, v30
	v_dual_mov_b32 v39, v28 :: v_dual_mov_b32 v28, v27
.LBB163_131:
	s_or_b32 exec_lo, exec_lo, s2
	v_mov_b32_e32 v5, v14
	v_mov_b32_e32 v19, v13
	;; [unrolled: 1-line block ×3, first 2 shown]
	s_mov_b32 s2, exec_lo
	v_cmpx_lt_f32_e32 v28, v41
	s_cbranch_execz .LBB163_133
; %bb.132:
	v_dual_mov_b32 v74, v26 :: v_dual_mov_b32 v73, v25
	v_dual_mov_b32 v62, v12 :: v_dual_mov_b32 v61, v11
	;; [unrolled: 1-line block ×22, first 2 shown]
	v_mov_b32_e32 v74, v26
	v_dual_mov_b32 v40, v41 :: v_dual_mov_b32 v41, v28
	v_dual_mov_b32 v62, v12 :: v_dual_mov_b32 v15, v63
	;; [unrolled: 1-line block ×14, first 2 shown]
.LBB163_133:
	s_or_b32 exec_lo, exec_lo, s2
	s_delay_alu instid0(VALU_DEP_1)
	v_cmp_lt_f32_e32 vcc_lo, v27, v42
	v_dual_mov_b32 v29, v24 :: v_dual_mov_b32 v32, v5
	v_dual_mov_b32 v31, v26 :: v_dual_mov_b32 v34, v7
	v_dual_cndmask_b32 v13, v18, v17 :: v_dual_cndmask_b32 v14, v4, v3
	v_cndmask_b32_e32 v51, v17, v18, vcc_lo
	v_dual_cndmask_b32 v59, v3, v4 :: v_dual_cndmask_b32 v60, v41, v42
	v_dual_cndmask_b32 v3, v42, v27 :: v_dual_mov_b32 v18, v21
	v_cmp_lt_f32_e32 vcc_lo, v39, v40
	v_dual_mov_b32 v4, v19 :: v_dual_mov_b32 v17, v20
	v_dual_mov_b32 v28, v23 :: v_dual_mov_b32 v27, v22
	;; [unrolled: 1-line block ×7, first 2 shown]
	v_mov_b32_e32 v58, v50
	v_dual_mov_b32 v52, v44 :: v_dual_mov_b32 v53, v45
	v_dual_mov_b32 v55, v47 :: v_dual_mov_b32 v56, v48
	v_mov_b32_e32 v57, v49
	s_and_saveexec_b32 s2, vcc_lo
	s_cbranch_execz .LBB163_135
; %bb.134:
	v_dual_mov_b32 v42, v40 :: v_dual_mov_b32 v27, v22
	v_dual_mov_b32 v4, v15 :: v_dual_mov_b32 v17, v20
	;; [unrolled: 1-line block ×3, first 2 shown]
	v_swap_b32 v15, v16
	v_swap_b32 v1, v2
	v_dual_mov_b32 v40, v39 :: v_dual_mov_b32 v29, v24
	v_dual_mov_b32 v4, v19 :: v_dual_mov_b32 v31, v26
	;; [unrolled: 1-line block ×10, first 2 shown]
	v_mov_b32_e32 v52, v44
	v_mov_b32_e32 v54, v46
	;; [unrolled: 1-line block ×4, first 2 shown]
.LBB163_135:
	s_or_b32 exec_lo, exec_lo, s2
	s_clause 0x1
	s_load_b32 s8, s[0:1], 0x28
	s_load_b128 s[4:7], s[0:1], 0x10
	v_mov_b32_e32 v6, 0
	s_waitcnt lgkmcnt(0)
	s_cmp_lt_i32 s8, 1
	s_cbranch_scc1 .LBB163_141
; %bb.136:
	v_cmp_lt_f32_e32 vcc_lo, v40, v60
	v_mov_b32_e32 v7, 0
	s_mov_b32 s9, 0x76543210
	s_mov_b32 s10, s8
	v_mov_b32_e32 v6, 0
	v_cndmask_b32_e32 v8, v60, v40, vcc_lo
	v_cndmask_b32_e32 v19, v61, v60, vcc_lo
	v_dual_cndmask_b32 v5, v59, v2 :: v_dual_cndmask_b32 v2, v2, v59
	v_dual_cndmask_b32 v9, v51, v16 :: v_dual_cndmask_b32 v20, v16, v51
	s_delay_alu instid0(VALU_DEP_3) | instskip(NEXT) | instid1(VALU_DEP_1)
	v_cmp_lt_f32_e64 s2, v39, v19
	v_cndmask_b32_e64 v10, v2, v1, s2
	v_cndmask_b32_e64 v11, v1, v2, s2
	;; [unrolled: 1-line block ×6, first 2 shown]
	v_dual_mov_b32 v20, v0 :: v_dual_mov_b32 v1, 0
	v_mov_b32_e32 v2, 0
.LBB163_137:                            ; =>This Inner Loop Header: Depth=1
	v_cmp_eq_u32_e32 vcc_lo, 1, v7
	v_cmp_eq_u32_e64 s2, 2, v7
	v_dual_cndmask_b32 v21, v16, v12 :: v_dual_cndmask_b32 v22, v11, v10
	s_delay_alu instid0(VALU_DEP_1) | instskip(NEXT) | instid1(VALU_DEP_2)
	v_cndmask_b32_e64 v21, v21, v8, s2
	v_cndmask_b32_e64 v22, v22, v5, s2
	v_cndmask_b32_e32 v23, v15, v19, vcc_lo
	v_cmp_eq_u32_e32 vcc_lo, 3, v7
	s_delay_alu instid0(VALU_DEP_3) | instskip(NEXT) | instid1(VALU_DEP_3)
	v_cndmask_b32_e32 v22, v22, v14, vcc_lo
	v_cndmask_b32_e64 v23, v23, v9, s2
	v_cmp_eq_u32_e64 s2, 4, v7
	s_delay_alu instid0(VALU_DEP_2) | instskip(NEXT) | instid1(VALU_DEP_2)
	v_cndmask_b32_e32 v23, v23, v13, vcc_lo
	v_cndmask_b32_e64 v22, v22, v32, s2
	v_cndmask_b32_e32 v21, v21, v3, vcc_lo
	v_cmp_eq_u32_e32 vcc_lo, 5, v7
	s_delay_alu instid0(VALU_DEP_4) | instskip(NEXT) | instid1(VALU_DEP_4)
	v_cndmask_b32_e64 v23, v23, v4, s2
	v_cndmask_b32_e32 v22, v22, v33, vcc_lo
	s_delay_alu instid0(VALU_DEP_4) | instskip(SKIP_1) | instid1(VALU_DEP_4)
	v_cndmask_b32_e64 v21, v21, v42, s2
	v_cmp_eq_u32_e64 s2, 6, v7
	v_cndmask_b32_e32 v23, v23, v17, vcc_lo
	s_delay_alu instid0(VALU_DEP_3) | instskip(SKIP_1) | instid1(VALU_DEP_4)
	v_cndmask_b32_e32 v21, v21, v52, vcc_lo
	v_cmp_eq_u32_e32 vcc_lo, 7, v7
	v_cndmask_b32_e64 v22, v22, v34, s2
	s_delay_alu instid0(VALU_DEP_4) | instskip(NEXT) | instid1(VALU_DEP_4)
	v_cndmask_b32_e64 v23, v23, v18, s2
	v_cndmask_b32_e64 v21, v21, v53, s2
	v_cmp_eq_u32_e64 s2, 8, v7
	s_delay_alu instid0(VALU_DEP_4) | instskip(NEXT) | instid1(VALU_DEP_4)
	v_cndmask_b32_e32 v22, v22, v35, vcc_lo
	v_cndmask_b32_e32 v23, v23, v27, vcc_lo
	s_delay_alu instid0(VALU_DEP_4) | instskip(SKIP_1) | instid1(VALU_DEP_4)
	v_cndmask_b32_e32 v21, v21, v54, vcc_lo
	v_cmp_eq_u32_e32 vcc_lo, 9, v7
	v_cndmask_b32_e64 v22, v22, v36, s2
	s_delay_alu instid0(VALU_DEP_4) | instskip(NEXT) | instid1(VALU_DEP_4)
	v_cndmask_b32_e64 v23, v23, v28, s2
	v_cndmask_b32_e64 v21, v21, v55, s2
	v_cmp_eq_u32_e64 s2, 10, v7
	s_delay_alu instid0(VALU_DEP_4) | instskip(NEXT) | instid1(VALU_DEP_4)
	v_cndmask_b32_e32 v22, v22, v37, vcc_lo
	v_cndmask_b32_e32 v23, v23, v29, vcc_lo
	s_delay_alu instid0(VALU_DEP_4) | instskip(SKIP_1) | instid1(VALU_DEP_4)
	v_cndmask_b32_e32 v21, v21, v56, vcc_lo
	v_cmp_eq_u32_e32 vcc_lo, 11, v7
	v_cndmask_b32_e64 v22, v22, v38, s2
	s_delay_alu instid0(VALU_DEP_4) | instskip(NEXT) | instid1(VALU_DEP_4)
	v_cndmask_b32_e64 v23, v23, v30, s2
	v_cndmask_b32_e64 v21, v21, v57, s2
	v_cmp_gt_u32_e64 s2, 12, v7
	s_delay_alu instid0(VALU_DEP_2) | instskip(NEXT) | instid1(VALU_DEP_1)
	v_dual_cndmask_b32 v22, v22, v41 :: v_dual_cndmask_b32 v21, v21, v58
	v_cndmask_b32_e64 v24, 0, v22, s2
	s_delay_alu instid0(VALU_DEP_2)
	v_cndmask_b32_e64 v21, 0xff800000, v21, s2
	;;#ASMSTART
	v_max_f32 v25, v21, v21 quad_perm:[1,0,3,2] row_mask:0xf bank_mask:0xf bound_ctrl:1
	;;#ASMEND
	;;#ASMSTART
	v_max_f32 v26, v25, v25 quad_perm:[2,3,0,1] row_mask:0xf bank_mask:0xf bound_ctrl:1
	;;#ASMEND
	;;#ASMSTART
	v_max_f32 v25, v26, v26 row_half_mirror row_mask:0xf bank_mask:0xf bound_ctrl:1
	;;#ASMEND
	;;#ASMSTART
	v_max_f32 v26, v25, v25 row_mirror row_mask:0xf bank_mask:0xf bound_ctrl:1
	;;#ASMEND
	v_permlanex16_b32 v25, v26, s9, 0xfedcba98 op_sel:[1,1]
	s_delay_alu instid0(VALU_DEP_1) | instskip(NEXT) | instid1(VALU_DEP_1)
	v_dual_max_f32 v26, v26, v26 :: v_dual_max_f32 v25, v25, v25
	v_max_f32_e32 v25, v26, v25
	s_delay_alu instid0(VALU_DEP_1) | instskip(SKIP_1) | instid1(VALU_DEP_2)
	v_cmp_eq_f32_e64 s3, v21, v25
	v_cndmask_b32_e32 v21, v23, v31, vcc_lo
	s_ctz_i32_b32 s11, s3
	s_cmp_lg_u32 s3, 0
	s_cselect_b32 s3, s11, 0
	s_add_i32 s10, s10, -1
	v_readlane_b32 s3, v24, s3
	s_delay_alu instid0(VALU_DEP_1)
	v_cmp_eq_u32_e32 vcc_lo, s3, v22
	s_and_b32 vcc_lo, s2, vcc_lo
	s_and_b32 s2, s3, 31
	v_cndmask_b32_e32 v21, 0, v21, vcc_lo
	v_add_co_ci_u32_e32 v7, vcc_lo, 0, v7, vcc_lo
	s_cmp_eq_u32 s10, 0
	s_delay_alu instid0(VALU_DEP_2) | instskip(SKIP_2) | instid1(VALU_DEP_3)
	v_readlane_b32 s11, v21, s2
	v_cmp_eq_u32_e64 s2, 0, v20
	v_add_nc_u32_e32 v20, -1, v20
	v_add_f32_e32 v6, s11, v6
	s_delay_alu instid0(VALU_DEP_3)
	v_cndmask_b32_e64 v2, v2, s11, s2
	v_cndmask_b32_e64 v1, v1, s3, s2
	s_cbranch_scc0 .LBB163_137
; %bb.138:
	s_mov_b32 s2, exec_lo
	v_cmpx_gt_i32_e64 s8, v0
	s_cbranch_execz .LBB163_140
.LBB163_139:
	s_load_b32 s2, s[0:1], 0x30
	v_max_f32_e32 v3, v6, v6
	s_load_b64 s[0:1], s[0:1], 0x20
	s_ashr_i32 s3, s15, 31
	s_delay_alu instid0(VALU_DEP_1) | instskip(SKIP_1) | instid1(VALU_DEP_1)
	v_dual_max_f32 v3, 0x1e3ce508, v3 :: v_dual_lshlrev_b32 v0, 2, v0
	s_waitcnt lgkmcnt(0)
	v_div_scale_f32 v4, null, v3, v3, s2
	v_div_scale_f32 v7, vcc_lo, s2, v3, s2
	s_mul_i32 s1, s15, s1
	s_delay_alu instid0(VALU_DEP_2)
	v_rcp_f32_e32 v5, v4
	s_mul_hi_u32 s8, s15, s0
	s_mul_i32 s3, s3, s0
	s_add_i32 s1, s8, s1
	s_mul_i32 s0, s15, s0
	s_add_i32 s1, s1, s3
	s_delay_alu instid0(SALU_CYCLE_1) | instskip(SKIP_2) | instid1(VALU_DEP_1)
	s_lshl_b64 s[0:1], s[0:1], 2
	s_waitcnt_depctr 0xfff
	v_fma_f32 v6, -v4, v5, 1.0
	v_fmac_f32_e32 v5, v6, v5
	s_delay_alu instid0(VALU_DEP_1) | instskip(NEXT) | instid1(VALU_DEP_1)
	v_mul_f32_e32 v6, v7, v5
	v_fma_f32 v8, -v4, v6, v7
	s_delay_alu instid0(VALU_DEP_1) | instskip(NEXT) | instid1(VALU_DEP_1)
	v_fmac_f32_e32 v6, v8, v5
	v_fma_f32 v4, -v4, v6, v7
	s_delay_alu instid0(VALU_DEP_1) | instskip(NEXT) | instid1(VALU_DEP_1)
	v_div_fmas_f32 v4, v4, v5, v6
	v_div_fixup_f32 v3, v4, v3, s2
	s_add_u32 s2, s4, s0
	s_addc_u32 s3, s5, s1
	s_add_u32 s0, s6, s0
	s_addc_u32 s1, s7, s1
	v_mul_f32_e32 v2, v2, v3
	s_clause 0x1
	global_store_b32 v0, v2, s[2:3]
	global_store_b32 v0, v1, s[0:1]
.LBB163_140:
	s_endpgm
.LBB163_141:
	v_dual_mov_b32 v1, 0 :: v_dual_mov_b32 v2, 0
	s_mov_b32 s2, exec_lo
	v_cmpx_gt_i32_e64 s8, v0
	s_cbranch_execnz .LBB163_139
	s_branch .LBB163_140
	.section	.rodata,"a",@progbits
	.p2align	6, 0x0
	.amdhsa_kernel _ZN5aiter24topk_softplus_kernel_optI6__halfS1_Li384ELb1ELi0EEEvPKT_PKT0_PfPimiif
		.amdhsa_group_segment_fixed_size 0
		.amdhsa_private_segment_fixed_size 196
		.amdhsa_kernarg_size 52
		.amdhsa_user_sgpr_count 15
		.amdhsa_user_sgpr_dispatch_ptr 0
		.amdhsa_user_sgpr_queue_ptr 0
		.amdhsa_user_sgpr_kernarg_segment_ptr 1
		.amdhsa_user_sgpr_dispatch_id 0
		.amdhsa_user_sgpr_private_segment_size 0
		.amdhsa_wavefront_size32 1
		.amdhsa_uses_dynamic_stack 0
		.amdhsa_enable_private_segment 1
		.amdhsa_system_sgpr_workgroup_id_x 1
		.amdhsa_system_sgpr_workgroup_id_y 0
		.amdhsa_system_sgpr_workgroup_id_z 0
		.amdhsa_system_sgpr_workgroup_info 0
		.amdhsa_system_vgpr_workitem_id 0
		.amdhsa_next_free_vgpr 183
		.amdhsa_next_free_sgpr 16
		.amdhsa_reserve_vcc 1
		.amdhsa_float_round_mode_32 0
		.amdhsa_float_round_mode_16_64 0
		.amdhsa_float_denorm_mode_32 3
		.amdhsa_float_denorm_mode_16_64 3
		.amdhsa_dx10_clamp 1
		.amdhsa_ieee_mode 1
		.amdhsa_fp16_overflow 0
		.amdhsa_workgroup_processor_mode 1
		.amdhsa_memory_ordered 1
		.amdhsa_forward_progress 0
		.amdhsa_shared_vgpr_count 0
		.amdhsa_exception_fp_ieee_invalid_op 0
		.amdhsa_exception_fp_denorm_src 0
		.amdhsa_exception_fp_ieee_div_zero 0
		.amdhsa_exception_fp_ieee_overflow 0
		.amdhsa_exception_fp_ieee_underflow 0
		.amdhsa_exception_fp_ieee_inexact 0
		.amdhsa_exception_int_div_zero 0
	.end_amdhsa_kernel
	.section	.text._ZN5aiter24topk_softplus_kernel_optI6__halfS1_Li384ELb1ELi0EEEvPKT_PKT0_PfPimiif,"axG",@progbits,_ZN5aiter24topk_softplus_kernel_optI6__halfS1_Li384ELb1ELi0EEEvPKT_PKT0_PfPimiif,comdat
.Lfunc_end163:
	.size	_ZN5aiter24topk_softplus_kernel_optI6__halfS1_Li384ELb1ELi0EEEvPKT_PKT0_PfPimiif, .Lfunc_end163-_ZN5aiter24topk_softplus_kernel_optI6__halfS1_Li384ELb1ELi0EEEvPKT_PKT0_PfPimiif
                                        ; -- End function
	.section	.AMDGPU.csdata,"",@progbits
; Kernel info:
; codeLenInByte = 30580
; NumSgprs: 18
; NumVgprs: 183
; ScratchSize: 196
; MemoryBound: 0
; FloatMode: 240
; IeeeMode: 1
; LDSByteSize: 0 bytes/workgroup (compile time only)
; SGPRBlocks: 2
; VGPRBlocks: 22
; NumSGPRsForWavesPerEU: 18
; NumVGPRsForWavesPerEU: 183
; Occupancy: 8
; WaveLimiterHint : 0
; COMPUTE_PGM_RSRC2:SCRATCH_EN: 1
; COMPUTE_PGM_RSRC2:USER_SGPR: 15
; COMPUTE_PGM_RSRC2:TRAP_HANDLER: 0
; COMPUTE_PGM_RSRC2:TGID_X_EN: 1
; COMPUTE_PGM_RSRC2:TGID_Y_EN: 0
; COMPUTE_PGM_RSRC2:TGID_Z_EN: 0
; COMPUTE_PGM_RSRC2:TIDIG_COMP_CNT: 0
	.section	.text._ZN5aiter24topk_softplus_kernel_optI6__halfS1_Li384ELb0ELi0EEEvPKT_PKT0_PfPimiif,"axG",@progbits,_ZN5aiter24topk_softplus_kernel_optI6__halfS1_Li384ELb0ELi0EEEvPKT_PKT0_PfPimiif,comdat
	.protected	_ZN5aiter24topk_softplus_kernel_optI6__halfS1_Li384ELb0ELi0EEEvPKT_PKT0_PfPimiif ; -- Begin function _ZN5aiter24topk_softplus_kernel_optI6__halfS1_Li384ELb0ELi0EEEvPKT_PKT0_PfPimiif
	.globl	_ZN5aiter24topk_softplus_kernel_optI6__halfS1_Li384ELb0ELi0EEEvPKT_PKT0_PfPimiif
	.p2align	8
	.type	_ZN5aiter24topk_softplus_kernel_optI6__halfS1_Li384ELb0ELi0EEEvPKT_PKT0_PfPimiif,@function
_ZN5aiter24topk_softplus_kernel_optI6__halfS1_Li384ELb0ELi0EEEvPKT_PKT0_PfPimiif: ; @_ZN5aiter24topk_softplus_kernel_optI6__halfS1_Li384ELb0ELi0EEEvPKT_PKT0_PfPimiif
; %bb.0:
	s_load_b128 s[4:7], s[0:1], 0x0
	s_mul_i32 s2, s15, 0x180
	v_lshlrev_b32_e32 v1, 1, v0
	s_ashr_i32 s3, s2, 31
	s_delay_alu instid0(SALU_CYCLE_1)
	s_lshl_b64 s[2:3], s[2:3], 1
	s_waitcnt lgkmcnt(0)
	s_add_u32 s8, s4, s2
	s_addc_u32 s9, s5, s3
	s_mov_b32 s4, 0x3fb8aa3b
	global_load_u16 v2, v1, s[8:9]
	s_cmp_lg_u64 s[6:7], 0
	s_cselect_b32 s3, -1, 0
	s_waitcnt vmcnt(0)
	v_cvt_f32_f16_e32 v3, v2
	s_delay_alu instid0(VALU_DEP_1) | instskip(NEXT) | instid1(VALU_DEP_1)
	v_mul_f32_e32 v4, 0x3fb8aa3b, v3
	v_cmp_gt_f32_e32 vcc_lo, 0xc2fc0000, v4
	v_cndmask_b32_e64 v4, 0, 0x42800000, vcc_lo
	v_cndmask_b32_e64 v5, 1.0, 0x1f800000, vcc_lo
	s_delay_alu instid0(VALU_DEP_2) | instskip(NEXT) | instid1(VALU_DEP_1)
	v_fma_mix_f32 v4, v2, s4, v4 op_sel_hi:[1,0,0]
	v_exp_f32_e32 v4, v4
	s_waitcnt_depctr 0xfff
	v_fma_f32 v4, v4, v5, 1.0
	s_delay_alu instid0(VALU_DEP_1) | instskip(SKIP_1) | instid1(VALU_DEP_1)
	v_cmp_gt_f32_e32 vcc_lo, 0x800000, v4
	v_cndmask_b32_e64 v5, 1.0, 0x4f800000, vcc_lo
	v_mul_f32_e32 v4, v4, v5
	v_cndmask_b32_e64 v5, 0, 0x42000000, vcc_lo
	v_cmp_lt_f16_e32 vcc_lo, 0x4d00, v2
	s_delay_alu instid0(VALU_DEP_3) | instskip(SKIP_2) | instid1(VALU_DEP_1)
	v_log_f32_e32 v4, v4
	s_waitcnt_depctr 0xfff
	v_sub_f32_e32 v4, v4, v5
	v_mul_f32_e32 v4, 0x3f317218, v4
	s_delay_alu instid0(VALU_DEP_1) | instskip(NEXT) | instid1(VALU_DEP_1)
	v_cndmask_b32_e32 v2, v4, v3, vcc_lo
	v_mul_f32_e32 v3, 0x4f800000, v2
	v_cmp_gt_f32_e32 vcc_lo, 0xf800000, v2
	s_delay_alu instid0(VALU_DEP_2) | instskip(NEXT) | instid1(VALU_DEP_1)
	v_cndmask_b32_e32 v2, v2, v3, vcc_lo
	v_sqrt_f32_e32 v3, v2
	s_waitcnt_depctr 0xfff
	v_add_nc_u32_e32 v4, -1, v3
	v_add_nc_u32_e32 v5, 1, v3
	s_delay_alu instid0(VALU_DEP_2) | instskip(NEXT) | instid1(VALU_DEP_2)
	v_fma_f32 v6, -v4, v3, v2
	v_fma_f32 v7, -v5, v3, v2
	s_delay_alu instid0(VALU_DEP_2) | instskip(NEXT) | instid1(VALU_DEP_1)
	v_cmp_ge_f32_e64 s2, 0, v6
	v_cndmask_b32_e64 v3, v3, v4, s2
	s_delay_alu instid0(VALU_DEP_3) | instskip(NEXT) | instid1(VALU_DEP_1)
	v_cmp_lt_f32_e64 s2, 0, v7
	v_cndmask_b32_e64 v3, v3, v5, s2
	v_add_co_u32 v12, s2, s8, v1
	s_delay_alu instid0(VALU_DEP_1) | instskip(NEXT) | instid1(VALU_DEP_3)
	v_add_co_ci_u32_e64 v13, null, s9, 0, s2
	v_mul_f32_e32 v4, 0x37800000, v3
	s_delay_alu instid0(VALU_DEP_1) | instskip(SKIP_1) | instid1(VALU_DEP_2)
	v_cndmask_b32_e32 v3, v3, v4, vcc_lo
	v_cmp_class_f32_e64 vcc_lo, v2, 0x260
	v_cndmask_b32_e32 v49, v3, v2, vcc_lo
	s_and_b32 vcc_lo, exec_lo, s3
	s_delay_alu instid0(VALU_DEP_1)
	v_mov_b32_e32 v37, v49
	s_cbranch_vccz .LBB164_2
; %bb.1:
	global_load_u16 v2, v1, s[6:7]
	s_waitcnt vmcnt(0)
	v_cvt_f32_f16_e32 v2, v2
	s_delay_alu instid0(VALU_DEP_1)
	v_add_f32_e32 v37, v49, v2
.LBB164_2:
	global_load_u16 v2, v[12:13], off offset:64
	v_cndmask_b32_e64 v14, 0, 1, s3
	s_waitcnt vmcnt(0)
	v_cvt_f32_f16_e32 v3, v2
	s_delay_alu instid0(VALU_DEP_1) | instskip(NEXT) | instid1(VALU_DEP_1)
	v_mul_f32_e32 v4, 0x3fb8aa3b, v3
	v_cmp_gt_f32_e32 vcc_lo, 0xc2fc0000, v4
	v_cndmask_b32_e64 v5, 0, 0x42800000, vcc_lo
	v_cndmask_b32_e64 v4, 1.0, 0x1f800000, vcc_lo
	s_delay_alu instid0(VALU_DEP_2) | instskip(NEXT) | instid1(VALU_DEP_1)
	v_fma_mix_f32 v5, v2, s4, v5 op_sel_hi:[1,0,0]
	v_exp_f32_e32 v5, v5
	s_waitcnt_depctr 0xfff
	v_fma_f32 v4, v5, v4, 1.0
	s_delay_alu instid0(VALU_DEP_1) | instskip(SKIP_1) | instid1(VALU_DEP_1)
	v_cmp_gt_f32_e32 vcc_lo, 0x800000, v4
	v_cndmask_b32_e64 v5, 1.0, 0x4f800000, vcc_lo
	v_mul_f32_e32 v4, v4, v5
	v_cndmask_b32_e64 v5, 0, 0x42000000, vcc_lo
	v_cmp_lt_f16_e32 vcc_lo, 0x4d00, v2
	s_delay_alu instid0(VALU_DEP_3) | instskip(SKIP_2) | instid1(VALU_DEP_1)
	v_log_f32_e32 v4, v4
	s_waitcnt_depctr 0xfff
	v_sub_f32_e32 v4, v4, v5
	v_mul_f32_e32 v4, 0x3f317218, v4
	s_delay_alu instid0(VALU_DEP_1) | instskip(NEXT) | instid1(VALU_DEP_1)
	v_cndmask_b32_e32 v2, v4, v3, vcc_lo
	v_mul_f32_e32 v3, 0x4f800000, v2
	v_cmp_gt_f32_e32 vcc_lo, 0xf800000, v2
	s_delay_alu instid0(VALU_DEP_2) | instskip(NEXT) | instid1(VALU_DEP_1)
	v_cndmask_b32_e32 v2, v2, v3, vcc_lo
	v_sqrt_f32_e32 v3, v2
	s_waitcnt_depctr 0xfff
	v_add_nc_u32_e32 v4, -1, v3
	v_add_nc_u32_e32 v5, 1, v3
	s_delay_alu instid0(VALU_DEP_2) | instskip(NEXT) | instid1(VALU_DEP_2)
	v_fma_f32 v6, -v4, v3, v2
	v_fma_f32 v7, -v5, v3, v2
	s_delay_alu instid0(VALU_DEP_2) | instskip(NEXT) | instid1(VALU_DEP_1)
	v_cmp_ge_f32_e64 s2, 0, v6
	v_cndmask_b32_e64 v3, v3, v4, s2
	s_delay_alu instid0(VALU_DEP_3) | instskip(NEXT) | instid1(VALU_DEP_1)
	v_cmp_lt_f32_e64 s2, 0, v7
	v_cndmask_b32_e64 v3, v3, v5, s2
	s_delay_alu instid0(VALU_DEP_1) | instskip(NEXT) | instid1(VALU_DEP_1)
	v_mul_f32_e32 v4, 0x37800000, v3
	v_cndmask_b32_e32 v3, v3, v4, vcc_lo
	v_cmp_class_f32_e64 vcc_lo, v2, 0x260
	s_delay_alu instid0(VALU_DEP_2) | instskip(SKIP_1) | instid1(VALU_DEP_1)
	v_cndmask_b32_e32 v2, v3, v2, vcc_lo
	s_and_not1_b32 vcc_lo, exec_lo, s3
	v_mov_b32_e32 v38, v2
	s_cbranch_vccnz .LBB164_4
; %bb.3:
	global_load_u16 v3, v1, s[6:7] offset:64
	s_waitcnt vmcnt(0)
	v_cvt_f32_f16_e32 v3, v3
	s_delay_alu instid0(VALU_DEP_1)
	v_add_f32_e32 v38, v2, v3
.LBB164_4:
	global_load_u16 v3, v[12:13], off offset:128
	s_mov_b32 s3, 0x3fb8aa3b
	s_waitcnt vmcnt(0)
	v_cvt_f32_f16_e32 v4, v3
	s_delay_alu instid0(VALU_DEP_1) | instskip(NEXT) | instid1(VALU_DEP_1)
	v_mul_f32_e32 v5, 0x3fb8aa3b, v4
	v_cmp_gt_f32_e32 vcc_lo, 0xc2fc0000, v5
	v_cndmask_b32_e64 v6, 0, 0x42800000, vcc_lo
	v_cndmask_b32_e64 v5, 1.0, 0x1f800000, vcc_lo
	s_delay_alu instid0(VALU_DEP_2) | instskip(NEXT) | instid1(VALU_DEP_1)
	v_fma_mix_f32 v6, v3, s3, v6 op_sel_hi:[1,0,0]
	v_exp_f32_e32 v6, v6
	s_waitcnt_depctr 0xfff
	v_fma_f32 v5, v6, v5, 1.0
	s_delay_alu instid0(VALU_DEP_1) | instskip(SKIP_1) | instid1(VALU_DEP_1)
	v_cmp_gt_f32_e32 vcc_lo, 0x800000, v5
	v_cndmask_b32_e64 v6, 1.0, 0x4f800000, vcc_lo
	v_mul_f32_e32 v5, v5, v6
	v_cndmask_b32_e64 v6, 0, 0x42000000, vcc_lo
	v_cmp_lt_f16_e32 vcc_lo, 0x4d00, v3
	s_delay_alu instid0(VALU_DEP_3) | instskip(SKIP_2) | instid1(VALU_DEP_1)
	v_log_f32_e32 v5, v5
	s_waitcnt_depctr 0xfff
	v_sub_f32_e32 v5, v5, v6
	v_mul_f32_e32 v5, 0x3f317218, v5
	s_delay_alu instid0(VALU_DEP_1) | instskip(NEXT) | instid1(VALU_DEP_1)
	v_cndmask_b32_e32 v3, v5, v4, vcc_lo
	v_mul_f32_e32 v4, 0x4f800000, v3
	v_cmp_gt_f32_e32 vcc_lo, 0xf800000, v3
	s_delay_alu instid0(VALU_DEP_2) | instskip(NEXT) | instid1(VALU_DEP_1)
	v_cndmask_b32_e32 v3, v3, v4, vcc_lo
	v_sqrt_f32_e32 v4, v3
	s_waitcnt_depctr 0xfff
	v_add_nc_u32_e32 v5, -1, v4
	v_add_nc_u32_e32 v6, 1, v4
	s_delay_alu instid0(VALU_DEP_2) | instskip(NEXT) | instid1(VALU_DEP_2)
	v_fma_f32 v7, -v5, v4, v3
	v_fma_f32 v8, -v6, v4, v3
	s_delay_alu instid0(VALU_DEP_2) | instskip(NEXT) | instid1(VALU_DEP_1)
	v_cmp_ge_f32_e64 s2, 0, v7
	v_cndmask_b32_e64 v4, v4, v5, s2
	s_delay_alu instid0(VALU_DEP_3) | instskip(NEXT) | instid1(VALU_DEP_1)
	v_cmp_lt_f32_e64 s2, 0, v8
	v_cndmask_b32_e64 v4, v4, v6, s2
	s_delay_alu instid0(VALU_DEP_1) | instskip(NEXT) | instid1(VALU_DEP_1)
	v_mul_f32_e32 v5, 0x37800000, v4
	v_cndmask_b32_e32 v4, v4, v5, vcc_lo
	v_cmp_class_f32_e64 vcc_lo, v3, 0x260
	s_delay_alu instid0(VALU_DEP_2) | instskip(SKIP_1) | instid1(VALU_DEP_2)
	v_cndmask_b32_e32 v3, v4, v3, vcc_lo
	v_cmp_ne_u32_e32 vcc_lo, 1, v14
	v_mov_b32_e32 v39, v3
	s_cbranch_vccnz .LBB164_6
; %bb.5:
	global_load_u16 v4, v1, s[6:7] offset:128
	s_waitcnt vmcnt(0)
	v_cvt_f32_f16_e32 v4, v4
	s_delay_alu instid0(VALU_DEP_1)
	v_add_f32_e32 v39, v3, v4
.LBB164_6:
	global_load_u16 v4, v[12:13], off offset:192
	s_waitcnt vmcnt(0)
	v_cvt_f32_f16_e32 v5, v4
	s_delay_alu instid0(VALU_DEP_1) | instskip(NEXT) | instid1(VALU_DEP_1)
	v_mul_f32_e32 v6, 0x3fb8aa3b, v5
	v_cmp_gt_f32_e32 vcc_lo, 0xc2fc0000, v6
	v_cndmask_b32_e64 v7, 0, 0x42800000, vcc_lo
	v_cndmask_b32_e64 v6, 1.0, 0x1f800000, vcc_lo
	s_delay_alu instid0(VALU_DEP_2) | instskip(NEXT) | instid1(VALU_DEP_1)
	v_fma_mix_f32 v7, v4, s3, v7 op_sel_hi:[1,0,0]
	v_exp_f32_e32 v7, v7
	s_waitcnt_depctr 0xfff
	v_fma_f32 v6, v7, v6, 1.0
	s_delay_alu instid0(VALU_DEP_1) | instskip(SKIP_1) | instid1(VALU_DEP_1)
	v_cmp_gt_f32_e32 vcc_lo, 0x800000, v6
	v_cndmask_b32_e64 v7, 1.0, 0x4f800000, vcc_lo
	v_mul_f32_e32 v6, v6, v7
	v_cndmask_b32_e64 v7, 0, 0x42000000, vcc_lo
	v_cmp_lt_f16_e32 vcc_lo, 0x4d00, v4
	s_delay_alu instid0(VALU_DEP_3) | instskip(SKIP_2) | instid1(VALU_DEP_1)
	v_log_f32_e32 v6, v6
	s_waitcnt_depctr 0xfff
	v_sub_f32_e32 v6, v6, v7
	v_mul_f32_e32 v6, 0x3f317218, v6
	s_delay_alu instid0(VALU_DEP_1) | instskip(NEXT) | instid1(VALU_DEP_1)
	v_cndmask_b32_e32 v4, v6, v5, vcc_lo
	v_mul_f32_e32 v5, 0x4f800000, v4
	v_cmp_gt_f32_e32 vcc_lo, 0xf800000, v4
	s_delay_alu instid0(VALU_DEP_2) | instskip(NEXT) | instid1(VALU_DEP_1)
	v_cndmask_b32_e32 v4, v4, v5, vcc_lo
	v_sqrt_f32_e32 v5, v4
	s_waitcnt_depctr 0xfff
	v_add_nc_u32_e32 v6, -1, v5
	v_add_nc_u32_e32 v7, 1, v5
	s_delay_alu instid0(VALU_DEP_2) | instskip(NEXT) | instid1(VALU_DEP_2)
	v_fma_f32 v8, -v6, v5, v4
	v_fma_f32 v9, -v7, v5, v4
	s_delay_alu instid0(VALU_DEP_2) | instskip(NEXT) | instid1(VALU_DEP_1)
	v_cmp_ge_f32_e64 s2, 0, v8
	v_cndmask_b32_e64 v5, v5, v6, s2
	s_delay_alu instid0(VALU_DEP_3) | instskip(NEXT) | instid1(VALU_DEP_1)
	v_cmp_lt_f32_e64 s2, 0, v9
	v_cndmask_b32_e64 v5, v5, v7, s2
	s_delay_alu instid0(VALU_DEP_1) | instskip(NEXT) | instid1(VALU_DEP_1)
	v_mul_f32_e32 v6, 0x37800000, v5
	v_cndmask_b32_e32 v5, v5, v6, vcc_lo
	v_cmp_class_f32_e64 vcc_lo, v4, 0x260
	s_delay_alu instid0(VALU_DEP_2) | instskip(SKIP_1) | instid1(VALU_DEP_2)
	v_cndmask_b32_e32 v4, v5, v4, vcc_lo
	v_cmp_ne_u32_e32 vcc_lo, 1, v14
	v_mov_b32_e32 v40, v4
	s_cbranch_vccnz .LBB164_8
; %bb.7:
	global_load_u16 v5, v1, s[6:7] offset:192
	s_waitcnt vmcnt(0)
	v_cvt_f32_f16_e32 v5, v5
	s_delay_alu instid0(VALU_DEP_1)
	v_add_f32_e32 v40, v4, v5
.LBB164_8:
	global_load_u16 v5, v[12:13], off offset:256
	;; [unrolled: 59-line block ×8, first 2 shown]
	s_waitcnt vmcnt(0)
	v_cvt_f32_f16_e32 v15, v11
	s_delay_alu instid0(VALU_DEP_1) | instskip(NEXT) | instid1(VALU_DEP_1)
	v_mul_f32_e32 v16, 0x3fb8aa3b, v15
	v_cmp_gt_f32_e32 vcc_lo, 0xc2fc0000, v16
	v_cndmask_b32_e64 v17, 0, 0x42800000, vcc_lo
	v_cndmask_b32_e64 v16, 1.0, 0x1f800000, vcc_lo
	s_delay_alu instid0(VALU_DEP_2) | instskip(NEXT) | instid1(VALU_DEP_1)
	v_fma_mix_f32 v17, v11, s3, v17 op_sel_hi:[1,0,0]
	v_exp_f32_e32 v17, v17
	s_waitcnt_depctr 0xfff
	v_fma_f32 v16, v17, v16, 1.0
	s_delay_alu instid0(VALU_DEP_1) | instskip(SKIP_1) | instid1(VALU_DEP_1)
	v_cmp_gt_f32_e32 vcc_lo, 0x800000, v16
	v_cndmask_b32_e64 v17, 1.0, 0x4f800000, vcc_lo
	v_mul_f32_e32 v16, v16, v17
	v_cndmask_b32_e64 v17, 0, 0x42000000, vcc_lo
	v_cmp_lt_f16_e32 vcc_lo, 0x4d00, v11
	s_delay_alu instid0(VALU_DEP_3) | instskip(SKIP_2) | instid1(VALU_DEP_1)
	v_log_f32_e32 v16, v16
	s_waitcnt_depctr 0xfff
	v_sub_f32_e32 v16, v16, v17
	v_mul_f32_e32 v16, 0x3f317218, v16
	s_delay_alu instid0(VALU_DEP_1) | instskip(NEXT) | instid1(VALU_DEP_1)
	v_cndmask_b32_e32 v11, v16, v15, vcc_lo
	v_mul_f32_e32 v15, 0x4f800000, v11
	v_cmp_gt_f32_e32 vcc_lo, 0xf800000, v11
	s_delay_alu instid0(VALU_DEP_2) | instskip(NEXT) | instid1(VALU_DEP_1)
	v_cndmask_b32_e32 v11, v11, v15, vcc_lo
	v_sqrt_f32_e32 v15, v11
	s_waitcnt_depctr 0xfff
	v_add_nc_u32_e32 v17, 1, v15
	v_add_nc_u32_e32 v16, -1, v15
	s_delay_alu instid0(VALU_DEP_2) | instskip(NEXT) | instid1(VALU_DEP_2)
	v_fma_f32 v19, -v17, v15, v11
	v_fma_f32 v18, -v16, v15, v11
	s_delay_alu instid0(VALU_DEP_1) | instskip(NEXT) | instid1(VALU_DEP_1)
	v_cmp_ge_f32_e64 s2, 0, v18
	v_cndmask_b32_e64 v15, v15, v16, s2
	s_delay_alu instid0(VALU_DEP_4) | instskip(NEXT) | instid1(VALU_DEP_1)
	v_cmp_lt_f32_e64 s2, 0, v19
	v_cndmask_b32_e64 v15, v15, v17, s2
	s_delay_alu instid0(VALU_DEP_1) | instskip(NEXT) | instid1(VALU_DEP_1)
	v_mul_f32_e32 v16, 0x37800000, v15
	v_cndmask_b32_e32 v15, v15, v16, vcc_lo
	v_cmp_class_f32_e64 vcc_lo, v11, 0x260
	s_delay_alu instid0(VALU_DEP_2) | instskip(SKIP_1) | instid1(VALU_DEP_2)
	v_cndmask_b32_e32 v11, v15, v11, vcc_lo
	v_cmp_ne_u32_e32 vcc_lo, 1, v14
	v_mov_b32_e32 v47, v11
	s_cbranch_vccnz .LBB164_22
; %bb.21:
	global_load_u16 v15, v1, s[6:7] offset:640
	s_waitcnt vmcnt(0)
	v_cvt_f32_f16_e32 v15, v15
	s_delay_alu instid0(VALU_DEP_1)
	v_add_f32_e32 v47, v11, v15
.LBB164_22:
	global_load_u16 v12, v[12:13], off offset:704
	s_waitcnt vmcnt(0)
	v_cvt_f32_f16_e32 v13, v12
	s_delay_alu instid0(VALU_DEP_1) | instskip(NEXT) | instid1(VALU_DEP_1)
	v_mul_f32_e32 v15, 0x3fb8aa3b, v13
	v_cmp_gt_f32_e32 vcc_lo, 0xc2fc0000, v15
	v_cndmask_b32_e64 v16, 0, 0x42800000, vcc_lo
	v_cndmask_b32_e64 v15, 1.0, 0x1f800000, vcc_lo
	s_delay_alu instid0(VALU_DEP_2) | instskip(NEXT) | instid1(VALU_DEP_1)
	v_fma_mix_f32 v16, v12, s3, v16 op_sel_hi:[1,0,0]
	v_exp_f32_e32 v16, v16
	s_waitcnt_depctr 0xfff
	v_fma_f32 v15, v16, v15, 1.0
	s_delay_alu instid0(VALU_DEP_1) | instskip(SKIP_1) | instid1(VALU_DEP_1)
	v_cmp_gt_f32_e32 vcc_lo, 0x800000, v15
	v_cndmask_b32_e64 v16, 1.0, 0x4f800000, vcc_lo
	v_mul_f32_e32 v15, v15, v16
	v_cndmask_b32_e64 v16, 0, 0x42000000, vcc_lo
	v_cmp_lt_f16_e32 vcc_lo, 0x4d00, v12
	s_delay_alu instid0(VALU_DEP_3) | instskip(SKIP_2) | instid1(VALU_DEP_1)
	v_log_f32_e32 v15, v15
	s_waitcnt_depctr 0xfff
	v_sub_f32_e32 v15, v15, v16
	v_mul_f32_e32 v15, 0x3f317218, v15
	s_delay_alu instid0(VALU_DEP_1) | instskip(NEXT) | instid1(VALU_DEP_1)
	v_cndmask_b32_e32 v12, v15, v13, vcc_lo
	v_mul_f32_e32 v13, 0x4f800000, v12
	v_cmp_gt_f32_e32 vcc_lo, 0xf800000, v12
	s_delay_alu instid0(VALU_DEP_2) | instskip(NEXT) | instid1(VALU_DEP_1)
	v_cndmask_b32_e32 v12, v12, v13, vcc_lo
	v_sqrt_f32_e32 v13, v12
	s_waitcnt_depctr 0xfff
	v_add_nc_u32_e32 v15, -1, v13
	v_add_nc_u32_e32 v16, 1, v13
	s_delay_alu instid0(VALU_DEP_2) | instskip(NEXT) | instid1(VALU_DEP_2)
	v_fma_f32 v17, -v15, v13, v12
	v_fma_f32 v18, -v16, v13, v12
	s_delay_alu instid0(VALU_DEP_2) | instskip(NEXT) | instid1(VALU_DEP_1)
	v_cmp_ge_f32_e64 s2, 0, v17
	v_cndmask_b32_e64 v13, v13, v15, s2
	s_delay_alu instid0(VALU_DEP_3) | instskip(NEXT) | instid1(VALU_DEP_1)
	v_cmp_lt_f32_e64 s2, 0, v18
	v_cndmask_b32_e64 v13, v13, v16, s2
	s_delay_alu instid0(VALU_DEP_1) | instskip(NEXT) | instid1(VALU_DEP_1)
	v_mul_f32_e32 v15, 0x37800000, v13
	v_cndmask_b32_e32 v13, v13, v15, vcc_lo
	v_cmp_class_f32_e64 vcc_lo, v12, 0x260
	s_delay_alu instid0(VALU_DEP_2)
	v_cndmask_b32_e32 v12, v13, v12, vcc_lo
	v_cmp_ne_u32_e32 vcc_lo, 1, v14
	s_cbranch_vccnz .LBB164_24
; %bb.23:
	global_load_u16 v1, v1, s[6:7] offset:704
	s_waitcnt vmcnt(0)
	v_cvt_f32_f16_e32 v1, v1
	s_delay_alu instid0(VALU_DEP_1)
	v_add_f32_e32 v48, v12, v1
	s_branch .LBB164_25
.LBB164_24:
	s_delay_alu instid0(VALU_DEP_2)
	v_mov_b32_e32 v48, v12
.LBB164_25:
	v_dual_mov_b32 v13, v37 :: v_dual_add_nc_u32 v26, 32, v0
	v_dual_mov_b32 v14, v38 :: v_dual_add_nc_u32 v27, 64, v0
	;; [unrolled: 1-line block ×11, first 2 shown]
	v_dual_mov_b32 v24, v48 :: v_dual_mov_b32 v1, v49
	v_mov_b32_e32 v25, v0
	s_mov_b32 s2, exec_lo
	v_cmpx_lt_f32_e32 v37, v38
	s_xor_b32 s2, exec_lo, s2
; %bb.26:
	v_dual_mov_b32 v13, v38 :: v_dual_mov_b32 v14, v37
	v_dual_mov_b32 v15, v39 :: v_dual_mov_b32 v16, v40
	;; [unrolled: 1-line block ×8, first 2 shown]
	v_mov_b32_e32 v26, v0
; %bb.27:
	s_or_b32 exec_lo, exec_lo, s2
	v_dual_mov_b32 v37, v15 :: v_dual_mov_b32 v86, v12
	v_dual_mov_b32 v75, v1 :: v_dual_mov_b32 v146, v12
	;; [unrolled: 1-line block ×36, first 2 shown]
	s_clause 0x8
	scratch_store_b128 off, v[1:4], off
	scratch_store_b128 off, v[5:8], off offset:16
	scratch_store_b128 off, v[9:12], off offset:32
	;; [unrolled: 1-line block ×8, first 2 shown]
	v_dual_mov_b32 v73, v35 :: v_dual_mov_b32 v72, v34
	v_dual_mov_b32 v71, v33 :: v_dual_mov_b32 v70, v32
	;; [unrolled: 1-line block ×30, first 2 shown]
	v_mov_b32_e32 v159, v25
	s_clause 0x2
	scratch_store_b128 off, v[25:28], off offset:144
	scratch_store_b128 off, v[29:32], off offset:160
	;; [unrolled: 1-line block ×3, first 2 shown]
	s_mov_b32 s2, exec_lo
	v_dual_mov_b32 v182, v36 :: v_dual_mov_b32 v181, v35
	v_dual_mov_b32 v180, v34 :: v_dual_mov_b32 v179, v33
	;; [unrolled: 1-line block ×6, first 2 shown]
	v_cmpx_lt_f32_e32 v38, v15
	s_cbranch_execz .LBB164_29
; %bb.28:
	v_dual_mov_b32 v37, v38 :: v_dual_mov_b32 v182, v36
	v_dual_mov_b32 v173, v27 :: v_dual_mov_b32 v172, v26
	;; [unrolled: 1-line block ×14, first 2 shown]
	v_mov_b32_e32 v125, v2
	v_dual_mov_b32 v159, v171 :: v_dual_mov_b32 v162, v174
	v_dual_mov_b32 v161, v173 :: v_dual_mov_b32 v164, v176
	;; [unrolled: 1-line block ×6, first 2 shown]
	v_mov_b32_e32 v162, v28
	s_clause 0x2
	scratch_store_b128 off, v[123:126], off offset:96
	scratch_store_b128 off, v[127:130], off offset:112
	scratch_store_b128 off, v[131:134], off offset:128
	v_dual_mov_b32 v14, v15 :: v_dual_mov_b32 v15, v38
	v_dual_mov_b32 v43, v164 :: v_dual_mov_b32 v44, v165
	;; [unrolled: 1-line block ×7, first 2 shown]
	s_clause 0x2
	scratch_store_b128 off, v[38:41], off offset:144
	scratch_store_b128 off, v[42:45], off offset:160
	;; [unrolled: 1-line block ×3, first 2 shown]
	v_mov_b32_e32 v163, v29
	v_mov_b32_e32 v27, v26
	v_dual_mov_b32 v43, v128 :: v_dual_mov_b32 v44, v129
	v_dual_mov_b32 v47, v132 :: v_dual_mov_b32 v38, v123
	;; [unrolled: 1-line block ×5, first 2 shown]
	v_mov_b32_e32 v41, v126
	v_dual_mov_b32 v147, v159 :: v_dual_mov_b32 v154, v166
	v_mov_b32_e32 v148, v160
	v_mov_b32_e32 v150, v162
	s_clause 0x2
	scratch_store_b128 off, v[38:41], off offset:48
	scratch_store_b128 off, v[42:45], off offset:64
	;; [unrolled: 1-line block ×3, first 2 shown]
	v_dual_mov_b32 v127, v5 :: v_dual_mov_b32 v152, v164
	v_dual_mov_b32 v153, v165 :: v_dual_mov_b32 v152, v30
	;; [unrolled: 1-line block ×7, first 2 shown]
	v_mov_b32_e32 v41, v126
	v_dual_mov_b32 v128, v6 :: v_dual_mov_b32 v99, v147
	v_dual_mov_b32 v105, v153 :: v_dual_mov_b32 v106, v154
	;; [unrolled: 1-line block ×3, first 2 shown]
	v_mov_b32_e32 v105, v31
	v_dual_mov_b32 v103, v151 :: v_dual_mov_b32 v104, v152
	v_dual_mov_b32 v107, v155 :: v_dual_mov_b32 v108, v156
	;; [unrolled: 1-line block ×6, first 2 shown]
	v_mov_b32_e32 v60, v132
	v_dual_mov_b32 v52, v124 :: v_dual_mov_b32 v55, v127
	v_dual_mov_b32 v58, v130 :: v_dual_mov_b32 v61, v133
	v_mov_b32_e32 v57, v7
	v_dual_mov_b32 v53, v125 :: v_dual_mov_b32 v56, v128
	s_clause 0x2
	scratch_store_b128 off, v[38:41], off
	scratch_store_b128 off, v[42:45], off offset:16
	scratch_store_b128 off, v[46:49], off offset:32
	v_dual_mov_b32 v39, v99 :: v_dual_mov_b32 v44, v104
	v_dual_mov_b32 v45, v105 :: v_dual_mov_b32 v50, v110
	;; [unrolled: 1-line block ×6, first 2 shown]
	v_mov_b32_e32 v122, v62
	v_dual_mov_b32 v46, v32 :: v_dual_mov_b32 v111, v51
	v_dual_mov_b32 v121, v61 :: v_dual_mov_b32 v120, v60
	;; [unrolled: 1-line block ×6, first 2 shown]
	v_mov_b32_e32 v118, v8
	v_dual_mov_b32 v98, v50 :: v_dual_mov_b32 v97, v49
	v_dual_mov_b32 v96, v48 :: v_dual_mov_b32 v95, v47
	v_dual_mov_b32 v88, v40 :: v_dual_mov_b32 v87, v39
	v_dual_mov_b32 v95, v33 :: v_dual_mov_b32 v146, v122
	v_dual_mov_b32 v94, v46 :: v_dual_mov_b32 v93, v45
	v_dual_mov_b32 v92, v44 :: v_dual_mov_b32 v91, v43
	v_dual_mov_b32 v90, v42 :: v_dual_mov_b32 v89, v41
	v_mov_b32_e32 v135, v111
	v_dual_mov_b32 v3, v2 :: v_dual_mov_b32 v144, v120
	v_dual_mov_b32 v145, v121 :: v_dual_mov_b32 v142, v118
	;; [unrolled: 1-line block ×5, first 2 shown]
	v_mov_b32_e32 v137, v113
	v_mov_b32_e32 v143, v9
	v_dual_mov_b32 v63, v87 :: v_dual_mov_b32 v70, v94
	v_mov_b32_e32 v64, v88
	v_mov_b32_e32 v66, v90
	v_dual_mov_b32 v68, v92 :: v_dual_mov_b32 v75, v135
	v_dual_mov_b32 v80, v140 :: v_dual_mov_b32 v65, v89
	;; [unrolled: 1-line block ×13, first 2 shown]
.LBB164_29:
	s_or_b32 exec_lo, exec_lo, s2
	v_mov_b32_e32 v1, v16
	s_mov_b32 s2, exec_lo
	v_cmpx_lt_f32_e32 v37, v16
	s_cbranch_execz .LBB164_31
; %bb.30:
	s_clause 0x2
	scratch_load_b128 v[38:41], off, off offset:96
	scratch_load_b128 v[42:45], off, off offset:112
	;; [unrolled: 1-line block ×3, first 2 shown]
	v_mov_b32_e32 v173, v28
	v_dual_mov_b32 v15, v16 :: v_dual_mov_b32 v16, v37
	v_dual_mov_b32 v1, v37 :: v_dual_mov_b32 v28, v27
	s_waitcnt vmcnt(2)
	v_dual_mov_b32 v124, v39 :: v_dual_mov_b32 v123, v38
	s_waitcnt vmcnt(0)
	v_dual_mov_b32 v134, v49 :: v_dual_mov_b32 v125, v4
	v_dual_mov_b32 v159, v171 :: v_dual_mov_b32 v160, v172
	v_mov_b32_e32 v162, v174
	v_dual_mov_b32 v38, v123 :: v_dual_mov_b32 v39, v124
	v_dual_mov_b32 v161, v173 :: v_dual_mov_b32 v164, v176
	;; [unrolled: 1-line block ×10, first 2 shown]
	v_mov_b32_e32 v126, v41
	s_clause 0x2
	scratch_store_b128 off, v[38:41], off offset:96
	scratch_store_b128 off, v[42:45], off offset:112
	;; [unrolled: 1-line block ×3, first 2 shown]
	v_dual_mov_b32 v43, v164 :: v_dual_mov_b32 v38, v159
	v_dual_mov_b32 v41, v162 :: v_dual_mov_b32 v126, v3
	;; [unrolled: 1-line block ×7, first 2 shown]
	s_clause 0x2
	scratch_store_b128 off, v[38:41], off offset:144
	scratch_store_b128 off, v[42:45], off offset:160
	;; [unrolled: 1-line block ×3, first 2 shown]
	v_dual_mov_b32 v43, v128 :: v_dual_mov_b32 v46, v131
	v_dual_mov_b32 v49, v134 :: v_dual_mov_b32 v38, v123
	;; [unrolled: 1-line block ×5, first 2 shown]
	v_mov_b32_e32 v41, v126
	v_dual_mov_b32 v147, v159 :: v_dual_mov_b32 v152, v164
	v_dual_mov_b32 v148, v160 :: v_dual_mov_b32 v127, v5
	;; [unrolled: 1-line block ×7, first 2 shown]
	s_clause 0x2
	scratch_store_b128 off, v[38:41], off offset:48
	scratch_store_b128 off, v[42:45], off offset:64
	;; [unrolled: 1-line block ×3, first 2 shown]
	v_dual_mov_b32 v38, v123 :: v_dual_mov_b32 v39, v124
	v_dual_mov_b32 v40, v125 :: v_dual_mov_b32 v41, v126
	v_mov_b32_e32 v42, v127
	v_dual_mov_b32 v128, v6 :: v_dual_mov_b32 v99, v147
	v_dual_mov_b32 v106, v154 :: v_dual_mov_b32 v107, v155
	;; [unrolled: 1-line block ×3, first 2 shown]
	v_mov_b32_e32 v52, v124
	v_dual_mov_b32 v100, v148 :: v_dual_mov_b32 v101, v149
	v_dual_mov_b32 v102, v150 :: v_dual_mov_b32 v103, v151
	v_dual_mov_b32 v108, v156 :: v_dual_mov_b32 v109, v157
	v_dual_mov_b32 v61, v133 :: v_dual_mov_b32 v62, v134
	v_dual_mov_b32 v104, v152 :: v_dual_mov_b32 v105, v153
	v_dual_mov_b32 v59, v131 :: v_dual_mov_b32 v60, v132
	v_mov_b32_e32 v105, v31
	v_dual_mov_b32 v57, v129 :: v_dual_mov_b32 v58, v130
	v_dual_mov_b32 v53, v125 :: v_dual_mov_b32 v54, v126
	;; [unrolled: 1-line block ×3, first 2 shown]
	v_mov_b32_e32 v57, v7
	s_clause 0x2
	scratch_store_b128 off, v[38:41], off
	scratch_store_b128 off, v[42:45], off offset:16
	scratch_store_b128 off, v[46:49], off offset:32
	v_dual_mov_b32 v39, v99 :: v_dual_mov_b32 v42, v102
	v_dual_mov_b32 v47, v107 :: v_dual_mov_b32 v50, v110
	;; [unrolled: 1-line block ×9, first 2 shown]
	v_mov_b32_e32 v46, v32
	v_dual_mov_b32 v118, v58 :: v_dual_mov_b32 v117, v57
	v_dual_mov_b32 v116, v56 :: v_dual_mov_b32 v115, v55
	;; [unrolled: 1-line block ×3, first 2 shown]
	v_mov_b32_e32 v118, v8
	v_dual_mov_b32 v98, v50 :: v_dual_mov_b32 v95, v47
	v_dual_mov_b32 v97, v49 :: v_dual_mov_b32 v90, v42
	;; [unrolled: 1-line block ×9, first 2 shown]
	v_mov_b32_e32 v89, v41
	v_dual_mov_b32 v143, v9 :: v_dual_mov_b32 v142, v118
	v_dual_mov_b32 v141, v117 :: v_dual_mov_b32 v140, v116
	;; [unrolled: 1-line block ×3, first 2 shown]
	v_mov_b32_e32 v137, v113
	v_dual_mov_b32 v63, v87 :: v_dual_mov_b32 v66, v90
	v_dual_mov_b32 v64, v88 :: v_dual_mov_b32 v75, v135
	;; [unrolled: 1-line block ×13, first 2 shown]
	v_mov_b32_e32 v82, v142
	v_dual_mov_b32 v84, v10 :: v_dual_mov_b32 v85, v11
	v_mov_b32_e32 v86, v12
.LBB164_31:
	s_or_b32 exec_lo, exec_lo, s2
	v_mov_b32_e32 v2, v17
	s_mov_b32 s2, exec_lo
	v_cmpx_lt_f32_e32 v1, v17
	s_cbranch_execz .LBB164_33
; %bb.32:
	s_clause 0x2
	scratch_load_b128 v[37:40], off, off offset:96
	scratch_load_b128 v[41:44], off, off offset:112
	;; [unrolled: 1-line block ×3, first 2 shown]
	v_mov_b32_e32 v174, v29
	v_dual_mov_b32 v2, v1 :: v_dual_mov_b32 v29, v28
	v_mov_b32_e32 v16, v17
	s_waitcnt vmcnt(0)
	v_dual_mov_b32 v74, v48 :: v_dual_mov_b32 v71, v45
	v_dual_mov_b32 v68, v42 :: v_dual_mov_b32 v65, v39
	;; [unrolled: 1-line block ×18, first 2 shown]
	v_mov_b32_e32 v125, v65
	v_mov_b32_e32 v127, v4
	v_dual_mov_b32 v147, v159 :: v_dual_mov_b32 v148, v160
	v_dual_mov_b32 v153, v165 :: v_dual_mov_b32 v156, v168
	;; [unrolled: 1-line block ×3, first 2 shown]
	v_mov_b32_e32 v157, v169
	v_dual_mov_b32 v151, v163 :: v_dual_mov_b32 v154, v166
	v_dual_mov_b32 v149, v161 :: v_dual_mov_b32 v152, v164
	;; [unrolled: 1-line block ×4, first 2 shown]
	v_mov_b32_e32 v38, v124
	v_dual_mov_b32 v152, v30 :: v_dual_mov_b32 v45, v131
	v_dual_mov_b32 v46, v132 :: v_dual_mov_b32 v47, v133
	;; [unrolled: 1-line block ×13, first 2 shown]
	s_clause 0x2
	scratch_store_b128 off, v[37:40], off
	scratch_store_b128 off, v[41:44], off offset:16
	scratch_store_b128 off, v[45:48], off offset:32
	v_dual_mov_b32 v57, v129 :: v_dual_mov_b32 v60, v132
	v_dual_mov_b32 v55, v127 :: v_dual_mov_b32 v58, v130
	v_mov_b32_e32 v61, v133
	v_mov_b32_e32 v57, v7
	v_dual_mov_b32 v39, v99 :: v_dual_mov_b32 v44, v104
	v_dual_mov_b32 v17, v1 :: v_dual_mov_b32 v52, v124
	;; [unrolled: 1-line block ×8, first 2 shown]
	v_mov_b32_e32 v122, v62
	v_dual_mov_b32 v46, v32 :: v_dual_mov_b32 v119, v59
	v_dual_mov_b32 v118, v58 :: v_dual_mov_b32 v111, v51
	;; [unrolled: 1-line block ×6, first 2 shown]
	v_mov_b32_e32 v112, v52
	v_dual_mov_b32 v98, v50 :: v_dual_mov_b32 v97, v49
	v_dual_mov_b32 v96, v48 :: v_dual_mov_b32 v95, v47
	;; [unrolled: 1-line block ×8, first 2 shown]
	v_mov_b32_e32 v135, v111
	v_dual_mov_b32 v145, v121 :: v_dual_mov_b32 v144, v120
	v_dual_mov_b32 v141, v117 :: v_dual_mov_b32 v140, v116
	v_mov_b32_e32 v143, v9
	v_dual_mov_b32 v139, v115 :: v_dual_mov_b32 v138, v114
	v_dual_mov_b32 v137, v113 :: v_dual_mov_b32 v136, v112
	s_clause 0x5
	scratch_store_b128 off, v[63:66], off offset:48
	scratch_store_b128 off, v[67:70], off offset:64
	;; [unrolled: 1-line block ×6, first 2 shown]
	v_dual_mov_b32 v63, v87 :: v_dual_mov_b32 v68, v92
	v_mov_b32_e32 v64, v88
	v_dual_mov_b32 v66, v90 :: v_dual_mov_b32 v75, v135
	v_dual_mov_b32 v78, v138 :: v_dual_mov_b32 v67, v91
	v_dual_mov_b32 v72, v96 :: v_dual_mov_b32 v69, v93
	v_dual_mov_b32 v74, v98 :: v_dual_mov_b32 v73, v97
	v_dual_mov_b32 v74, v36 :: v_dual_mov_b32 v81, v141
	v_dual_mov_b32 v84, v144 :: v_dual_mov_b32 v83, v143
	v_dual_mov_b32 v86, v146 :: v_dual_mov_b32 v85, v145
	v_dual_mov_b32 v84, v10 :: v_dual_mov_b32 v5, v4
	v_dual_mov_b32 v65, v89 :: v_dual_mov_b32 v70, v94
	v_dual_mov_b32 v71, v95 :: v_dual_mov_b32 v72, v34
	v_dual_mov_b32 v73, v35 :: v_dual_mov_b32 v76, v136
	v_dual_mov_b32 v77, v137 :: v_dual_mov_b32 v80, v140
	v_dual_mov_b32 v79, v139 :: v_dual_mov_b32 v82, v142
	v_dual_mov_b32 v85, v11 :: v_dual_mov_b32 v86, v12
.LBB164_33:
	s_or_b32 exec_lo, exec_lo, s2
	v_mov_b32_e32 v1, v18
	s_mov_b32 s2, exec_lo
	v_cmpx_lt_f32_e32 v2, v18
	s_cbranch_execz .LBB164_35
; %bb.34:
	s_clause 0x2
	scratch_load_b128 v[37:40], off, off offset:144
	scratch_load_b128 v[41:44], off, off offset:160
	;; [unrolled: 1-line block ×3, first 2 shown]
	s_waitcnt vmcnt(0)
	v_dual_mov_b32 v17, v18 :: v_dual_mov_b32 v170, v48
	v_dual_mov_b32 v169, v47 :: v_dual_mov_b32 v162, v40
	;; [unrolled: 1-line block ×6, first 2 shown]
	s_clause 0x2
	scratch_load_b128 v[37:40], off, off offset:48
	scratch_load_b128 v[41:44], off, off offset:64
	;; [unrolled: 1-line block ×3, first 2 shown]
	v_dual_mov_b32 v163, v30 :: v_dual_mov_b32 v30, v29
	s_waitcnt vmcnt(0)
	v_mov_b32_e32 v74, v48
	v_dual_mov_b32 v66, v40 :: v_dual_mov_b32 v63, v37
	v_dual_mov_b32 v73, v47 :: v_dual_mov_b32 v64, v38
	;; [unrolled: 1-line block ×5, first 2 shown]
	v_mov_b32_e32 v69, v43
	v_dual_mov_b32 v67, v6 :: v_dual_mov_b32 v148, v160
	v_dual_mov_b32 v134, v74 :: v_dual_mov_b32 v133, v73
	;; [unrolled: 1-line block ×12, first 2 shown]
	v_mov_b32_e32 v128, v5
	v_dual_mov_b32 v152, v29 :: v_dual_mov_b32 v51, v123
	v_dual_mov_b32 v99, v147 :: v_dual_mov_b32 v108, v156
	;; [unrolled: 1-line block ×13, first 2 shown]
	v_mov_b32_e32 v57, v7
	v_dual_mov_b32 v39, v99 :: v_dual_mov_b32 v40, v100
	v_dual_mov_b32 v49, v109 :: v_dual_mov_b32 v50, v110
	s_delay_alu instid0(VALU_DEP_4)
	v_dual_mov_b32 v122, v62 :: v_dual_mov_b32 v121, v61
	v_dual_mov_b32 v43, v103 :: v_dual_mov_b32 v44, v104
	;; [unrolled: 1-line block ×10, first 2 shown]
	v_mov_b32_e32 v46, v32
	v_mov_b32_e32 v118, v8
	v_dual_mov_b32 v98, v50 :: v_dual_mov_b32 v93, v45
	v_dual_mov_b32 v97, v49 :: v_dual_mov_b32 v146, v122
	;; [unrolled: 1-line block ×13, first 2 shown]
	v_mov_b32_e32 v137, v113
	s_clause 0x2
	scratch_store_b128 off, v[63:66], off
	scratch_store_b128 off, v[67:70], off offset:16
	scratch_store_b128 off, v[71:74], off offset:32
	v_dual_mov_b32 v63, v87 :: v_dual_mov_b32 v66, v90
	v_dual_mov_b32 v75, v135 :: v_dual_mov_b32 v78, v138
	;; [unrolled: 1-line block ×15, first 2 shown]
	v_mov_b32_e32 v86, v12
	v_mov_b32_e32 v6, v5
.LBB164_35:
	s_or_b32 exec_lo, exec_lo, s2
	v_mov_b32_e32 v2, v19
	s_mov_b32 s2, exec_lo
	v_cmpx_lt_f32_e32 v1, v19
	s_cbranch_execz .LBB164_37
; %bb.36:
	s_clause 0x2
	scratch_load_b128 v[37:40], off, off
	scratch_load_b128 v[41:44], off, off offset:16
	scratch_load_b128 v[45:48], off, off offset:32
	v_mov_b32_e32 v164, v31
	v_dual_mov_b32 v2, v1 :: v_dual_mov_b32 v31, v30
	v_mov_b32_e32 v18, v19
	s_waitcnt vmcnt(0)
	v_dual_mov_b32 v134, v48 :: v_dual_mov_b32 v133, v47
	v_dual_mov_b32 v130, v44 :: v_dual_mov_b32 v127, v41
	;; [unrolled: 1-line block ×17, first 2 shown]
	v_mov_b32_e32 v61, v133
	v_mov_b32_e32 v57, v6
	;; [unrolled: 1-line block ×3, first 2 shown]
	v_dual_mov_b32 v62, v134 :: v_dual_mov_b32 v39, v99
	v_dual_mov_b32 v147, v159 :: v_dual_mov_b32 v148, v160
	s_delay_alu instid0(VALU_DEP_2)
	v_dual_mov_b32 v149, v161 :: v_dual_mov_b32 v122, v62
	v_dual_mov_b32 v120, v60 :: v_dual_mov_b32 v49, v109
	v_mov_b32_e32 v50, v110
	v_dual_mov_b32 v40, v100 :: v_dual_mov_b32 v119, v59
	v_dual_mov_b32 v118, v58 :: v_dual_mov_b32 v115, v55
	v_dual_mov_b32 v114, v54 :: v_dual_mov_b32 v111, v51
	v_dual_mov_b32 v41, v101 :: v_dual_mov_b32 v42, v102
	v_dual_mov_b32 v47, v107 :: v_dual_mov_b32 v48, v108
	v_dual_mov_b32 v45, v105 :: v_dual_mov_b32 v46, v106
	v_mov_b32_e32 v121, v61
	v_dual_mov_b32 v117, v57 :: v_dual_mov_b32 v116, v56
	v_dual_mov_b32 v113, v53 :: v_dual_mov_b32 v112, v52
	;; [unrolled: 1-line block ×3, first 2 shown]
	v_mov_b32_e32 v46, v32
	v_mov_b32_e32 v118, v8
	v_dual_mov_b32 v98, v50 :: v_dual_mov_b32 v95, v47
	v_dual_mov_b32 v97, v49 :: v_dual_mov_b32 v146, v122
	;; [unrolled: 1-line block ×4, first 2 shown]
	v_mov_b32_e32 v87, v39
	v_dual_mov_b32 v143, v9 :: v_dual_mov_b32 v96, v48
	v_dual_mov_b32 v93, v45 :: v_dual_mov_b32 v88, v40
	;; [unrolled: 1-line block ×8, first 2 shown]
	v_mov_b32_e32 v137, v113
	v_dual_mov_b32 v75, v135 :: v_dual_mov_b32 v78, v138
	v_dual_mov_b32 v63, v87 :: v_dual_mov_b32 v66, v90
	;; [unrolled: 1-line block ×14, first 2 shown]
	v_mov_b32_e32 v74, v36
	v_dual_mov_b32 v84, v10 :: v_dual_mov_b32 v85, v11
	v_dual_mov_b32 v150, v162 :: v_dual_mov_b32 v151, v163
	;; [unrolled: 1-line block ×5, first 2 shown]
	v_mov_b32_e32 v158, v170
	v_mov_b32_e32 v7, v6
.LBB164_37:
	s_or_b32 exec_lo, exec_lo, s2
	v_mov_b32_e32 v1, v20
	s_mov_b32 s2, exec_lo
	v_cmpx_lt_f32_e32 v2, v20
	s_cbranch_execz .LBB164_39
; %bb.38:
	v_mov_b32_e32 v129, v8
	v_mov_b32_e32 v153, v32
	v_dual_mov_b32 v111, v123 :: v_dual_mov_b32 v114, v126
	v_dual_mov_b32 v39, v147 :: v_dual_mov_b32 v40, v148
	;; [unrolled: 1-line block ×10, first 2 shown]
	v_mov_b32_e32 v120, v132
	v_dual_mov_b32 v116, v128 :: v_dual_mov_b32 v121, v133
	v_mov_b32_e32 v46, v31
	v_dual_mov_b32 v119, v131 :: v_dual_mov_b32 v98, v50
	v_dual_mov_b32 v118, v7 :: v_dual_mov_b32 v97, v49
	;; [unrolled: 1-line block ×13, first 2 shown]
	v_mov_b32_e32 v95, v33
	v_dual_mov_b32 v19, v20 :: v_dual_mov_b32 v20, v2
	v_mov_b32_e32 v143, v9
	v_dual_mov_b32 v63, v87 :: v_dual_mov_b32 v68, v92
	v_dual_mov_b32 v64, v88 :: v_dual_mov_b32 v75, v135
	;; [unrolled: 1-line block ×11, first 2 shown]
	v_mov_b32_e32 v70, v94
	v_dual_mov_b32 v66, v90 :: v_dual_mov_b32 v71, v95
	v_dual_mov_b32 v76, v136 :: v_dual_mov_b32 v77, v137
	v_dual_mov_b32 v82, v142 :: v_dual_mov_b32 v83, v143
	v_dual_mov_b32 v72, v34 :: v_dual_mov_b32 v73, v35
	v_dual_mov_b32 v84, v10 :: v_dual_mov_b32 v85, v11
	v_dual_mov_b32 v86, v12 :: v_dual_mov_b32 v53, v125
	v_dual_mov_b32 v54, v126 :: v_dual_mov_b32 v55, v127
	v_dual_mov_b32 v56, v128 :: v_dual_mov_b32 v57, v129
	v_dual_mov_b32 v58, v130 :: v_dual_mov_b32 v59, v131
	v_dual_mov_b32 v60, v132 :: v_dual_mov_b32 v61, v133
	v_dual_mov_b32 v62, v134 :: v_dual_mov_b32 v101, v149
	v_dual_mov_b32 v102, v150 :: v_dual_mov_b32 v103, v151
	v_dual_mov_b32 v104, v152 :: v_dual_mov_b32 v105, v153
	v_dual_mov_b32 v106, v154 :: v_dual_mov_b32 v107, v155
	v_dual_mov_b32 v108, v156 :: v_dual_mov_b32 v109, v157
	v_mov_b32_e32 v110, v158
	v_dual_mov_b32 v1, v2 :: v_dual_mov_b32 v8, v7
	v_mov_b32_e32 v32, v31
.LBB164_39:
	s_or_b32 exec_lo, exec_lo, s2
	v_mov_b32_e32 v2, v21
	s_mov_b32 s2, exec_lo
	v_cmpx_lt_f32_e32 v1, v21
	s_cbranch_execz .LBB164_41
; %bb.40:
	v_mov_b32_e32 v58, v9
	v_mov_b32_e32 v106, v33
	v_dual_mov_b32 v146, v62 :: v_dual_mov_b32 v143, v59
	v_mov_b32_e32 v87, v99
	s_delay_alu instid0(VALU_DEP_3)
	v_dual_mov_b32 v141, v57 :: v_dual_mov_b32 v94, v106
	v_dual_mov_b32 v95, v107 :: v_dual_mov_b32 v140, v56
	;; [unrolled: 1-line block ×6, first 2 shown]
	v_mov_b32_e32 v95, v32
	v_dual_mov_b32 v143, v8 :: v_dual_mov_b32 v20, v21
	v_dual_mov_b32 v88, v100 :: v_dual_mov_b32 v89, v101
	;; [unrolled: 1-line block ×7, first 2 shown]
	s_delay_alu instid0(VALU_DEP_2)
	v_dual_mov_b32 v75, v135 :: v_dual_mov_b32 v76, v136
	v_dual_mov_b32 v122, v62 :: v_dual_mov_b32 v117, v57
	v_dual_mov_b32 v71, v95 :: v_dual_mov_b32 v72, v96
	v_dual_mov_b32 v73, v97 :: v_dual_mov_b32 v74, v98
	v_dual_mov_b32 v83, v143 :: v_dual_mov_b32 v84, v144
	v_dual_mov_b32 v85, v145 :: v_dual_mov_b32 v86, v146
	v_dual_mov_b32 v114, v54 :: v_dual_mov_b32 v39, v99
	v_dual_mov_b32 v65, v89 :: v_dual_mov_b32 v66, v90
	v_dual_mov_b32 v67, v91 :: v_dual_mov_b32 v68, v92
	v_dual_mov_b32 v69, v93 :: v_dual_mov_b32 v70, v94
	v_dual_mov_b32 v77, v137 :: v_dual_mov_b32 v78, v138
	v_dual_mov_b32 v79, v139 :: v_dual_mov_b32 v80, v140
	v_dual_mov_b32 v81, v141 :: v_dual_mov_b32 v82, v142
	v_dual_mov_b32 v72, v34 :: v_dual_mov_b32 v73, v35
	v_dual_mov_b32 v74, v36 :: v_dual_mov_b32 v85, v11
	v_dual_mov_b32 v84, v10 :: v_dual_mov_b32 v121, v61
	v_dual_mov_b32 v86, v12 :: v_dual_mov_b32 v119, v59
	v_dual_mov_b32 v120, v60 :: v_dual_mov_b32 v115, v55
	v_dual_mov_b32 v118, v58 :: v_dual_mov_b32 v113, v53
	v_dual_mov_b32 v116, v56 :: v_dual_mov_b32 v111, v51
	v_dual_mov_b32 v112, v52 :: v_dual_mov_b32 v41, v101
	v_dual_mov_b32 v40, v100 :: v_dual_mov_b32 v43, v103
	v_dual_mov_b32 v42, v102 :: v_dual_mov_b32 v45, v105
	v_dual_mov_b32 v44, v104 :: v_dual_mov_b32 v47, v107
	v_dual_mov_b32 v46, v106 :: v_dual_mov_b32 v49, v109
	v_mov_b32_e32 v48, v108
	v_dual_mov_b32 v50, v110 :: v_dual_mov_b32 v9, v8
	v_dual_mov_b32 v2, v1 :: v_dual_mov_b32 v33, v32
.LBB164_41:
	s_or_b32 exec_lo, exec_lo, s2
	v_mov_b32_e32 v3, v22
	s_mov_b32 s2, exec_lo
	s_delay_alu instid0(VALU_DEP_2)
	v_cmpx_lt_f32_e32 v2, v22
	s_cbranch_execz .LBB164_43
; %bb.42:
	v_mov_b32_e32 v47, v34
	v_mov_b32_e32 v74, v50
	v_dual_mov_b32 v21, v22 :: v_dual_mov_b32 v72, v48
	v_dual_mov_b32 v72, v33 :: v_dual_mov_b32 v119, v10
	;; [unrolled: 1-line block ×3, first 2 shown]
	v_mov_b32_e32 v78, v114
	v_dual_mov_b32 v22, v2 :: v_dual_mov_b32 v73, v49
	v_dual_mov_b32 v81, v117 :: v_dual_mov_b32 v84, v120
	;; [unrolled: 1-line block ×7, first 2 shown]
	v_mov_b32_e32 v69, v45
	v_dual_mov_b32 v67, v43 :: v_dual_mov_b32 v66, v42
	v_dual_mov_b32 v65, v41 :: v_dual_mov_b32 v64, v40
	;; [unrolled: 1-line block ×18, first 2 shown]
	v_mov_b32_e32 v34, v33
.LBB164_43:
	s_or_b32 exec_lo, exec_lo, s2
	v_mov_b32_e32 v1, v23
	s_mov_b32 s2, exec_lo
	v_cmpx_lt_f32_e32 v3, v23
	s_cbranch_execz .LBB164_45
; %bb.44:
	v_dual_mov_b32 v144, v11 :: v_dual_mov_b32 v145, v10
	v_dual_mov_b32 v96, v35 :: v_dual_mov_b32 v97, v34
	v_mov_b32_e32 v146, v12
	v_mov_b32_e32 v22, v23
	v_dual_mov_b32 v23, v3 :: v_dual_mov_b32 v98, v36
	v_dual_mov_b32 v75, v135 :: v_dual_mov_b32 v84, v144
	;; [unrolled: 1-line block ×3, first 2 shown]
	v_mov_b32_e32 v79, v139
	v_dual_mov_b32 v77, v137 :: v_dual_mov_b32 v78, v138
	v_dual_mov_b32 v81, v141 :: v_dual_mov_b32 v80, v140
	;; [unrolled: 1-line block ×10, first 2 shown]
.LBB164_45:
	s_or_b32 exec_lo, exec_lo, s2
	s_delay_alu instid0(VALU_DEP_1)
	v_cmp_lt_f32_e32 vcc_lo, v1, v24
	v_mov_b32_e32 v42, v78
	v_cmp_lt_f32_e64 s2, v13, v14
	v_dual_mov_b32 v40, v76 :: v_dual_mov_b32 v41, v77
	v_dual_cndmask_b32 v12, v24, v1 :: v_dual_mov_b32 v43, v79
	v_dual_cndmask_b32 v23, v23, v24 :: v_dual_cndmask_b32 v50, v86, v85
	s_delay_alu instid0(VALU_DEP_2) | instskip(SKIP_2) | instid1(VALU_DEP_3)
	v_dual_mov_b32 v39, v75 :: v_dual_mov_b32 v24, v12
	v_dual_cndmask_b32 v49, v85, v86 :: v_dual_mov_b32 v44, v80
	v_dual_cndmask_b32 v61, v73, v74 :: v_dual_cndmask_b32 v62, v74, v73
	v_dual_mov_b32 v38, v24 :: v_dual_mov_b32 v35, v21
	v_dual_mov_b32 v37, v23 :: v_dual_mov_b32 v36, v22
	;; [unrolled: 1-line block ×13, first 2 shown]
	s_and_saveexec_b32 s3, s2
	s_delay_alu instid0(SALU_CYCLE_1)
	s_xor_b32 s2, exec_lo, s3
	s_cbranch_execz .LBB164_47
; %bb.46:
	v_dual_mov_b32 v1, v14 :: v_dual_mov_b32 v2, v13
	v_dual_mov_b32 v3, v15 :: v_dual_mov_b32 v4, v16
	;; [unrolled: 1-line block ×6, first 2 shown]
	s_delay_alu instid0(VALU_DEP_2) | instskip(NEXT) | instid1(VALU_DEP_2)
	v_dual_mov_b32 v38, v12 :: v_dual_mov_b32 v35, v9
	v_dual_mov_b32 v36, v10 :: v_dual_mov_b32 v37, v11
	;; [unrolled: 1-line block ×16, first 2 shown]
.LBB164_47:
	s_or_b32 exec_lo, exec_lo, s2
	v_dual_mov_b32 v13, v29 :: v_dual_mov_b32 v122, v50
	v_dual_mov_b32 v15, v39 :: v_dual_mov_b32 v16, v40
	;; [unrolled: 1-line block ×30, first 2 shown]
	v_mov_b32_e32 v135, v39
	s_clause 0x2
	scratch_store_b128 off, v[39:42], off offset:48
	scratch_store_b128 off, v[43:46], off offset:64
	;; [unrolled: 1-line block ×3, first 2 shown]
	v_dual_mov_b32 v1, v51 :: v_dual_mov_b32 v4, v54
	v_dual_mov_b32 v11, v61 :: v_dual_mov_b32 v74, v62
	;; [unrolled: 1-line block ×34, first 2 shown]
	v_mov_b32_e32 v159, v51
	s_mov_b32 s2, exec_lo
	v_dual_mov_b32 v73, v61 :: v_dual_mov_b32 v72, v60
	v_mov_b32_e32 v2, v52
	s_clause 0x2
	scratch_store_b128 off, v[51:54], off
	scratch_store_b128 off, v[55:58], off offset:16
	scratch_store_b128 off, v[59:62], off offset:32
	v_dual_mov_b32 v182, v50 :: v_dual_mov_b32 v181, v49
	v_dual_mov_b32 v180, v48 :: v_dual_mov_b32 v179, v47
	v_dual_mov_b32 v178, v46 :: v_dual_mov_b32 v177, v45
	v_dual_mov_b32 v176, v44 :: v_dual_mov_b32 v175, v43
	v_dual_mov_b32 v174, v42 :: v_dual_mov_b32 v173, v41
	v_dual_mov_b32 v172, v40 :: v_dual_mov_b32 v171, v39
	v_cmpx_lt_f32_e32 v14, v29
	s_cbranch_execz .LBB164_49
; %bb.48:
	v_dual_mov_b32 v170, v62 :: v_dual_mov_b32 v169, v61
	v_dual_mov_b32 v162, v54 :: v_dual_mov_b32 v161, v53
	;; [unrolled: 1-line block ×7, first 2 shown]
	s_clause 0x2
	scratch_store_b128 off, v[159:162], off
	scratch_store_b128 off, v[163:166], off offset:16
	scratch_store_b128 off, v[167:170], off offset:32
	v_dual_mov_b32 v182, v50 :: v_dual_mov_b32 v181, v49
	v_dual_mov_b32 v172, v40 :: v_dual_mov_b32 v171, v39
	;; [unrolled: 1-line block ×8, first 2 shown]
	s_delay_alu instid0(VALU_DEP_3)
	v_dual_mov_b32 v140, v176 :: v_dual_mov_b32 v141, v177
	v_dual_mov_b32 v138, v174 :: v_dual_mov_b32 v139, v175
	;; [unrolled: 1-line block ×3, first 2 shown]
	v_mov_b32_e32 v146, v182
	v_dual_mov_b32 v136, v172 :: v_dual_mov_b32 v137, v173
	v_mov_b32_e32 v138, v42
	v_dual_mov_b32 v142, v178 :: v_dual_mov_b32 v143, v179
	v_mov_b32_e32 v53, v52
	v_mov_b32_e32 v139, v43
	;; [unrolled: 1-line block ×3, first 2 shown]
	v_dual_mov_b32 v147, v159 :: v_dual_mov_b32 v148, v160
	v_mov_b32_e32 v151, v163
	v_dual_mov_b32 v149, v161 :: v_dual_mov_b32 v150, v162
	v_dual_mov_b32 v153, v165 :: v_dual_mov_b32 v152, v164
	;; [unrolled: 1-line block ×16, first 2 shown]
	v_mov_b32_e32 v122, v146
	v_dual_mov_b32 v114, v138 :: v_dual_mov_b32 v117, v141
	v_dual_mov_b32 v116, v140 :: v_dual_mov_b32 v119, v143
	;; [unrolled: 1-line block ×14, first 2 shown]
	v_mov_b32_e32 v82, v118
	v_dual_mov_b32 v76, v112 :: v_dual_mov_b32 v81, v117
	v_dual_mov_b32 v80, v116 :: v_dual_mov_b32 v85, v121
	;; [unrolled: 1-line block ×6, first 2 shown]
	v_mov_b32_e32 v81, v45
	v_dual_mov_b32 v65, v89 :: v_dual_mov_b32 v72, v96
	v_mov_b32_e32 v29, v14
	s_delay_alu instid0(VALU_DEP_3)
	v_dual_mov_b32 v110, v86 :: v_dual_mov_b32 v105, v81
	v_dual_mov_b32 v70, v94 :: v_dual_mov_b32 v73, v97
	;; [unrolled: 1-line block ×11, first 2 shown]
	v_mov_b32_e32 v106, v46
	s_clause 0x2
	scratch_store_b128 off, v[1:4], off offset:48
	scratch_store_b128 off, v[5:8], off offset:64
	;; [unrolled: 1-line block ×3, first 2 shown]
	v_dual_mov_b32 v100, v76 :: v_dual_mov_b32 v1, v63
	v_dual_mov_b32 v10, v72 :: v_dual_mov_b32 v3, v65
	;; [unrolled: 1-line block ×16, first 2 shown]
	v_mov_b32_e32 v26, v50
.LBB164_49:
	s_or_b32 exec_lo, exec_lo, s2
	v_mov_b32_e32 v14, v30
	s_mov_b32 s2, exec_lo
	v_cmpx_lt_f32_e32 v13, v30
	s_cbranch_execz .LBB164_51
; %bb.50:
	s_clause 0x2
	scratch_load_b128 v[1:4], off, off
	scratch_load_b128 v[5:8], off, off offset:16
	scratch_load_b128 v[9:12], off, off offset:32
	v_mov_b32_e32 v161, v54
	v_dual_mov_b32 v29, v30 :: v_dual_mov_b32 v30, v13
	v_mov_b32_e32 v54, v53
	s_waitcnt vmcnt(0)
	v_dual_mov_b32 v170, v12 :: v_dual_mov_b32 v169, v11
	v_mov_b32_e32 v162, v4
	v_dual_mov_b32 v162, v53 :: v_dual_mov_b32 v173, v42
	v_dual_mov_b32 v160, v2 :: v_dual_mov_b32 v135, v171
	;; [unrolled: 1-line block ×4, first 2 shown]
	v_mov_b32_e32 v165, v7
	s_delay_alu instid0(VALU_DEP_3)
	v_dual_mov_b32 v1, v159 :: v_dual_mov_b32 v2, v160
	v_dual_mov_b32 v136, v172 :: v_dual_mov_b32 v3, v161
	v_mov_b32_e32 v138, v174
	v_dual_mov_b32 v164, v6 :: v_dual_mov_b32 v163, v5
	s_clause 0x2
	scratch_store_b128 off, v[1:4], off
	scratch_store_b128 off, v[5:8], off offset:16
	scratch_store_b128 off, v[9:12], off offset:32
	v_dual_mov_b32 v137, v173 :: v_dual_mov_b32 v140, v176
	v_dual_mov_b32 v138, v41 :: v_dual_mov_b32 v147, v159
	v_dual_mov_b32 v139, v175 :: v_dual_mov_b32 v142, v178
	v_dual_mov_b32 v145, v181 :: v_dual_mov_b32 v148, v160
	v_dual_mov_b32 v151, v163 :: v_dual_mov_b32 v152, v164
	v_dual_mov_b32 v141, v177 :: v_dual_mov_b32 v144, v180
	v_dual_mov_b32 v143, v179 :: v_dual_mov_b32 v146, v182
	v_dual_mov_b32 v149, v161 :: v_dual_mov_b32 v150, v162
	v_dual_mov_b32 v153, v165 :: v_dual_mov_b32 v154, v166
	v_dual_mov_b32 v155, v167 :: v_dual_mov_b32 v156, v168
	v_dual_mov_b32 v157, v169 :: v_dual_mov_b32 v158, v170
	v_dual_mov_b32 v151, v55 :: v_dual_mov_b32 v6, v140
	v_mov_b32_e32 v139, v43
	v_dual_mov_b32 v123, v147 :: v_dual_mov_b32 v126, v150
	v_dual_mov_b32 v124, v148 :: v_dual_mov_b32 v111, v135
	;; [unrolled: 1-line block ×3, first 2 shown]
	s_delay_alu instid0(VALU_DEP_4)
	v_dual_mov_b32 v128, v152 :: v_dual_mov_b32 v115, v139
	v_dual_mov_b32 v116, v140 :: v_dual_mov_b32 v121, v145
	;; [unrolled: 1-line block ×6, first 2 shown]
	v_mov_b32_e32 v128, v56
	v_dual_mov_b32 v116, v44 :: v_dual_mov_b32 v87, v123
	v_dual_mov_b32 v113, v137 :: v_dual_mov_b32 v114, v138
	;; [unrolled: 1-line block ×17, first 2 shown]
	v_mov_b32_e32 v81, v45
	v_dual_mov_b32 v7, v141 :: v_dual_mov_b32 v8, v142
	v_dual_mov_b32 v9, v143 :: v_dual_mov_b32 v10, v144
	;; [unrolled: 1-line block ×5, first 2 shown]
	v_mov_b32_e32 v64, v88
	v_dual_mov_b32 v110, v86 :: v_dual_mov_b32 v109, v85
	v_dual_mov_b32 v65, v89 :: v_dual_mov_b32 v68, v92
	v_dual_mov_b32 v67, v91 :: v_dual_mov_b32 v70, v94
	v_dual_mov_b32 v71, v95 :: v_dual_mov_b32 v74, v98
	v_dual_mov_b32 v104, v80 :: v_dual_mov_b32 v99, v75
	v_dual_mov_b32 v69, v93 :: v_dual_mov_b32 v72, v96
	v_dual_mov_b32 v73, v97 :: v_dual_mov_b32 v70, v58
	v_dual_mov_b32 v14, v13 :: v_dual_mov_b32 v107, v83
	v_dual_mov_b32 v108, v84 :: v_dual_mov_b32 v105, v81
	v_dual_mov_b32 v106, v82 :: v_dual_mov_b32 v101, v77
	v_mov_b32_e32 v102, v78
	v_dual_mov_b32 v42, v41 :: v_dual_mov_b32 v103, v79
	v_mov_b32_e32 v100, v76
	v_mov_b32_e32 v106, v46
	s_clause 0x2
	scratch_store_b128 off, v[1:4], off offset:48
	scratch_store_b128 off, v[5:8], off offset:64
	;; [unrolled: 1-line block ×3, first 2 shown]
	v_mov_b32_e32 v1, v63
	v_mov_b32_e32 v5, v67
	v_dual_mov_b32 v3, v65 :: v_dual_mov_b32 v12, v74
	v_dual_mov_b32 v15, v99 :: v_dual_mov_b32 v4, v66
	;; [unrolled: 1-line block ×14, first 2 shown]
	v_mov_b32_e32 v24, v48
	v_mov_b32_e32 v26, v50
.LBB164_51:
	s_or_b32 exec_lo, exec_lo, s2
	v_mov_b32_e32 v13, v31
	s_mov_b32 s2, exec_lo
	v_cmpx_lt_f32_e32 v14, v31
	s_cbranch_execz .LBB164_53
; %bb.52:
	s_clause 0x2
	scratch_load_b128 v[1:4], off, off
	scratch_load_b128 v[5:8], off, off offset:16
	scratch_load_b128 v[9:12], off, off offset:32
	v_dual_mov_b32 v30, v31 :: v_dual_mov_b32 v31, v14
	v_dual_mov_b32 v13, v14 :: v_dual_mov_b32 v162, v55
	v_mov_b32_e32 v55, v54
	s_waitcnt vmcnt(2)
	v_dual_mov_b32 v161, v3 :: v_dual_mov_b32 v160, v2
	s_waitcnt vmcnt(0)
	v_dual_mov_b32 v159, v1 :: v_dual_mov_b32 v170, v12
	v_dual_mov_b32 v169, v11 :: v_dual_mov_b32 v168, v10
	;; [unrolled: 1-line block ×8, first 2 shown]
	s_delay_alu instid0(VALU_DEP_4)
	v_dual_mov_b32 v151, v163 :: v_dual_mov_b32 v156, v168
	v_dual_mov_b32 v157, v169 :: v_dual_mov_b32 v136, v172
	;; [unrolled: 1-line block ×8, first 2 shown]
	v_mov_b32_e32 v145, v181
	v_mov_b32_e32 v139, v42
	;; [unrolled: 1-line block ×3, first 2 shown]
	v_dual_mov_b32 v146, v182 :: v_dual_mov_b32 v123, v147
	v_dual_mov_b32 v111, v135 :: v_dual_mov_b32 v112, v136
	;; [unrolled: 1-line block ×3, first 2 shown]
	s_delay_alu instid0(VALU_DEP_4)
	v_dual_mov_b32 v124, v148 :: v_dual_mov_b32 v127, v151
	v_dual_mov_b32 v128, v152 :: v_dual_mov_b32 v131, v155
	;; [unrolled: 1-line block ×9, first 2 shown]
	v_mov_b32_e32 v120, v144
	v_dual_mov_b32 v116, v44 :: v_dual_mov_b32 v87, v123
	v_mov_b32_e32 v114, v138
	v_dual_mov_b32 v98, v134 :: v_dual_mov_b32 v75, v111
	v_dual_mov_b32 v88, v124 :: v_dual_mov_b32 v89, v125
	;; [unrolled: 1-line block ×3, first 2 shown]
	v_mov_b32_e32 v86, v122
	v_dual_mov_b32 v90, v126 :: v_dual_mov_b32 v91, v127
	v_dual_mov_b32 v92, v128 :: v_dual_mov_b32 v93, v129
	;; [unrolled: 1-line block ×8, first 2 shown]
	v_mov_b32_e32 v79, v115
	v_mov_b32_e32 v81, v45
	v_dual_mov_b32 v63, v87 :: v_dual_mov_b32 v66, v90
	v_dual_mov_b32 v64, v88 :: v_dual_mov_b32 v73, v97
	;; [unrolled: 1-line block ×9, first 2 shown]
	v_mov_b32_e32 v108, v84
	v_dual_mov_b32 v106, v46 :: v_dual_mov_b32 v1, v63
	v_dual_mov_b32 v105, v81 :: v_dual_mov_b32 v104, v80
	;; [unrolled: 1-line block ×19, first 2 shown]
	v_mov_b32_e32 v26, v50
	v_mov_b32_e32 v43, v42
	s_clause 0x2
	scratch_store_b128 off, v[171:174], off offset:48
	scratch_store_b128 off, v[175:178], off offset:64
	;; [unrolled: 1-line block ×3, first 2 shown]
.LBB164_53:
	s_or_b32 exec_lo, exec_lo, s2
	v_mov_b32_e32 v14, v32
	s_mov_b32 s2, exec_lo
	v_cmpx_lt_f32_e32 v13, v32
	s_cbranch_execz .LBB164_55
; %bb.54:
	s_clause 0x2
	scratch_load_b128 v[1:4], off, off offset:48
	scratch_load_b128 v[5:8], off, off offset:64
	;; [unrolled: 1-line block ×3, first 2 shown]
	v_dual_mov_b32 v163, v56 :: v_dual_mov_b32 v14, v13
	v_dual_mov_b32 v56, v55 :: v_dual_mov_b32 v31, v32
	s_waitcnt vmcnt(2)
	v_dual_mov_b32 v138, v4 :: v_dual_mov_b32 v137, v3
	s_waitcnt vmcnt(0)
	v_dual_mov_b32 v146, v12 :: v_dual_mov_b32 v145, v11
	v_dual_mov_b32 v136, v2 :: v_dual_mov_b32 v135, v1
	;; [unrolled: 1-line block ×17, first 2 shown]
	v_mov_b32_e32 v120, v144
	v_mov_b32_e32 v116, v43
	v_dual_mov_b32 v87, v123 :: v_dual_mov_b32 v88, v124
	v_dual_mov_b32 v89, v125 :: v_dual_mov_b32 v98, v134
	;; [unrolled: 1-line block ×12, first 2 shown]
	v_mov_b32_e32 v79, v115
	v_mov_b32_e32 v81, v45
	v_dual_mov_b32 v63, v87 :: v_dual_mov_b32 v66, v90
	v_dual_mov_b32 v64, v88 :: v_dual_mov_b32 v73, v97
	;; [unrolled: 1-line block ×8, first 2 shown]
	v_mov_b32_e32 v70, v58
	v_dual_mov_b32 v106, v46 :: v_dual_mov_b32 v65, v89
	v_dual_mov_b32 v68, v92 :: v_dual_mov_b32 v105, v81
	;; [unrolled: 1-line block ×4, first 2 shown]
	v_mov_b32_e32 v100, v76
	v_dual_mov_b32 v32, v13 :: v_dual_mov_b32 v1, v63
	v_dual_mov_b32 v12, v74 :: v_dual_mov_b32 v15, v99
	v_mov_b32_e32 v26, v110
	v_dual_mov_b32 v8, v70 :: v_dual_mov_b32 v9, v71
	v_dual_mov_b32 v10, v72 :: v_dual_mov_b32 v11, v73
	;; [unrolled: 1-line block ×20, first 2 shown]
	v_mov_b32_e32 v44, v43
.LBB164_55:
	s_or_b32 exec_lo, exec_lo, s2
	v_mov_b32_e32 v13, v33
	s_mov_b32 s2, exec_lo
	v_cmpx_lt_f32_e32 v14, v33
	s_cbranch_execz .LBB164_57
; %bb.56:
	v_mov_b32_e32 v140, v45
	v_dual_mov_b32 v152, v57 :: v_dual_mov_b32 v75, v135
	v_dual_mov_b32 v87, v147 :: v_dual_mov_b32 v90, v150
	;; [unrolled: 1-line block ×3, first 2 shown]
	s_delay_alu instid0(VALU_DEP_3)
	v_dual_mov_b32 v92, v152 :: v_dual_mov_b32 v93, v153
	v_dual_mov_b32 v76, v136 :: v_dual_mov_b32 v79, v139
	;; [unrolled: 1-line block ×6, first 2 shown]
	v_mov_b32_e32 v93, v56
	v_dual_mov_b32 v84, v144 :: v_dual_mov_b32 v63, v87
	v_dual_mov_b32 v78, v138 :: v_dual_mov_b32 v81, v141
	v_dual_mov_b32 v82, v142 :: v_dual_mov_b32 v85, v145
	v_dual_mov_b32 v80, v140 :: v_dual_mov_b32 v83, v143
	v_dual_mov_b32 v81, v44 :: v_dual_mov_b32 v66, v90
	s_delay_alu instid0(VALU_DEP_3) | instskip(SKIP_1) | instid1(VALU_DEP_4)
	v_dual_mov_b32 v110, v86 :: v_dual_mov_b32 v109, v85
	v_dual_mov_b32 v100, v76 :: v_dual_mov_b32 v99, v75
	;; [unrolled: 1-line block ×11, first 2 shown]
	v_mov_b32_e32 v106, v46
	v_dual_mov_b32 v70, v58 :: v_dual_mov_b32 v15, v99
	v_dual_mov_b32 v1, v63 :: v_dual_mov_b32 v24, v108
	;; [unrolled: 1-line block ×3, first 2 shown]
	s_delay_alu instid0(VALU_DEP_3)
	v_dual_mov_b32 v8, v70 :: v_dual_mov_b32 v9, v71
	v_dual_mov_b32 v10, v72 :: v_dual_mov_b32 v11, v73
	;; [unrolled: 1-line block ×26, first 2 shown]
	v_mov_b32_e32 v13, v14
	v_dual_mov_b32 v134, v158 :: v_dual_mov_b32 v45, v44
	v_mov_b32_e32 v57, v56
.LBB164_57:
	s_or_b32 exec_lo, exec_lo, s2
	v_mov_b32_e32 v14, v34
	s_mov_b32 s2, exec_lo
	v_cmpx_lt_f32_e32 v13, v34
	s_cbranch_execz .LBB164_59
; %bb.58:
	v_mov_b32_e32 v129, v58
	v_dual_mov_b32 v63, v123 :: v_dual_mov_b32 v70, v130
	v_dual_mov_b32 v70, v57 :: v_dual_mov_b32 v71, v131
	;; [unrolled: 1-line block ×22, first 2 shown]
	v_mov_b32_e32 v34, v13
	v_dual_mov_b32 v3, v65 :: v_dual_mov_b32 v4, v66
	v_dual_mov_b32 v5, v67 :: v_dual_mov_b32 v6, v68
	;; [unrolled: 1-line block ×20, first 2 shown]
	v_mov_b32_e32 v14, v13
	v_mov_b32_e32 v46, v45
	;; [unrolled: 1-line block ×3, first 2 shown]
.LBB164_59:
	s_or_b32 exec_lo, exec_lo, s2
	v_mov_b32_e32 v13, v35
	s_mov_b32 s2, exec_lo
	v_cmpx_lt_f32_e32 v14, v35
	s_cbranch_execz .LBB164_61
; %bb.60:
	v_mov_b32_e32 v94, v59
	v_dual_mov_b32 v34, v35 :: v_dual_mov_b32 v35, v14
	v_mov_b32_e32 v82, v47
	v_dual_mov_b32 v1, v87 :: v_dual_mov_b32 v2, v88
	v_dual_mov_b32 v10, v96 :: v_dual_mov_b32 v7, v93
	;; [unrolled: 1-line block ×13, first 2 shown]
	v_mov_b32_e32 v5, v91
	v_mov_b32_e32 v9, v58
	v_dual_mov_b32 v12, v62 :: v_dual_mov_b32 v17, v77
	v_dual_mov_b32 v16, v76 :: v_dual_mov_b32 v19, v79
	;; [unrolled: 1-line block ×14, first 2 shown]
	v_mov_b32_e32 v47, v46
	v_mov_b32_e32 v59, v58
	;; [unrolled: 1-line block ×3, first 2 shown]
.LBB164_61:
	s_or_b32 exec_lo, exec_lo, s2
	v_mov_b32_e32 v39, v36
	s_mov_b32 s2, exec_lo
	v_cmpx_lt_f32_e32 v13, v36
	s_cbranch_execz .LBB164_63
; %bb.62:
	v_dual_mov_b32 v71, v60 :: v_dual_mov_b32 v72, v59
	v_dual_mov_b32 v73, v61 :: v_dual_mov_b32 v108, v47
	;; [unrolled: 1-line block ×17, first 2 shown]
	v_mov_b32_e32 v39, v13
.LBB164_63:
	s_or_b32 exec_lo, exec_lo, s2
	s_delay_alu instid0(VALU_DEP_1)
	v_cmp_lt_f32_e32 vcc_lo, v39, v37
	v_dual_mov_b32 v40, v28 :: v_dual_mov_b32 v43, v31
	v_dual_mov_b32 v42, v30 :: v_dual_mov_b32 v45, v33
	v_dual_cndmask_b32 v13, v25, v24 :: v_dual_cndmask_b32 v24, v24, v25
	v_dual_cndmask_b32 v14, v11, v10 :: v_dual_cndmask_b32 v49, v37, v39
	v_dual_cndmask_b32 v10, v10, v11 :: v_dual_mov_b32 v39, v27
	v_dual_cndmask_b32 v48, v36, v37 :: v_dual_mov_b32 v41, v29
	v_dual_mov_b32 v44, v32 :: v_dual_mov_b32 v47, v35
	v_mov_b32_e32 v46, v34
	v_mov_b32_e32 v50, v38
	s_mov_b32 s2, exec_lo
	v_cmpx_lt_f32_e32 v27, v28
	s_cbranch_execz .LBB164_65
; %bb.64:
	v_dual_mov_b32 v28, v40 :: v_dual_mov_b32 v29, v39
	v_dual_mov_b32 v38, v49 :: v_dual_mov_b32 v39, v50
	;; [unrolled: 1-line block ×7, first 2 shown]
	v_mov_b32_e32 v11, v15
	v_swap_b32 v15, v16
	s_delay_alu instid0(VALU_DEP_4)
	v_mov_b32_e32 v48, v37
	v_swap_b32 v1, v2
	v_dual_mov_b32 v49, v38 :: v_dual_mov_b32 v46, v35
	v_dual_mov_b32 v47, v36 :: v_dual_mov_b32 v44, v33
	;; [unrolled: 1-line block ×4, first 2 shown]
	v_mov_b32_e32 v41, v30
	v_dual_mov_b32 v39, v28 :: v_dual_mov_b32 v28, v27
.LBB164_65:
	s_or_b32 exec_lo, exec_lo, s2
	v_mov_b32_e32 v11, v14
	v_dual_mov_b32 v25, v13 :: v_dual_mov_b32 v62, v12
	v_dual_mov_b32 v74, v26 :: v_dual_mov_b32 v63, v15
	v_mov_b32_e32 v86, v26
	v_dual_mov_b32 v72, v24 :: v_dual_mov_b32 v75, v15
	v_dual_mov_b32 v110, v26 :: v_dual_mov_b32 v53, v3
	;; [unrolled: 1-line block ×61, first 2 shown]
	v_mov_b32_e32 v149, v3
	v_mov_b32_e32 v147, v1
	;; [unrolled: 1-line block ×3, first 2 shown]
	s_mov_b32 s2, exec_lo
	v_dual_mov_b32 v85, v25 :: v_dual_mov_b32 v84, v24
	v_dual_mov_b32 v83, v23 :: v_dual_mov_b32 v82, v22
	s_clause 0x2
	scratch_store_b128 off, v[1:4], off
	scratch_store_b128 off, v[5:8], off offset:16
	scratch_store_b128 off, v[9:12], off offset:32
	v_cmpx_lt_f32_e32 v28, v41
	s_cbranch_execz .LBB164_67
; %bb.66:
	v_dual_mov_b32 v158, v12 :: v_dual_mov_b32 v157, v11
	v_dual_mov_b32 v150, v4 :: v_dual_mov_b32 v149, v3
	;; [unrolled: 1-line block ×7, first 2 shown]
	s_clause 0x2
	scratch_store_b128 off, v[147:150], off
	scratch_store_b128 off, v[151:154], off offset:16
	scratch_store_b128 off, v[155:158], off offset:32
	v_dual_mov_b32 v182, v26 :: v_dual_mov_b32 v181, v25
	v_dual_mov_b32 v172, v16 :: v_dual_mov_b32 v171, v15
	;; [unrolled: 1-line block ×8, first 2 shown]
	s_delay_alu instid0(VALU_DEP_4) | instskip(SKIP_1) | instid1(VALU_DEP_4)
	v_dual_mov_b32 v160, v172 :: v_dual_mov_b32 v161, v173
	v_dual_mov_b32 v162, v174 :: v_dual_mov_b32 v163, v175
	;; [unrolled: 1-line block ×4, first 2 shown]
	v_mov_b32_e32 v170, v182
	v_dual_mov_b32 v166, v178 :: v_dual_mov_b32 v167, v179
	v_mov_b32_e32 v162, v18
	v_dual_mov_b32 v40, v41 :: v_dual_mov_b32 v41, v28
	v_mov_b32_e32 v3, v2
	v_mov_b32_e32 v17, v16
	;; [unrolled: 1-line block ×3, first 2 shown]
	v_dual_mov_b32 v137, v149 :: v_dual_mov_b32 v144, v156
	v_dual_mov_b32 v123, v159 :: v_dual_mov_b32 v136, v148
	;; [unrolled: 1-line block ×12, first 2 shown]
	v_mov_b32_e32 v133, v169
	v_dual_mov_b32 v111, v135 :: v_dual_mov_b32 v112, v136
	v_dual_mov_b32 v99, v123 :: v_dual_mov_b32 v100, v124
	;; [unrolled: 1-line block ×12, first 2 shown]
	v_mov_b32_e32 v104, v20
	v_dual_mov_b32 v116, v6 :: v_dual_mov_b32 v75, v99
	v_mov_b32_e32 v87, v111
	v_dual_mov_b32 v93, v117 :: v_dual_mov_b32 v78, v102
	s_delay_alu instid0(VALU_DEP_3)
	v_dual_mov_b32 v81, v105 :: v_dual_mov_b32 v92, v116
	v_dual_mov_b32 v90, v114 :: v_dual_mov_b32 v91, v115
	;; [unrolled: 1-line block ×11, first 2 shown]
	v_mov_b32_e32 v51, v87
	v_dual_mov_b32 v63, v75 :: v_dual_mov_b32 v66, v78
	v_dual_mov_b32 v55, v91 :: v_dual_mov_b32 v58, v94
	;; [unrolled: 1-line block ×13, first 2 shown]
	v_mov_b32_e32 v60, v10
	v_dual_mov_b32 v61, v14 :: v_dual_mov_b32 v62, v12
	v_dual_mov_b32 v70, v22 :: v_dual_mov_b32 v71, v23
	;; [unrolled: 1-line block ×3, first 2 shown]
	v_mov_b32_e32 v74, v26
.LBB164_67:
	s_or_b32 exec_lo, exec_lo, s2
	v_mov_b32_e32 v1, v42
	v_cmp_lt_f32_e32 vcc_lo, v11, v42
	s_mov_b32 s2, exec_lo
	s_clause 0x2
	scratch_load_b128 v[27:30], off, off
	scratch_load_b128 v[31:34], off, off offset:16
	scratch_load_b128 v[35:38], off, off offset:32
	s_and_b32 s3, s2, vcc_lo
	s_delay_alu instid0(SALU_CYCLE_1)
	s_mov_b32 exec_lo, s3
	s_cbranch_execz .LBB164_69
; %bb.68:
	v_mov_b32_e32 v173, v18
	s_waitcnt vmcnt(2)
	v_mov_b32_e32 v29, v4
	v_dual_mov_b32 v159, v171 :: v_dual_mov_b32 v162, v174
	s_waitcnt vmcnt(0)
	v_dual_mov_b32 v158, v38 :: v_dual_mov_b32 v157, v37
	v_dual_mov_b32 v156, v36 :: v_dual_mov_b32 v147, v27
	;; [unrolled: 1-line block ×6, first 2 shown]
	v_mov_b32_e32 v168, v180
	v_dual_mov_b32 v164, v176 :: v_dual_mov_b32 v165, v177
	v_dual_mov_b32 v170, v182 :: v_dual_mov_b32 v155, v35
	;; [unrolled: 1-line block ×4, first 2 shown]
	v_mov_b32_e32 v162, v17
	v_dual_mov_b32 v169, v181 :: v_dual_mov_b32 v150, v3
	v_dual_mov_b32 v123, v159 :: v_dual_mov_b32 v124, v160
	;; [unrolled: 1-line block ×3, first 2 shown]
	s_delay_alu instid0(VALU_DEP_3)
	v_dual_mov_b32 v137, v149 :: v_dual_mov_b32 v138, v150
	v_dual_mov_b32 v139, v151 :: v_dual_mov_b32 v140, v152
	;; [unrolled: 1-line block ×10, first 2 shown]
	v_mov_b32_e32 v127, v19
	v_mov_b32_e32 v139, v5
	v_dual_mov_b32 v99, v123 :: v_dual_mov_b32 v100, v124
	v_dual_mov_b32 v111, v135 :: v_dual_mov_b32 v114, v138
	;; [unrolled: 1-line block ×4, first 2 shown]
	v_mov_b32_e32 v120, v144
	v_dual_mov_b32 v104, v128 :: v_dual_mov_b32 v105, v129
	v_dual_mov_b32 v110, v134 :: v_dual_mov_b32 v115, v139
	;; [unrolled: 1-line block ×22, first 2 shown]
	v_mov_b32_e32 v93, v7
	v_dual_mov_b32 v63, v75 :: v_dual_mov_b32 v68, v80
	v_dual_mov_b32 v64, v76 :: v_dual_mov_b32 v51, v87
	;; [unrolled: 1-line block ×3, first 2 shown]
	s_delay_alu instid0(VALU_DEP_4)
	v_dual_mov_b32 v58, v94 :: v_dual_mov_b32 v57, v93
	v_dual_mov_b32 v60, v96 :: v_dual_mov_b32 v59, v95
	;; [unrolled: 1-line block ×8, first 2 shown]
	v_mov_b32_e32 v60, v10
	v_dual_mov_b32 v52, v88 :: v_dual_mov_b32 v53, v89
	v_dual_mov_b32 v56, v92 :: v_dual_mov_b32 v59, v9
	;; [unrolled: 1-line block ×3, first 2 shown]
	v_mov_b32_e32 v72, v24
	v_dual_mov_b32 v70, v22 :: v_dual_mov_b32 v71, v23
	v_dual_mov_b32 v73, v13 :: v_dual_mov_b32 v74, v26
	;; [unrolled: 1-line block ×3, first 2 shown]
	v_mov_b32_e32 v4, v3
.LBB164_69:
	s_or_b32 exec_lo, exec_lo, s2
	v_mov_b32_e32 v2, v43
	s_mov_b32 s2, exec_lo
	v_cmpx_lt_f32_e32 v1, v43
	s_cbranch_execz .LBB164_71
; %bb.70:
	v_mov_b32_e32 v174, v19
	s_waitcnt vmcnt(2)
	v_dual_mov_b32 v30, v5 :: v_dual_mov_b32 v123, v171
	s_waitcnt vmcnt(0)
	v_dual_mov_b32 v146, v38 :: v_dual_mov_b32 v143, v35
	v_dual_mov_b32 v145, v37 :: v_dual_mov_b32 v142, v34
	s_delay_alu instid0(VALU_DEP_3)
	v_dual_mov_b32 v139, v31 :: v_dual_mov_b32 v138, v30
	v_dual_mov_b32 v135, v27 :: v_dual_mov_b32 v124, v172
	;; [unrolled: 1-line block ×5, first 2 shown]
	v_mov_b32_e32 v127, v18
	v_dual_mov_b32 v134, v182 :: v_dual_mov_b32 v139, v4
	v_dual_mov_b32 v144, v36 :: v_dual_mov_b32 v141, v33
	;; [unrolled: 1-line block ×5, first 2 shown]
	s_delay_alu instid0(VALU_DEP_3)
	v_dual_mov_b32 v111, v135 :: v_dual_mov_b32 v112, v136
	v_dual_mov_b32 v99, v123 :: v_dual_mov_b32 v100, v124
	;; [unrolled: 1-line block ×12, first 2 shown]
	v_mov_b32_e32 v104, v20
	v_dual_mov_b32 v116, v6 :: v_dual_mov_b32 v75, v99
	v_mov_b32_e32 v87, v111
	v_dual_mov_b32 v93, v117 :: v_dual_mov_b32 v78, v102
	s_delay_alu instid0(VALU_DEP_3)
	v_dual_mov_b32 v81, v105 :: v_dual_mov_b32 v92, v116
	v_dual_mov_b32 v80, v104 :: v_dual_mov_b32 v83, v107
	;; [unrolled: 1-line block ×11, first 2 shown]
	v_mov_b32_e32 v63, v75
	s_delay_alu instid0(VALU_DEP_4)
	v_dual_mov_b32 v51, v87 :: v_dual_mov_b32 v52, v88
	v_dual_mov_b32 v71, v83 :: v_dual_mov_b32 v72, v84
	;; [unrolled: 1-line block ×14, first 2 shown]
	v_mov_b32_e32 v68, v80
	v_dual_mov_b32 v58, v8 :: v_dual_mov_b32 v59, v9
	v_dual_mov_b32 v60, v10 :: v_dual_mov_b32 v71, v23
	v_dual_mov_b32 v61, v14 :: v_dual_mov_b32 v62, v12
	v_dual_mov_b32 v70, v22 :: v_dual_mov_b32 v73, v13
	v_dual_mov_b32 v74, v26 :: v_dual_mov_b32 v161, v173
	v_dual_mov_b32 v160, v172 :: v_dual_mov_b32 v163, v175
	v_dual_mov_b32 v162, v174 :: v_dual_mov_b32 v165, v177
	v_dual_mov_b32 v164, v176 :: v_dual_mov_b32 v167, v179
	v_dual_mov_b32 v166, v178 :: v_dual_mov_b32 v169, v181
	v_dual_mov_b32 v168, v180 :: v_dual_mov_b32 v157, v37
	v_dual_mov_b32 v170, v182 :: v_dual_mov_b32 v155, v35
	v_dual_mov_b32 v156, v36 :: v_dual_mov_b32 v151, v31
	v_dual_mov_b32 v154, v34 :: v_dual_mov_b32 v149, v29
	v_dual_mov_b32 v152, v32 :: v_dual_mov_b32 v147, v27
	v_dual_mov_b32 v150, v30 :: v_dual_mov_b32 v5, v4
	v_dual_mov_b32 v148, v28 :: v_dual_mov_b32 v19, v18
	v_mov_b32_e32 v2, v1
.LBB164_71:
	s_or_b32 exec_lo, exec_lo, s2
	v_mov_b32_e32 v1, v44
	s_mov_b32 s2, exec_lo
	s_delay_alu instid0(VALU_DEP_2)
	v_cmpx_lt_f32_e32 v2, v44
	s_cbranch_execz .LBB164_73
; %bb.72:
	v_mov_b32_e32 v163, v20
	v_mov_b32_e32 v151, v6
	v_dual_mov_b32 v99, v159 :: v_dual_mov_b32 v100, v160
	v_dual_mov_b32 v111, v147 :: v_dual_mov_b32 v112, v148
	;; [unrolled: 1-line block ×10, first 2 shown]
	v_mov_b32_e32 v108, v168
	v_dual_mov_b32 v104, v164 :: v_dual_mov_b32 v107, v167
	v_mov_b32_e32 v116, v5
	v_dual_mov_b32 v109, v169 :: v_dual_mov_b32 v104, v19
	v_dual_mov_b32 v87, v111 :: v_dual_mov_b32 v88, v112
	;; [unrolled: 1-line block ×13, first 2 shown]
	v_mov_b32_e32 v93, v7
	v_dual_mov_b32 v43, v44 :: v_dual_mov_b32 v44, v2
	v_mov_b32_e32 v81, v21
	v_dual_mov_b32 v51, v87 :: v_dual_mov_b32 v56, v92
	v_dual_mov_b32 v52, v88 :: v_dual_mov_b32 v63, v75
	;; [unrolled: 1-line block ×14, first 2 shown]
	v_mov_b32_e32 v136, v148
	v_dual_mov_b32 v54, v90 :: v_dual_mov_b32 v59, v9
	v_dual_mov_b32 v62, v12 :: v_dual_mov_b32 v61, v14
	v_mov_b32_e32 v72, v24
	v_dual_mov_b32 v70, v22 :: v_dual_mov_b32 v71, v23
	v_dual_mov_b32 v73, v13 :: v_dual_mov_b32 v74, v26
	;; [unrolled: 1-line block ×13, first 2 shown]
	v_mov_b32_e32 v6, v5
.LBB164_73:
	s_or_b32 exec_lo, exec_lo, s2
	v_mov_b32_e32 v2, v45
	s_mov_b32 s2, exec_lo
	v_cmpx_lt_f32_e32 v1, v45
	s_cbranch_execz .LBB164_75
; %bb.74:
	v_mov_b32_e32 v140, v7
	v_dual_mov_b32 v128, v21 :: v_dual_mov_b32 v87, v135
	v_mov_b32_e32 v93, v141
	v_mov_b32_e32 v93, v6
	;; [unrolled: 1-line block ×3, first 2 shown]
	v_dual_mov_b32 v92, v140 :: v_dual_mov_b32 v95, v143
	v_dual_mov_b32 v96, v144 :: v_dual_mov_b32 v97, v145
	;; [unrolled: 1-line block ×42, first 2 shown]
	v_mov_b32_e32 v2, v1
.LBB164_75:
	s_or_b32 exec_lo, exec_lo, s2
	v_mov_b32_e32 v1, v46
	s_mov_b32 s2, exec_lo
	s_delay_alu instid0(VALU_DEP_2)
	v_cmpx_lt_f32_e32 v2, v46
	s_cbranch_execz .LBB164_77
; %bb.76:
	v_mov_b32_e32 v117, v8
	v_mov_b32_e32 v45, v46
	;; [unrolled: 1-line block ×4, first 2 shown]
	v_dual_mov_b32 v51, v111 :: v_dual_mov_b32 v54, v114
	v_dual_mov_b32 v56, v116 :: v_dual_mov_b32 v63, v99
	v_dual_mov_b32 v66, v102 :: v_dual_mov_b32 v53, v113
	v_dual_mov_b32 v58, v118 :: v_dual_mov_b32 v55, v115
	v_dual_mov_b32 v60, v120 :: v_dual_mov_b32 v57, v117
	v_dual_mov_b32 v62, v122 :: v_dual_mov_b32 v59, v119
	v_dual_mov_b32 v60, v10 :: v_dual_mov_b32 v61, v121
	v_mov_b32_e32 v58, v7
	v_dual_mov_b32 v67, v103 :: v_dual_mov_b32 v70, v106
	v_dual_mov_b32 v69, v105 :: v_dual_mov_b32 v72, v108
	v_dual_mov_b32 v71, v107 :: v_dual_mov_b32 v74, v110
	v_dual_mov_b32 v73, v109 :: v_dual_mov_b32 v72, v24
	v_dual_mov_b32 v75, v99 :: v_dual_mov_b32 v76, v100
	v_dual_mov_b32 v87, v111 :: v_dual_mov_b32 v88, v112
	v_dual_mov_b32 v52, v112 :: v_dual_mov_b32 v59, v9
	v_dual_mov_b32 v62, v12 :: v_dual_mov_b32 v61, v14
	v_dual_mov_b32 v64, v100 :: v_dual_mov_b32 v65, v101
	v_mov_b32_e32 v68, v104
	v_dual_mov_b32 v70, v21 :: v_dual_mov_b32 v71, v23
	v_dual_mov_b32 v73, v13 :: v_dual_mov_b32 v74, v26
	;; [unrolled: 10-line block ×3, first 2 shown]
	v_dual_mov_b32 v95, v119 :: v_dual_mov_b32 v96, v120
	v_dual_mov_b32 v97, v121 :: v_dual_mov_b32 v98, v122
.LBB164_77:
	s_or_b32 exec_lo, exec_lo, s2
	v_mov_b32_e32 v2, v47
	s_mov_b32 s2, exec_lo
	v_cmpx_lt_f32_e32 v1, v47
	s_cbranch_execz .LBB164_79
; %bb.78:
	v_dual_mov_b32 v83, v22 :: v_dual_mov_b32 v84, v24
	v_dual_mov_b32 v94, v9 :: v_dual_mov_b32 v95, v8
	v_dual_mov_b32 v96, v10 :: v_dual_mov_b32 v85, v13
	v_dual_mov_b32 v97, v14 :: v_dual_mov_b32 v82, v23
	v_mov_b32_e32 v86, v26
	v_dual_mov_b32 v46, v47 :: v_dual_mov_b32 v47, v1
	v_dual_mov_b32 v98, v12 :: v_dual_mov_b32 v63, v75
	;; [unrolled: 1-line block ×13, first 2 shown]
	v_mov_b32_e32 v62, v98
	v_mov_b32_e32 v2, v1
.LBB164_79:
	s_or_b32 exec_lo, exec_lo, s2
	s_delay_alu instid0(VALU_DEP_1)
	v_cmp_lt_f32_e32 vcc_lo, v2, v48
	v_dual_mov_b32 v1, v39 :: v_dual_mov_b32 v6, v44
	v_dual_mov_b32 v3, v41 :: v_dual_mov_b32 v8, v46
	s_waitcnt vmcnt(0)
	v_dual_cndmask_b32 v37, v72, v71 :: v_dual_mov_b32 v4, v42
	v_dual_cndmask_b32 v71, v71, v72 :: v_dual_cndmask_b32 v38, v60, v59
	v_dual_cndmask_b32 v59, v59, v60 :: v_dual_cndmask_b32 v10, v48, v2
	v_dual_cndmask_b32 v9, v47, v48 :: v_dual_mov_b32 v2, v40
	v_dual_mov_b32 v5, v43 :: v_dual_mov_b32 v12, v50
	v_mov_b32_e32 v7, v45
	v_mov_b32_e32 v11, v49
	s_mov_b32 s2, exec_lo
	v_cmpx_lt_f32_e32 v39, v40
	s_cbranch_execz .LBB164_81
; %bb.80:
	v_dual_mov_b32 v13, v2 :: v_dual_mov_b32 v14, v1
	v_dual_mov_b32 v15, v3 :: v_dual_mov_b32 v16, v4
	v_dual_mov_b32 v17, v5 :: v_dual_mov_b32 v18, v6
	v_dual_mov_b32 v19, v7 :: v_dual_mov_b32 v20, v8
	v_dual_mov_b32 v21, v9 :: v_dual_mov_b32 v22, v10
	v_dual_mov_b32 v23, v11 :: v_dual_mov_b32 v24, v12
	v_mov_b32_e32 v25, v63
	v_dual_mov_b32 v26, v51 :: v_dual_mov_b32 v1, v13
	v_swap_b32 v63, v64
	v_swap_b32 v51, v52
	v_dual_mov_b32 v2, v14 :: v_dual_mov_b32 v3, v15
	v_dual_mov_b32 v4, v16 :: v_dual_mov_b32 v5, v17
	;; [unrolled: 1-line block ×5, first 2 shown]
	v_mov_b32_e32 v12, v24
	v_mov_b32_e32 v40, v39
.LBB164_81:
	s_or_b32 exec_lo, exec_lo, s2
	v_mov_b32_e32 v60, v38
	v_dual_mov_b32 v72, v37 :: v_dual_mov_b32 v13, v51
	v_dual_mov_b32 v25, v63 :: v_dual_mov_b32 v98, v74
	;; [unrolled: 1-line block ×60, first 2 shown]
	s_mov_b32 s2, exec_lo
	v_dual_mov_b32 v96, v72 :: v_dual_mov_b32 v93, v69
	v_cmpx_lt_f32_e32 v40, v3
	s_cbranch_execz .LBB164_83
; %bb.82:
	v_dual_mov_b32 v134, v62 :: v_dual_mov_b32 v133, v61
	v_dual_mov_b32 v124, v52 :: v_dual_mov_b32 v123, v51
	v_mov_b32_e32 v124, v53
	v_dual_mov_b32 v128, v56 :: v_dual_mov_b32 v127, v55
	v_dual_mov_b32 v132, v60 :: v_dual_mov_b32 v131, v59
	;; [unrolled: 1-line block ×11, first 2 shown]
	v_mov_b32_e32 v141, v69
	v_dual_mov_b32 v136, v65 :: v_dual_mov_b32 v137, v64
	v_dual_mov_b32 v160, v124 :: v_dual_mov_b32 v159, v123
	;; [unrolled: 1-line block ×40, first 2 shown]
	v_mov_b32_e32 v22, v84
	v_dual_mov_b32 v22, v38 :: v_dual_mov_b32 v25, v87
	v_dual_mov_b32 v16, v78 :: v_dual_mov_b32 v19, v81
	;; [unrolled: 1-line block ×16, first 2 shown]
	v_mov_b32_e32 v35, v73
	v_dual_mov_b32 v34, v37 :: v_dual_mov_b32 v39, v40
	v_dual_mov_b32 v36, v74 :: v_dual_mov_b32 v65, v64
	v_mov_b32_e32 v53, v52
.LBB164_83:
	s_or_b32 exec_lo, exec_lo, s2
	v_mov_b32_e32 v40, v4
	s_mov_b32 s2, exec_lo
	v_cmpx_lt_f32_e32 v39, v4
	s_cbranch_execz .LBB164_85
; %bb.84:
	v_mov_b32_e32 v137, v66
	v_mov_b32_e32 v125, v54
	;; [unrolled: 1-line block ×4, first 2 shown]
	v_dual_mov_b32 v170, v134 :: v_dual_mov_b32 v169, v133
	v_dual_mov_b32 v168, v132 :: v_dual_mov_b32 v159, v123
	;; [unrolled: 1-line block ×9, first 2 shown]
	v_mov_b32_e32 v157, v145
	v_dual_mov_b32 v155, v143 :: v_dual_mov_b32 v152, v140
	v_mov_b32_e32 v162, v53
	v_mov_b32_e32 v149, v137
	v_dual_mov_b32 v150, v65 :: v_dual_mov_b32 v111, v159
	v_dual_mov_b32 v112, v160 :: v_dual_mov_b32 v99, v147
	v_dual_mov_b32 v100, v148 :: v_dual_mov_b32 v115, v163
	v_dual_mov_b32 v116, v164 :: v_dual_mov_b32 v103, v151
	v_dual_mov_b32 v104, v152 :: v_dual_mov_b32 v113, v161
	v_dual_mov_b32 v114, v162 :: v_dual_mov_b32 v117, v165
	v_dual_mov_b32 v118, v166 :: v_dual_mov_b32 v119, v167
	v_dual_mov_b32 v120, v168 :: v_dual_mov_b32 v121, v169
	v_dual_mov_b32 v122, v170 :: v_dual_mov_b32 v101, v149
	v_dual_mov_b32 v102, v150 :: v_dual_mov_b32 v105, v153
	v_dual_mov_b32 v106, v154 :: v_dual_mov_b32 v107, v155
	v_dual_mov_b32 v108, v156 :: v_dual_mov_b32 v109, v157
	v_dual_mov_b32 v110, v158 :: v_dual_mov_b32 v103, v67
	v_mov_b32_e32 v115, v55
	v_dual_mov_b32 v87, v99 :: v_dual_mov_b32 v88, v100
	v_dual_mov_b32 v75, v111 :: v_dual_mov_b32 v78, v114
	;; [unrolled: 1-line block ×3, first 2 shown]
	s_delay_alu instid0(VALU_DEP_4)
	v_dual_mov_b32 v80, v116 :: v_dual_mov_b32 v79, v115
	v_dual_mov_b32 v82, v118 :: v_dual_mov_b32 v81, v117
	;; [unrolled: 1-line block ×6, first 2 shown]
	v_mov_b32_e32 v96, v108
	v_dual_mov_b32 v92, v104 :: v_dual_mov_b32 v93, v105
	v_dual_mov_b32 v98, v110 :: v_dual_mov_b32 v95, v107
	;; [unrolled: 1-line block ×21, first 2 shown]
	v_mov_b32_e32 v34, v37
	v_dual_mov_b32 v35, v73 :: v_dual_mov_b32 v36, v74
	v_mov_b32_e32 v40, v39
	v_mov_b32_e32 v66, v65
	;; [unrolled: 1-line block ×3, first 2 shown]
.LBB164_85:
	s_or_b32 exec_lo, exec_lo, s2
	v_mov_b32_e32 v39, v5
	s_mov_b32 s2, exec_lo
	v_cmpx_lt_f32_e32 v40, v5
	s_cbranch_execz .LBB164_87
; %bb.86:
	v_mov_b32_e32 v126, v55
	v_mov_b32_e32 v111, v123
	;; [unrolled: 1-line block ×3, first 2 shown]
	v_dual_mov_b32 v115, v54 :: v_dual_mov_b32 v116, v128
	v_dual_mov_b32 v138, v67 :: v_dual_mov_b32 v113, v125
	v_mov_b32_e32 v112, v124
	v_dual_mov_b32 v118, v130 :: v_dual_mov_b32 v119, v131
	v_dual_mov_b32 v120, v132 :: v_dual_mov_b32 v121, v133
	;; [unrolled: 1-line block ×24, first 2 shown]
	v_mov_b32_e32 v22, v84
	v_dual_mov_b32 v22, v38 :: v_dual_mov_b32 v25, v87
	v_dual_mov_b32 v16, v78 :: v_dual_mov_b32 v19, v81
	;; [unrolled: 1-line block ×18, first 2 shown]
	v_mov_b32_e32 v35, v73
	v_dual_mov_b32 v34, v37 :: v_dual_mov_b32 v155, v143
	v_dual_mov_b32 v36, v74 :: v_dual_mov_b32 v157, v145
	;; [unrolled: 1-line block ×12, first 2 shown]
	v_mov_b32_e32 v55, v54
.LBB164_87:
	s_or_b32 exec_lo, exec_lo, s2
	v_mov_b32_e32 v40, v6
	s_mov_b32 s2, exec_lo
	v_cmpx_lt_f32_e32 v39, v6
	s_cbranch_execz .LBB164_89
; %bb.88:
	v_mov_b32_e32 v163, v56
	v_dual_mov_b32 v75, v159 :: v_dual_mov_b32 v80, v164
	v_dual_mov_b32 v80, v55 :: v_dual_mov_b32 v81, v165
	v_dual_mov_b32 v151, v68 :: v_dual_mov_b32 v78, v162
	v_dual_mov_b32 v87, v147 :: v_dual_mov_b32 v90, v150
	v_dual_mov_b32 v77, v161 :: v_dual_mov_b32 v82, v166
	v_dual_mov_b32 v79, v163 :: v_dual_mov_b32 v84, v168
	v_dual_mov_b32 v83, v167 :: v_dual_mov_b32 v86, v170
	v_mov_b32_e32 v85, v169
	v_dual_mov_b32 v89, v149 :: v_dual_mov_b32 v92, v152
	v_dual_mov_b32 v91, v151 :: v_dual_mov_b32 v94, v154
	;; [unrolled: 1-line block ×6, first 2 shown]
	v_mov_b32_e32 v88, v148
	v_mov_b32_e32 v6, v39
	s_delay_alu instid0(VALU_DEP_3) | instskip(NEXT) | instid1(VALU_DEP_3)
	v_dual_mov_b32 v13, v75 :: v_dual_mov_b32 v14, v76
	v_dual_mov_b32 v25, v87 :: v_dual_mov_b32 v26, v88
	;; [unrolled: 1-line block ×30, first 2 shown]
	v_mov_b32_e32 v40, v39
	v_mov_b32_e32 v68, v67
	;; [unrolled: 1-line block ×3, first 2 shown]
.LBB164_89:
	s_or_b32 exec_lo, exec_lo, s2
	v_mov_b32_e32 v39, v7
	s_mov_b32 s2, exec_lo
	v_cmpx_lt_f32_e32 v40, v7
	s_cbranch_execz .LBB164_91
; %bb.90:
	v_mov_b32_e32 v116, v57
	v_dual_mov_b32 v6, v7 :: v_dual_mov_b32 v7, v40
	v_dual_mov_b32 v104, v69 :: v_dual_mov_b32 v13, v111
	v_mov_b32_e32 v22, v120
	v_dual_mov_b32 v22, v38 :: v_dual_mov_b32 v25, v99
	v_mov_b32_e32 v34, v108
	v_dual_mov_b32 v34, v37 :: v_dual_mov_b32 v87, v99
	v_dual_mov_b32 v16, v114 :: v_dual_mov_b32 v19, v117
	;; [unrolled: 1-line block ×12, first 2 shown]
	v_mov_b32_e32 v23, v61
	v_dual_mov_b32 v21, v59 :: v_dual_mov_b32 v24, v62
	v_dual_mov_b32 v27, v101 :: v_dual_mov_b32 v26, v100
	;; [unrolled: 1-line block ×3, first 2 shown]
	v_mov_b32_e32 v35, v73
	v_dual_mov_b32 v33, v71 :: v_dual_mov_b32 v36, v74
	v_dual_mov_b32 v89, v101 :: v_dual_mov_b32 v88, v100
	;; [unrolled: 1-line block ×9, first 2 shown]
	v_mov_b32_e32 v39, v40
	v_mov_b32_e32 v69, v68
	v_dual_mov_b32 v57, v56 :: v_dual_mov_b32 v94, v106
	v_dual_mov_b32 v97, v109 :: v_dual_mov_b32 v82, v118
	;; [unrolled: 1-line block ×3, first 2 shown]
.LBB164_91:
	s_or_b32 exec_lo, exec_lo, s2
	v_mov_b32_e32 v40, v8
	s_mov_b32 s2, exec_lo
	v_cmpx_lt_f32_e32 v39, v8
	s_cbranch_execz .LBB164_93
; %bb.92:
	v_dual_mov_b32 v81, v58 :: v_dual_mov_b32 v82, v57
	v_dual_mov_b32 v83, v59 :: v_dual_mov_b32 v84, v38
	;; [unrolled: 1-line block ×19, first 2 shown]
	v_mov_b32_e32 v40, v39
.LBB164_93:
	s_or_b32 exec_lo, exec_lo, s2
	s_delay_alu instid0(VALU_DEP_1)
	v_cmp_lt_f32_e32 vcc_lo, v40, v9
	v_dual_mov_b32 v38, v2 :: v_dual_mov_b32 v41, v5
	v_dual_mov_b32 v42, v6 :: v_dual_mov_b32 v47, v11
	v_dual_cndmask_b32 v145, v33, v32 :: v_dual_cndmask_b32 v32, v32, v33
	v_dual_cndmask_b32 v146, v21, v20 :: v_dual_mov_b32 v39, v3
	v_dual_cndmask_b32 v20, v20, v21 :: v_dual_cndmask_b32 v45, v9, v40
	v_dual_cndmask_b32 v44, v8, v9 :: v_dual_mov_b32 v37, v1
	v_dual_mov_b32 v40, v4 :: v_dual_mov_b32 v43, v7
	v_mov_b32_e32 v46, v10
	v_mov_b32_e32 v48, v12
	s_mov_b32 s2, exec_lo
	v_cmpx_lt_f32_e32 v1, v2
	s_cbranch_execz .LBB164_95
; %bb.94:
	v_dual_mov_b32 v49, v38 :: v_dual_mov_b32 v50, v37
	v_dual_mov_b32 v51, v39 :: v_dual_mov_b32 v52, v40
	v_dual_mov_b32 v53, v41 :: v_dual_mov_b32 v54, v42
	v_dual_mov_b32 v55, v43 :: v_dual_mov_b32 v56, v44
	v_dual_mov_b32 v57, v45 :: v_dual_mov_b32 v58, v46
	v_dual_mov_b32 v59, v47 :: v_dual_mov_b32 v60, v48
	v_mov_b32_e32 v3, v25
	v_mov_b32_e32 v4, v13
	v_dual_mov_b32 v37, v49 :: v_dual_mov_b32 v40, v52
	v_swap_b32 v25, v26
	v_swap_b32 v13, v14
	v_dual_mov_b32 v38, v50 :: v_dual_mov_b32 v39, v51
	v_dual_mov_b32 v41, v53 :: v_dual_mov_b32 v42, v54
	;; [unrolled: 1-line block ×5, first 2 shown]
	v_mov_b32_e32 v2, v1
.LBB164_95:
	s_or_b32 exec_lo, exec_lo, s2
	v_mov_b32_e32 v21, v146
	v_dual_mov_b32 v33, v145 :: v_dual_mov_b32 v60, v24
	v_dual_mov_b32 v72, v36 :: v_dual_mov_b32 v61, v25
	;; [unrolled: 1-line block ×43, first 2 shown]
	v_mov_b32_e32 v97, v13
	v_mov_b32_e32 v1, v39
	s_mov_b32 s2, exec_lo
	v_dual_mov_b32 v95, v35 :: v_dual_mov_b32 v94, v34
	v_dual_mov_b32 v93, v33 :: v_dual_mov_b32 v92, v32
	;; [unrolled: 1-line block ×5, first 2 shown]
	v_cmpx_lt_f32_e32 v2, v39
	s_cbranch_execz .LBB164_97
; %bb.96:
	v_dual_mov_b32 v108, v24 :: v_dual_mov_b32 v107, v23
	v_dual_mov_b32 v98, v14 :: v_dual_mov_b32 v97, v13
	v_mov_b32_e32 v98, v15
	v_dual_mov_b32 v104, v20 :: v_dual_mov_b32 v103, v19
	v_dual_mov_b32 v100, v16 :: v_dual_mov_b32 v99, v15
	;; [unrolled: 1-line block ×26, first 2 shown]
	v_mov_b32_e32 v84, v144
	v_dual_mov_b32 v74, v134 :: v_dual_mov_b32 v77, v137
	v_mov_b32_e32 v75, v135
	v_dual_mov_b32 v38, v39 :: v_dual_mov_b32 v85, v121
	v_dual_mov_b32 v76, v136 :: v_dual_mov_b32 v79, v139
	;; [unrolled: 1-line block ×10, first 2 shown]
	v_mov_b32_e32 v39, v2
	v_dual_mov_b32 v49, v73 :: v_dual_mov_b32 v50, v74
	v_dual_mov_b32 v59, v83 :: v_dual_mov_b32 v60, v84
	;; [unrolled: 1-line block ×18, first 2 shown]
	v_mov_b32_e32 v70, v34
	v_dual_mov_b32 v72, v36 :: v_dual_mov_b32 v1, v2
	v_mov_b32_e32 v27, v26
	v_mov_b32_e32 v15, v14
.LBB164_97:
	s_or_b32 exec_lo, exec_lo, s2
	v_mov_b32_e32 v2, v40
	s_mov_b32 s2, exec_lo
	v_cmpx_lt_f32_e32 v1, v40
	s_cbranch_execz .LBB164_99
; %bb.98:
	v_mov_b32_e32 v99, v16
	v_mov_b32_e32 v144, v108
	;; [unrolled: 1-line block ×3, first 2 shown]
	v_dual_mov_b32 v136, v15 :: v_dual_mov_b32 v111, v28
	v_dual_mov_b32 v142, v106 :: v_dual_mov_b32 v133, v97
	;; [unrolled: 1-line block ×4, first 2 shown]
	v_mov_b32_e32 v135, v99
	v_dual_mov_b32 v125, v113 :: v_dual_mov_b32 v124, v112
	v_mov_b32_e32 v143, v107
	v_dual_mov_b32 v141, v105 :: v_dual_mov_b32 v140, v104
	v_dual_mov_b32 v139, v103 :: v_dual_mov_b32 v138, v102
	;; [unrolled: 1-line block ×18, first 2 shown]
	v_mov_b32_e32 v95, v131
	v_dual_mov_b32 v89, v29 :: v_dual_mov_b32 v88, v124
	v_dual_mov_b32 v49, v73 :: v_dual_mov_b32 v54, v78
	v_mov_b32_e32 v50, v74
	v_dual_mov_b32 v52, v76 :: v_dual_mov_b32 v61, v85
	s_delay_alu instid0(VALU_DEP_4)
	v_dual_mov_b32 v64, v88 :: v_dual_mov_b32 v51, v75
	v_dual_mov_b32 v56, v80 :: v_dual_mov_b32 v53, v77
	;; [unrolled: 1-line block ×12, first 2 shown]
	v_mov_b32_e32 v58, v22
	v_dual_mov_b32 v57, v146 :: v_dual_mov_b32 v60, v24
	v_dual_mov_b32 v59, v23 :: v_dual_mov_b32 v62, v86
	;; [unrolled: 1-line block ×5, first 2 shown]
	v_mov_b32_e32 v2, v1
	v_mov_b32_e32 v28, v27
	;; [unrolled: 1-line block ×3, first 2 shown]
.LBB164_99:
	s_or_b32 exec_lo, exec_lo, s2
	v_mov_b32_e32 v1, v41
	s_mov_b32 s2, exec_lo
	v_cmpx_lt_f32_e32 v2, v41
	s_cbranch_execz .LBB164_101
; %bb.100:
	v_mov_b32_e32 v100, v17
	v_mov_b32_e32 v73, v97
	;; [unrolled: 1-line block ×3, first 2 shown]
	v_dual_mov_b32 v77, v16 :: v_dual_mov_b32 v78, v102
	v_dual_mov_b32 v112, v29 :: v_dual_mov_b32 v75, v99
	;; [unrolled: 1-line block ×3, first 2 shown]
	v_mov_b32_e32 v84, v108
	v_dual_mov_b32 v74, v98 :: v_dual_mov_b32 v85, v109
	v_mov_b32_e32 v86, v110
	v_dual_mov_b32 v76, v100 :: v_dual_mov_b32 v79, v103
	v_dual_mov_b32 v80, v104 :: v_dual_mov_b32 v81, v105
	;; [unrolled: 1-line block ×8, first 2 shown]
	v_mov_b32_e32 v49, v73
	v_dual_mov_b32 v89, v28 :: v_dual_mov_b32 v50, v74
	v_dual_mov_b32 v59, v83 :: v_dual_mov_b32 v60, v84
	;; [unrolled: 1-line block ×32, first 2 shown]
	v_mov_b32_e32 v17, v16
.LBB164_101:
	s_or_b32 exec_lo, exec_lo, s2
	v_mov_b32_e32 v2, v42
	s_mov_b32 s2, exec_lo
	v_cmpx_lt_f32_e32 v1, v42
	s_cbranch_execz .LBB164_103
; %bb.102:
	v_mov_b32_e32 v137, v18
	v_mov_b32_e32 v125, v30
	v_dual_mov_b32 v41, v42 :: v_dual_mov_b32 v42, v1
	v_dual_mov_b32 v49, v133 :: v_dual_mov_b32 v50, v134
	;; [unrolled: 1-line block ×13, first 2 shown]
	v_mov_b32_e32 v66, v29
	v_dual_mov_b32 v85, v121 :: v_dual_mov_b32 v86, v122
	v_dual_mov_b32 v73, v133 :: v_dual_mov_b32 v74, v134
	;; [unrolled: 1-line block ×4, first 2 shown]
	v_mov_b32_e32 v64, v124
	v_dual_mov_b32 v58, v22 :: v_dual_mov_b32 v59, v23
	v_dual_mov_b32 v67, v31 :: v_dual_mov_b32 v68, v32
	;; [unrolled: 1-line block ×8, first 2 shown]
	v_mov_b32_e32 v2, v1
	v_mov_b32_e32 v30, v29
	v_dual_mov_b32 v18, v17 :: v_dual_mov_b32 v91, v127
	v_dual_mov_b32 v92, v128 :: v_dual_mov_b32 v93, v129
	;; [unrolled: 1-line block ×6, first 2 shown]
	v_mov_b32_e32 v84, v144
.LBB164_103:
	s_or_b32 exec_lo, exec_lo, s2
	v_mov_b32_e32 v1, v43
	s_mov_b32 s2, exec_lo
	v_cmpx_lt_f32_e32 v2, v43
	s_cbranch_execz .LBB164_105
; %bb.104:
	v_dual_mov_b32 v94, v34 :: v_dual_mov_b32 v95, v35
	v_dual_mov_b32 v78, v19 :: v_dual_mov_b32 v79, v18
	v_dual_mov_b32 v80, v20 :: v_dual_mov_b32 v81, v146
	v_dual_mov_b32 v82, v22 :: v_dual_mov_b32 v83, v23
	v_dual_mov_b32 v90, v31 :: v_dual_mov_b32 v91, v30
	v_dual_mov_b32 v92, v32 :: v_dual_mov_b32 v93, v145
	v_mov_b32_e32 v96, v36
	v_dual_mov_b32 v42, v43 :: v_dual_mov_b32 v43, v2
	v_dual_mov_b32 v84, v24 :: v_dual_mov_b32 v61, v85
	;; [unrolled: 1-line block ×14, first 2 shown]
.LBB164_105:
	s_or_b32 exec_lo, exec_lo, s2
	s_delay_alu instid0(VALU_DEP_1)
	v_cmp_lt_f32_e32 vcc_lo, v1, v44
	v_dual_mov_b32 v3, v39 :: v_dual_mov_b32 v10, v46
	v_dual_mov_b32 v5, v41 :: v_dual_mov_b32 v12, v48
	v_dual_cndmask_b32 v121, v68, v67 :: v_dual_mov_b32 v2, v38
	v_dual_cndmask_b32 v67, v67, v68 :: v_dual_cndmask_b32 v122, v56, v55
	v_dual_cndmask_b32 v55, v55, v56 :: v_dual_cndmask_b32 v8, v44, v1
	v_dual_cndmask_b32 v7, v43, v44 :: v_dual_mov_b32 v4, v40
	v_dual_mov_b32 v1, v37 :: v_dual_mov_b32 v6, v42
	v_mov_b32_e32 v9, v45
	v_mov_b32_e32 v11, v47
	s_mov_b32 s2, exec_lo
	v_cmpx_lt_f32_e32 v37, v38
	s_cbranch_execz .LBB164_107
; %bb.106:
	v_dual_mov_b32 v13, v2 :: v_dual_mov_b32 v14, v1
	v_dual_mov_b32 v15, v3 :: v_dual_mov_b32 v16, v4
	;; [unrolled: 1-line block ×6, first 2 shown]
	v_mov_b32_e32 v25, v61
	v_mov_b32_e32 v26, v49
	v_dual_mov_b32 v1, v13 :: v_dual_mov_b32 v4, v16
	v_swap_b32 v61, v62
	v_swap_b32 v49, v50
	v_dual_mov_b32 v2, v14 :: v_dual_mov_b32 v3, v15
	v_dual_mov_b32 v5, v17 :: v_dual_mov_b32 v6, v18
	;; [unrolled: 1-line block ×5, first 2 shown]
	v_mov_b32_e32 v38, v37
.LBB164_107:
	s_or_b32 exec_lo, exec_lo, s2
	v_mov_b32_e32 v56, v122
	v_mov_b32_e32 v68, v121
	;; [unrolled: 1-line block ×3, first 2 shown]
	v_dual_mov_b32 v27, v51 :: v_dual_mov_b32 v84, v72
	v_mov_b32_e32 v81, v69
	v_dual_mov_b32 v83, v71 :: v_dual_mov_b32 v96, v60
	v_dual_mov_b32 v91, v55 :: v_dual_mov_b32 v120, v72
	;; [unrolled: 1-line block ×31, first 2 shown]
	v_mov_b32_e32 v24, v60
	s_mov_b32 s2, exec_lo
	v_dual_mov_b32 v118, v70 :: v_dual_mov_b32 v115, v67
	v_dual_mov_b32 v116, v68 :: v_dual_mov_b32 v113, v65
	;; [unrolled: 1-line block ×3, first 2 shown]
	v_cmpx_lt_f32_e32 v38, v3
	s_cbranch_execz .LBB164_109
; %bb.108:
	v_dual_mov_b32 v13, v49 :: v_dual_mov_b32 v14, v50
	v_dual_mov_b32 v23, v59 :: v_dual_mov_b32 v24, v60
	;; [unrolled: 1-line block ×30, first 2 shown]
	v_mov_b32_e32 v112, v64
	v_dual_mov_b32 v34, v94 :: v_dual_mov_b32 v35, v95
	v_dual_mov_b32 v35, v59 :: v_dual_mov_b32 v34, v58
	;; [unrolled: 1-line block ×15, first 2 shown]
	v_mov_b32_e32 v81, v69
	v_dual_mov_b32 v80, v121 :: v_dual_mov_b32 v83, v71
	v_mov_b32_e32 v82, v70
	v_dual_mov_b32 v84, v72 :: v_dual_mov_b32 v37, v38
	v_mov_b32_e32 v63, v62
	v_mov_b32_e32 v51, v50
.LBB164_109:
	s_or_b32 exec_lo, exec_lo, s2
	v_mov_b32_e32 v38, v4
	s_mov_b32 s2, exec_lo
	v_cmpx_lt_f32_e32 v37, v4
	s_cbranch_execz .LBB164_111
; %bb.110:
	v_mov_b32_e32 v15, v52
	v_mov_b32_e32 v96, v24
	;; [unrolled: 1-line block ×3, first 2 shown]
	v_dual_mov_b32 v88, v51 :: v_dual_mov_b32 v99, v64
	v_dual_mov_b32 v94, v22 :: v_dual_mov_b32 v85, v13
	;; [unrolled: 1-line block ×3, first 2 shown]
	v_mov_b32_e32 v95, v23
	v_dual_mov_b32 v93, v21 :: v_dual_mov_b32 v92, v20
	v_dual_mov_b32 v91, v19 :: v_dual_mov_b32 v90, v18
	;; [unrolled: 1-line block ×7, first 2 shown]
	v_mov_b32_e32 v87, v15
	v_dual_mov_b32 v111, v99 :: v_dual_mov_b32 v110, v98
	v_dual_mov_b32 v112, v63 :: v_dual_mov_b32 v25, v85
	;; [unrolled: 1-line block ×3, first 2 shown]
	s_delay_alu instid0(VALU_DEP_3)
	v_dual_mov_b32 v74, v110 :: v_dual_mov_b32 v29, v89
	v_dual_mov_b32 v30, v90 :: v_dual_mov_b32 v31, v91
	;; [unrolled: 1-line block ×8, first 2 shown]
	v_mov_b32_e32 v84, v120
	v_dual_mov_b32 v3, v4 :: v_dual_mov_b32 v4, v37
	v_dual_mov_b32 v27, v87 :: v_dual_mov_b32 v28, v88
	;; [unrolled: 1-line block ×11, first 2 shown]
	v_mov_b32_e32 v38, v37
	v_mov_b32_e32 v64, v63
	;; [unrolled: 1-line block ×3, first 2 shown]
.LBB164_111:
	s_or_b32 exec_lo, exec_lo, s2
	v_mov_b32_e32 v16, v5
	s_mov_b32 s2, exec_lo
	v_cmpx_lt_f32_e32 v38, v5
	s_cbranch_execz .LBB164_113
; %bb.112:
	v_mov_b32_e32 v100, v65
	v_mov_b32_e32 v16, v53
	v_dual_mov_b32 v4, v5 :: v_dual_mov_b32 v5, v38
	v_dual_mov_b32 v36, v24 :: v_dual_mov_b32 v33, v21
	;; [unrolled: 1-line block ×3, first 2 shown]
	v_mov_b32_e32 v31, v19
	v_dual_mov_b32 v35, v59 :: v_dual_mov_b32 v34, v58
	v_dual_mov_b32 v73, v97 :: v_dual_mov_b32 v32, v20
	;; [unrolled: 1-line block ×8, first 2 shown]
	v_mov_b32_e32 v77, v64
	v_dual_mov_b32 v84, v108 :: v_dual_mov_b32 v79, v67
	v_dual_mov_b32 v120, v108 :: v_dual_mov_b32 v115, v103
	;; [unrolled: 1-line block ×19, first 2 shown]
	v_mov_b32_e32 v88, v16
	v_dual_mov_b32 v86, v14 :: v_dual_mov_b32 v65, v64
	v_dual_mov_b32 v16, v38 :: v_dual_mov_b32 v53, v52
	;; [unrolled: 1-line block ×3, first 2 shown]
.LBB164_113:
	s_or_b32 exec_lo, exec_lo, s2
	v_mov_b32_e32 v13, v6
	s_mov_b32 s2, exec_lo
	v_cmpx_lt_f32_e32 v16, v6
	s_cbranch_execz .LBB164_115
; %bb.114:
	v_dual_mov_b32 v89, v54 :: v_dual_mov_b32 v90, v53
	v_dual_mov_b32 v91, v55 :: v_dual_mov_b32 v92, v122
	;; [unrolled: 1-line block ×21, first 2 shown]
	v_mov_b32_e32 v13, v16
.LBB164_115:
	s_or_b32 exec_lo, exec_lo, s2
	s_delay_alu instid0(VALU_DEP_1)
	v_cmp_lt_f32_e32 vcc_lo, v13, v7
	v_dual_mov_b32 v14, v2 :: v_dual_mov_b32 v17, v5
	v_dual_mov_b32 v16, v4 :: v_dual_mov_b32 v21, v9
	v_dual_cndmask_b32 v37, v79, v78 :: v_dual_cndmask_b32 v78, v78, v79
	v_cndmask_b32_e32 v38, v31, v30, vcc_lo
	v_dual_cndmask_b32 v30, v30, v31 :: v_dual_cndmask_b32 v19, v7, v13
	v_dual_cndmask_b32 v18, v6, v7 :: v_dual_mov_b32 v15, v3
	v_dual_mov_b32 v13, v1 :: v_dual_mov_b32 v20, v8
	v_dual_mov_b32 v23, v11 :: v_dual_mov_b32 v22, v10
	v_mov_b32_e32 v24, v12
	s_mov_b32 s2, exec_lo
	v_cmpx_lt_f32_e32 v1, v2
	s_cbranch_execz .LBB164_117
; %bb.116:
	v_dual_mov_b32 v2, v14 :: v_dual_mov_b32 v3, v13
	v_dual_mov_b32 v12, v23 :: v_dual_mov_b32 v13, v24
	;; [unrolled: 1-line block ×6, first 2 shown]
	v_mov_b32_e32 v24, v13
	v_mov_b32_e32 v31, v73
	v_dual_mov_b32 v39, v25 :: v_dual_mov_b32 v18, v7
	v_swap_b32 v73, v74
	v_swap_b32 v25, v26
	v_dual_mov_b32 v23, v12 :: v_dual_mov_b32 v20, v9
	v_dual_mov_b32 v22, v11 :: v_dual_mov_b32 v21, v10
	;; [unrolled: 1-line block ×4, first 2 shown]
	v_mov_b32_e32 v15, v4
	v_dual_mov_b32 v13, v2 :: v_dual_mov_b32 v2, v1
.LBB164_117:
	s_or_b32 exec_lo, exec_lo, s2
	v_mov_b32_e32 v31, v38
	v_dual_mov_b32 v79, v37 :: v_dual_mov_b32 v50, v36
	v_dual_mov_b32 v51, v73 :: v_dual_mov_b32 v52, v74
	;; [unrolled: 1-line block ×24, first 2 shown]
	v_mov_b32_e32 v85, v25
	v_mov_b32_e32 v1, v15
	s_mov_b32 s2, exec_lo
	v_cmpx_lt_f32_e32 v2, v15
	s_cbranch_execz .LBB164_119
; %bb.118:
	v_dual_mov_b32 v96, v36 :: v_dual_mov_b32 v95, v35
	v_dual_mov_b32 v86, v26 :: v_dual_mov_b32 v85, v25
	;; [unrolled: 1-line block ×8, first 2 shown]
	v_mov_b32_e32 v105, v81
	v_dual_mov_b32 v43, v89 :: v_dual_mov_b32 v44, v90
	v_dual_mov_b32 v100, v76 :: v_dual_mov_b32 v97, v73
	;; [unrolled: 1-line block ×6, first 2 shown]
	v_mov_b32_e32 v98, v74
	v_dual_mov_b32 v98, v75 :: v_dual_mov_b32 v99, v74
	v_dual_mov_b32 v49, v95 :: v_dual_mov_b32 v50, v96
	;; [unrolled: 1-line block ×12, first 2 shown]
	v_mov_b32_e32 v40, v86
	v_dual_mov_b32 v42, v28 :: v_dual_mov_b32 v43, v29
	v_dual_mov_b32 v45, v38 :: v_dual_mov_b32 v46, v32
	;; [unrolled: 1-line block ×9, first 2 shown]
	v_mov_b32_e32 v75, v74
	v_mov_b32_e32 v27, v26
.LBB164_119:
	s_or_b32 exec_lo, exec_lo, s2
	v_mov_b32_e32 v2, v16
	s_mov_b32 s2, exec_lo
	v_cmpx_lt_f32_e32 v1, v16
	s_cbranch_execz .LBB164_121
; %bb.120:
	v_mov_b32_e32 v87, v28
	v_mov_b32_e32 v99, v76
	v_dual_mov_b32 v15, v16 :: v_dual_mov_b32 v16, v1
	v_dual_mov_b32 v39, v85 :: v_dual_mov_b32 v42, v88
	;; [unrolled: 1-line block ×13, first 2 shown]
	v_mov_b32_e32 v56, v78
	v_mov_b32_e32 v40, v86
	v_dual_mov_b32 v42, v27 :: v_dual_mov_b32 v43, v29
	v_dual_mov_b32 v45, v38 :: v_dual_mov_b32 v46, v32
	;; [unrolled: 1-line block ×8, first 2 shown]
	v_mov_b32_e32 v2, v1
	v_mov_b32_e32 v76, v75
	;; [unrolled: 1-line block ×3, first 2 shown]
.LBB164_121:
	s_or_b32 exec_lo, exec_lo, s2
	v_mov_b32_e32 v1, v17
	s_mov_b32 s2, exec_lo
	v_cmpx_lt_f32_e32 v2, v17
	s_cbranch_execz .LBB164_123
; %bb.122:
	v_dual_mov_b32 v106, v82 :: v_dual_mov_b32 v107, v83
	v_dual_mov_b32 v88, v29 :: v_dual_mov_b32 v89, v28
	;; [unrolled: 1-line block ×8, first 2 shown]
	v_mov_b32_e32 v108, v84
	v_dual_mov_b32 v16, v17 :: v_dual_mov_b32 v17, v2
	v_dual_mov_b32 v96, v36 :: v_dual_mov_b32 v51, v97
	;; [unrolled: 1-line block ×14, first 2 shown]
.LBB164_123:
	s_or_b32 exec_lo, exec_lo, s2
	s_delay_alu instid0(VALU_DEP_1)
	v_cmp_lt_f32_e32 vcc_lo, v1, v18
	v_dual_mov_b32 v27, v13 :: v_dual_mov_b32 v34, v20
	v_dual_mov_b32 v29, v15 :: v_dual_mov_b32 v36, v22
	v_dual_cndmask_b32 v63, v56, v55 :: v_dual_cndmask_b32 v32, v18, v1
	v_dual_cndmask_b32 v55, v55, v56 :: v_dual_cndmask_b32 v64, v44, v43
	v_dual_cndmask_b32 v43, v43, v44 :: v_dual_mov_b32 v28, v14
	v_dual_cndmask_b32 v31, v17, v18 :: v_dual_mov_b32 v30, v16
	v_dual_mov_b32 v33, v19 :: v_dual_mov_b32 v38, v24
	v_mov_b32_e32 v35, v21
	v_mov_b32_e32 v37, v23
	s_mov_b32 s2, exec_lo
	v_cmpx_lt_f32_e32 v13, v14
	s_cbranch_execz .LBB164_125
; %bb.124:
	s_delay_alu instid0(VALU_DEP_2)
	v_dual_mov_b32 v11, v37 :: v_dual_mov_b32 v12, v38
	v_dual_mov_b32 v1, v28 :: v_dual_mov_b32 v2, v27
	;; [unrolled: 1-line block ×7, first 2 shown]
	s_delay_alu instid0(VALU_DEP_2)
	v_dual_mov_b32 v16, v39 :: v_dual_mov_b32 v35, v9
	v_swap_b32 v51, v52
	v_swap_b32 v39, v40
	v_dual_mov_b32 v37, v11 :: v_dual_mov_b32 v36, v10
	v_dual_mov_b32 v34, v8 :: v_dual_mov_b32 v33, v7
	;; [unrolled: 1-line block ×5, first 2 shown]
	v_mov_b32_e32 v14, v13
.LBB164_125:
	s_or_b32 exec_lo, exec_lo, s2
	v_mov_b32_e32 v44, v64
	v_mov_b32_e32 v56, v63
	;; [unrolled: 1-line block ×4, first 2 shown]
	v_dual_mov_b32 v15, v51 :: v_dual_mov_b32 v2, v40
	v_dual_mov_b32 v16, v52 :: v_dual_mov_b32 v17, v53
	;; [unrolled: 1-line block ×11, first 2 shown]
	v_mov_b32_e32 v12, v50
	s_mov_b32 s2, exec_lo
	v_cmpx_lt_f32_e32 v14, v29
	s_cbranch_execz .LBB164_127
; %bb.126:
	v_dual_mov_b32 v1, v39 :: v_dual_mov_b32 v2, v40
	v_dual_mov_b32 v11, v49 :: v_dual_mov_b32 v12, v50
	v_dual_mov_b32 v12, v50 :: v_dual_mov_b32 v15, v51
	v_dual_mov_b32 v3, v41 :: v_dual_mov_b32 v4, v42
	v_dual_mov_b32 v5, v43 :: v_dual_mov_b32 v6, v44
	v_dual_mov_b32 v7, v45 :: v_dual_mov_b32 v8, v46
	v_dual_mov_b32 v9, v47 :: v_dual_mov_b32 v10, v48
	v_dual_mov_b32 v16, v52 :: v_dual_mov_b32 v17, v53
	v_dual_mov_b32 v18, v54 :: v_dual_mov_b32 v19, v55
	v_dual_mov_b32 v20, v56 :: v_dual_mov_b32 v21, v57
	v_dual_mov_b32 v22, v58 :: v_dual_mov_b32 v23, v59
	v_dual_mov_b32 v24, v60 :: v_dual_mov_b32 v25, v61
	v_dual_mov_b32 v26, v62 :: v_dual_mov_b32 v17, v52
	v_dual_mov_b32 v28, v29 :: v_dual_mov_b32 v29, v14
	v_dual_mov_b32 v2, v41 :: v_dual_mov_b32 v3, v40
	v_dual_mov_b32 v4, v42 :: v_dual_mov_b32 v5, v43
	v_dual_mov_b32 v6, v64 :: v_dual_mov_b32 v7, v45
	v_dual_mov_b32 v8, v46 :: v_dual_mov_b32 v9, v47
	v_dual_mov_b32 v10, v48 :: v_dual_mov_b32 v11, v49
	v_dual_mov_b32 v16, v53 :: v_dual_mov_b32 v19, v55
	v_dual_mov_b32 v18, v54 :: v_dual_mov_b32 v21, v57
	v_dual_mov_b32 v20, v63 :: v_dual_mov_b32 v25, v61
	v_dual_mov_b32 v22, v58 :: v_dual_mov_b32 v23, v59
	v_dual_mov_b32 v24, v60 :: v_dual_mov_b32 v13, v14
	v_dual_mov_b32 v26, v62 :: v_dual_mov_b32 v53, v52
	v_mov_b32_e32 v41, v40
.LBB164_127:
	s_or_b32 exec_lo, exec_lo, s2
	v_mov_b32_e32 v39, v30
	s_mov_b32 s2, exec_lo
	v_cmpx_lt_f32_e32 v13, v30
	s_cbranch_execz .LBB164_129
; %bb.128:
	v_dual_mov_b32 v29, v30 :: v_dual_mov_b32 v30, v13
	v_dual_mov_b32 v3, v42 :: v_dual_mov_b32 v4, v41
	;; [unrolled: 1-line block ×11, first 2 shown]
	v_mov_b32_e32 v39, v13
.LBB164_129:
	s_or_b32 exec_lo, exec_lo, s2
	s_delay_alu instid0(VALU_DEP_1)
	v_cmp_lt_f32_e32 vcc_lo, v39, v31
	v_dual_mov_b32 v40, v28 :: v_dual_mov_b32 v45, v33
	v_dual_mov_b32 v44, v32 :: v_dual_mov_b32 v47, v35
	v_dual_cndmask_b32 v13, v19, v18 :: v_dual_cndmask_b32 v18, v18, v19
	v_dual_cndmask_b32 v14, v5, v4 :: v_dual_cndmask_b32 v43, v31, v39
	v_dual_cndmask_b32 v4, v4, v5 :: v_dual_mov_b32 v39, v27
	v_dual_cndmask_b32 v42, v30, v31 :: v_dual_mov_b32 v41, v29
	v_dual_mov_b32 v46, v34 :: v_dual_mov_b32 v49, v37
	v_mov_b32_e32 v48, v36
	v_mov_b32_e32 v50, v38
	s_mov_b32 s2, exec_lo
	v_cmpx_lt_f32_e32 v27, v28
	s_cbranch_execz .LBB164_131
; %bb.130:
	v_dual_mov_b32 v28, v40 :: v_dual_mov_b32 v29, v39
	v_dual_mov_b32 v38, v49 :: v_dual_mov_b32 v39, v50
	;; [unrolled: 1-line block ×7, first 2 shown]
	v_mov_b32_e32 v5, v15
	v_swap_b32 v15, v16
	s_delay_alu instid0(VALU_DEP_4)
	v_mov_b32_e32 v48, v37
	v_swap_b32 v1, v2
	v_dual_mov_b32 v49, v38 :: v_dual_mov_b32 v46, v35
	v_dual_mov_b32 v47, v36 :: v_dual_mov_b32 v44, v33
	;; [unrolled: 1-line block ×4, first 2 shown]
	v_mov_b32_e32 v41, v30
	v_dual_mov_b32 v39, v28 :: v_dual_mov_b32 v28, v27
.LBB164_131:
	s_or_b32 exec_lo, exec_lo, s2
	v_mov_b32_e32 v5, v14
	v_mov_b32_e32 v19, v13
	;; [unrolled: 1-line block ×3, first 2 shown]
	s_mov_b32 s2, exec_lo
	v_cmpx_lt_f32_e32 v28, v41
	s_cbranch_execz .LBB164_133
; %bb.132:
	v_dual_mov_b32 v74, v26 :: v_dual_mov_b32 v73, v25
	v_dual_mov_b32 v62, v12 :: v_dual_mov_b32 v61, v11
	;; [unrolled: 1-line block ×22, first 2 shown]
	v_mov_b32_e32 v74, v26
	v_dual_mov_b32 v40, v41 :: v_dual_mov_b32 v41, v28
	v_dual_mov_b32 v62, v12 :: v_dual_mov_b32 v15, v63
	;; [unrolled: 1-line block ×14, first 2 shown]
.LBB164_133:
	s_or_b32 exec_lo, exec_lo, s2
	s_delay_alu instid0(VALU_DEP_1)
	v_cmp_lt_f32_e32 vcc_lo, v27, v42
	v_dual_mov_b32 v28, v23 :: v_dual_mov_b32 v29, v24
	v_dual_mov_b32 v30, v25 :: v_dual_mov_b32 v31, v26
	v_dual_cndmask_b32 v13, v18, v17 :: v_dual_cndmask_b32 v14, v4, v3
	v_dual_cndmask_b32 v51, v17, v18 :: v_dual_cndmask_b32 v56, v3, v4
	;; [unrolled: 1-line block ×3, first 2 shown]
	v_cmp_lt_f32_e32 vcc_lo, v39, v40
	v_dual_mov_b32 v4, v19 :: v_dual_mov_b32 v17, v20
	v_dual_mov_b32 v18, v21 :: v_dual_mov_b32 v27, v22
	;; [unrolled: 1-line block ×10, first 2 shown]
	v_mov_b32_e32 v59, v50
	s_and_saveexec_b32 s2, vcc_lo
	s_cbranch_execz .LBB164_135
; %bb.134:
	v_dual_mov_b32 v42, v40 :: v_dual_mov_b32 v27, v22
	v_dual_mov_b32 v4, v15 :: v_dual_mov_b32 v17, v20
	;; [unrolled: 1-line block ×3, first 2 shown]
	v_swap_b32 v15, v16
	v_swap_b32 v1, v2
	v_dual_mov_b32 v40, v39 :: v_dual_mov_b32 v29, v24
	v_dual_mov_b32 v4, v19 :: v_dual_mov_b32 v31, v26
	v_dual_mov_b32 v18, v21 :: v_dual_mov_b32 v33, v6
	v_dual_mov_b32 v28, v23 :: v_dual_mov_b32 v35, v8
	v_dual_mov_b32 v30, v25 :: v_dual_mov_b32 v37, v10
	v_dual_mov_b32 v32, v5 :: v_dual_mov_b32 v41, v12
	v_dual_mov_b32 v34, v7 :: v_dual_mov_b32 v39, v42
	v_dual_mov_b32 v36, v9 :: v_dual_mov_b32 v55, v47
	v_dual_mov_b32 v38, v11 :: v_dual_mov_b32 v53, v45
	v_dual_mov_b32 v42, v43 :: v_dual_mov_b32 v57, v48
	v_dual_mov_b32 v52, v44 :: v_dual_mov_b32 v59, v50
	v_mov_b32_e32 v54, v46
	v_mov_b32_e32 v58, v49
.LBB164_135:
	s_or_b32 exec_lo, exec_lo, s2
	s_clause 0x1
	s_load_b32 s8, s[0:1], 0x28
	s_load_b128 s[4:7], s[0:1], 0x10
	s_waitcnt lgkmcnt(0)
	s_cmp_lt_i32 s8, 1
	s_cbranch_scc1 .LBB164_141
; %bb.136:
	v_cmp_lt_f32_e32 vcc_lo, v40, v60
	v_dual_mov_b32 v7, 0 :: v_dual_mov_b32 v6, 0
	s_mov_b32 s9, 0x76543210
	s_mov_b32 s10, s8
	v_dual_cndmask_b32 v5, v56, v2 :: v_dual_cndmask_b32 v12, v61, v60
	v_dual_cndmask_b32 v10, v2, v56 :: v_dual_cndmask_b32 v19, v16, v51
	v_cndmask_b32_e32 v2, v60, v40, vcc_lo
	v_cndmask_b32_e32 v8, v51, v16, vcc_lo
	s_delay_alu instid0(VALU_DEP_4) | instskip(NEXT) | instid1(VALU_DEP_1)
	v_cmp_lt_f32_e64 s2, v39, v12
	v_cndmask_b32_e64 v9, v10, v1, s2
	v_cndmask_b32_e64 v10, v1, v10, s2
	v_cndmask_b32_e64 v11, v12, v39, s2
	v_cndmask_b32_e64 v12, v39, v12, s2
	v_cndmask_b32_e64 v16, v19, v15, s2
	v_cndmask_b32_e64 v15, v15, v19, s2
	v_mov_b32_e32 v19, v0
	v_mov_b32_e32 v1, 0
.LBB164_137:                            ; =>This Inner Loop Header: Depth=1
	v_cmp_eq_u32_e32 vcc_lo, 1, v7
	v_cmp_eq_u32_e64 s2, 2, v7
	v_cmp_gt_u32_e64 s3, 12, v7
	v_dual_cndmask_b32 v20, v12, v11 :: v_dual_cndmask_b32 v21, v10, v9
	s_delay_alu instid0(VALU_DEP_1) | instskip(NEXT) | instid1(VALU_DEP_2)
	v_cndmask_b32_e64 v20, v20, v2, s2
	v_cndmask_b32_e64 v21, v21, v5, s2
	v_cndmask_b32_e32 v22, v15, v16, vcc_lo
	v_cmp_eq_u32_e32 vcc_lo, 3, v7
	s_delay_alu instid0(VALU_DEP_3) | instskip(NEXT) | instid1(VALU_DEP_3)
	v_cndmask_b32_e32 v21, v21, v14, vcc_lo
	v_cndmask_b32_e64 v22, v22, v8, s2
	v_cmp_eq_u32_e64 s2, 4, v7
	s_delay_alu instid0(VALU_DEP_2) | instskip(NEXT) | instid1(VALU_DEP_2)
	v_cndmask_b32_e32 v22, v22, v13, vcc_lo
	v_cndmask_b32_e64 v21, v21, v32, s2
	v_cndmask_b32_e32 v20, v20, v3, vcc_lo
	v_cmp_eq_u32_e32 vcc_lo, 5, v7
	s_delay_alu instid0(VALU_DEP_4) | instskip(NEXT) | instid1(VALU_DEP_4)
	v_cndmask_b32_e64 v22, v22, v4, s2
	v_cndmask_b32_e32 v21, v21, v33, vcc_lo
	s_delay_alu instid0(VALU_DEP_4) | instskip(SKIP_1) | instid1(VALU_DEP_4)
	v_cndmask_b32_e64 v20, v20, v42, s2
	v_cmp_eq_u32_e64 s2, 6, v7
	v_cndmask_b32_e32 v22, v22, v17, vcc_lo
	s_delay_alu instid0(VALU_DEP_3) | instskip(SKIP_1) | instid1(VALU_DEP_4)
	v_cndmask_b32_e32 v20, v20, v52, vcc_lo
	v_cmp_eq_u32_e32 vcc_lo, 7, v7
	v_cndmask_b32_e64 v21, v21, v34, s2
	s_delay_alu instid0(VALU_DEP_4) | instskip(NEXT) | instid1(VALU_DEP_4)
	v_cndmask_b32_e64 v22, v22, v18, s2
	v_cndmask_b32_e64 v20, v20, v53, s2
	v_cmp_eq_u32_e64 s2, 8, v7
	s_delay_alu instid0(VALU_DEP_4) | instskip(NEXT) | instid1(VALU_DEP_4)
	v_cndmask_b32_e32 v21, v21, v35, vcc_lo
	v_cndmask_b32_e32 v22, v22, v27, vcc_lo
	s_delay_alu instid0(VALU_DEP_4) | instskip(SKIP_1) | instid1(VALU_DEP_4)
	v_cndmask_b32_e32 v20, v20, v54, vcc_lo
	v_cmp_eq_u32_e32 vcc_lo, 9, v7
	v_cndmask_b32_e64 v21, v21, v36, s2
	s_delay_alu instid0(VALU_DEP_4) | instskip(NEXT) | instid1(VALU_DEP_4)
	v_cndmask_b32_e64 v22, v22, v28, s2
	v_cndmask_b32_e64 v20, v20, v55, s2
	v_cmp_eq_u32_e64 s2, 10, v7
	s_delay_alu instid0(VALU_DEP_4) | instskip(NEXT) | instid1(VALU_DEP_4)
	v_cndmask_b32_e32 v21, v21, v37, vcc_lo
	v_cndmask_b32_e32 v22, v22, v29, vcc_lo
	s_delay_alu instid0(VALU_DEP_4) | instskip(SKIP_1) | instid1(VALU_DEP_4)
	v_cndmask_b32_e32 v20, v20, v57, vcc_lo
	v_cmp_eq_u32_e32 vcc_lo, 11, v7
	v_cndmask_b32_e64 v21, v21, v38, s2
	s_delay_alu instid0(VALU_DEP_3) | instskip(NEXT) | instid1(VALU_DEP_1)
	v_cndmask_b32_e64 v20, v20, v58, s2
	v_dual_cndmask_b32 v21, v21, v41 :: v_dual_cndmask_b32 v20, v20, v59
	s_delay_alu instid0(VALU_DEP_1)
	v_cndmask_b32_e64 v20, 0xff800000, v20, s3
	;;#ASMSTART
	v_max_f32 v23, v20, v20 quad_perm:[1,0,3,2] row_mask:0xf bank_mask:0xf bound_ctrl:1
	;;#ASMEND
	;;#ASMSTART
	v_max_f32 v24, v23, v23 quad_perm:[2,3,0,1] row_mask:0xf bank_mask:0xf bound_ctrl:1
	;;#ASMEND
	;;#ASMSTART
	v_max_f32 v23, v24, v24 row_half_mirror row_mask:0xf bank_mask:0xf bound_ctrl:1
	;;#ASMEND
	;;#ASMSTART
	v_max_f32 v24, v23, v23 row_mirror row_mask:0xf bank_mask:0xf bound_ctrl:1
	;;#ASMEND
	v_permlanex16_b32 v23, v24, s9, 0xfedcba98 op_sel:[1,1]
	s_delay_alu instid0(VALU_DEP_1) | instskip(NEXT) | instid1(VALU_DEP_1)
	v_dual_max_f32 v24, v24, v24 :: v_dual_max_f32 v23, v23, v23
	v_max_f32_e32 v23, v24, v23
	v_cndmask_b32_e64 v22, v22, v30, s2
	s_delay_alu instid0(VALU_DEP_2) | instskip(SKIP_1) | instid1(VALU_DEP_2)
	v_cmp_eq_f32_e64 s2, v20, v23
	v_cndmask_b32_e64 v20, 0, v21, s3
	s_ctz_i32_b32 s11, s2
	s_cmp_lg_u32 s2, 0
	s_cselect_b32 s2, s11, 0
	s_add_i32 s10, s10, -1
	v_readlane_b32 s11, v20, s2
	v_cndmask_b32_e32 v20, v22, v31, vcc_lo
	s_delay_alu instid0(VALU_DEP_2)
	v_cmp_eq_u32_e32 vcc_lo, s11, v21
	s_and_b32 s2, s11, 31
	s_and_b32 vcc_lo, s3, vcc_lo
	s_cmp_eq_u32 s10, 0
	v_cndmask_b32_e32 v20, 0, v20, vcc_lo
	v_add_co_ci_u32_e32 v7, vcc_lo, 0, v7, vcc_lo
	s_delay_alu instid0(VALU_DEP_2) | instskip(SKIP_2) | instid1(VALU_DEP_2)
	v_readlane_b32 s3, v20, s2
	v_cmp_eq_u32_e64 s2, 0, v19
	v_add_nc_u32_e32 v19, -1, v19
	v_cndmask_b32_e64 v6, v6, s3, s2
	v_cndmask_b32_e64 v1, v1, s11, s2
	s_cbranch_scc0 .LBB164_137
; %bb.138:
	s_mov_b32 s2, exec_lo
	v_cmpx_gt_i32_e64 s8, v0
	s_cbranch_execz .LBB164_140
.LBB164_139:
	s_clause 0x1
	s_load_b64 s[2:3], s[0:1], 0x20
	s_load_b32 s8, s[0:1], 0x30
	s_ashr_i32 s0, s15, 31
	v_lshlrev_b32_e32 v0, 2, v0
	s_waitcnt lgkmcnt(0)
	s_mul_i32 s1, s15, s3
	s_mul_hi_u32 s3, s15, s2
	s_mul_i32 s0, s0, s2
	s_add_i32 s1, s3, s1
	v_mul_f32_e32 v2, s8, v6
	s_add_i32 s1, s1, s0
	s_mul_i32 s0, s15, s2
	s_delay_alu instid0(SALU_CYCLE_1) | instskip(NEXT) | instid1(SALU_CYCLE_1)
	s_lshl_b64 s[0:1], s[0:1], 2
	s_add_u32 s2, s4, s0
	s_addc_u32 s3, s5, s1
	s_add_u32 s0, s6, s0
	s_addc_u32 s1, s7, s1
	s_clause 0x1
	global_store_b32 v0, v2, s[2:3]
	global_store_b32 v0, v1, s[0:1]
.LBB164_140:
	s_endpgm
.LBB164_141:
	v_dual_mov_b32 v1, 0 :: v_dual_mov_b32 v6, 0
	s_mov_b32 s2, exec_lo
	v_cmpx_gt_i32_e64 s8, v0
	s_cbranch_execnz .LBB164_139
	s_branch .LBB164_140
	.section	.rodata,"a",@progbits
	.p2align	6, 0x0
	.amdhsa_kernel _ZN5aiter24topk_softplus_kernel_optI6__halfS1_Li384ELb0ELi0EEEvPKT_PKT0_PfPimiif
		.amdhsa_group_segment_fixed_size 0
		.amdhsa_private_segment_fixed_size 196
		.amdhsa_kernarg_size 52
		.amdhsa_user_sgpr_count 15
		.amdhsa_user_sgpr_dispatch_ptr 0
		.amdhsa_user_sgpr_queue_ptr 0
		.amdhsa_user_sgpr_kernarg_segment_ptr 1
		.amdhsa_user_sgpr_dispatch_id 0
		.amdhsa_user_sgpr_private_segment_size 0
		.amdhsa_wavefront_size32 1
		.amdhsa_uses_dynamic_stack 0
		.amdhsa_enable_private_segment 1
		.amdhsa_system_sgpr_workgroup_id_x 1
		.amdhsa_system_sgpr_workgroup_id_y 0
		.amdhsa_system_sgpr_workgroup_id_z 0
		.amdhsa_system_sgpr_workgroup_info 0
		.amdhsa_system_vgpr_workitem_id 0
		.amdhsa_next_free_vgpr 183
		.amdhsa_next_free_sgpr 16
		.amdhsa_reserve_vcc 1
		.amdhsa_float_round_mode_32 0
		.amdhsa_float_round_mode_16_64 0
		.amdhsa_float_denorm_mode_32 3
		.amdhsa_float_denorm_mode_16_64 3
		.amdhsa_dx10_clamp 1
		.amdhsa_ieee_mode 1
		.amdhsa_fp16_overflow 0
		.amdhsa_workgroup_processor_mode 1
		.amdhsa_memory_ordered 1
		.amdhsa_forward_progress 0
		.amdhsa_shared_vgpr_count 0
		.amdhsa_exception_fp_ieee_invalid_op 0
		.amdhsa_exception_fp_denorm_src 0
		.amdhsa_exception_fp_ieee_div_zero 0
		.amdhsa_exception_fp_ieee_overflow 0
		.amdhsa_exception_fp_ieee_underflow 0
		.amdhsa_exception_fp_ieee_inexact 0
		.amdhsa_exception_int_div_zero 0
	.end_amdhsa_kernel
	.section	.text._ZN5aiter24topk_softplus_kernel_optI6__halfS1_Li384ELb0ELi0EEEvPKT_PKT0_PfPimiif,"axG",@progbits,_ZN5aiter24topk_softplus_kernel_optI6__halfS1_Li384ELb0ELi0EEEvPKT_PKT0_PfPimiif,comdat
.Lfunc_end164:
	.size	_ZN5aiter24topk_softplus_kernel_optI6__halfS1_Li384ELb0ELi0EEEvPKT_PKT0_PfPimiif, .Lfunc_end164-_ZN5aiter24topk_softplus_kernel_optI6__halfS1_Li384ELb0ELi0EEEvPKT_PKT0_PfPimiif
                                        ; -- End function
	.section	.AMDGPU.csdata,"",@progbits
; Kernel info:
; codeLenInByte = 30456
; NumSgprs: 18
; NumVgprs: 183
; ScratchSize: 196
; MemoryBound: 0
; FloatMode: 240
; IeeeMode: 1
; LDSByteSize: 0 bytes/workgroup (compile time only)
; SGPRBlocks: 2
; VGPRBlocks: 22
; NumSGPRsForWavesPerEU: 18
; NumVGPRsForWavesPerEU: 183
; Occupancy: 8
; WaveLimiterHint : 0
; COMPUTE_PGM_RSRC2:SCRATCH_EN: 1
; COMPUTE_PGM_RSRC2:USER_SGPR: 15
; COMPUTE_PGM_RSRC2:TRAP_HANDLER: 0
; COMPUTE_PGM_RSRC2:TGID_X_EN: 1
; COMPUTE_PGM_RSRC2:TGID_Y_EN: 0
; COMPUTE_PGM_RSRC2:TGID_Z_EN: 0
; COMPUTE_PGM_RSRC2:TIDIG_COMP_CNT: 0
	.section	.text._ZN5aiter20topk_softplus_kernelI6__halfS1_Dv4_fLb1ELi0EEEvPKT_PKT0_PfPimiiif,"axG",@progbits,_ZN5aiter20topk_softplus_kernelI6__halfS1_Dv4_fLb1ELi0EEEvPKT_PKT0_PfPimiiif,comdat
	.protected	_ZN5aiter20topk_softplus_kernelI6__halfS1_Dv4_fLb1ELi0EEEvPKT_PKT0_PfPimiiif ; -- Begin function _ZN5aiter20topk_softplus_kernelI6__halfS1_Dv4_fLb1ELi0EEEvPKT_PKT0_PfPimiiif
	.globl	_ZN5aiter20topk_softplus_kernelI6__halfS1_Dv4_fLb1ELi0EEEvPKT_PKT0_PfPimiiif
	.p2align	8
	.type	_ZN5aiter20topk_softplus_kernelI6__halfS1_Dv4_fLb1ELi0EEEvPKT_PKT0_PfPimiiif,@function
_ZN5aiter20topk_softplus_kernelI6__halfS1_Dv4_fLb1ELi0EEEvPKT_PKT0_PfPimiiif: ; @_ZN5aiter20topk_softplus_kernelI6__halfS1_Dv4_fLb1ELi0EEEvPKT_PKT0_PfPimiiif
; %bb.0:
	s_clause 0x1
	s_load_b64 s[12:13], s[0:1], 0x28
	s_load_b256 s[4:11], s[0:1], 0x0
	v_lshlrev_b32_e32 v11, 2, v0
	v_lshl_add_u32 v12, v0, 4, 0
	s_waitcnt lgkmcnt(0)
	s_ashr_i32 s2, s12, 31
	s_mul_i32 s16, s15, s12
	s_lshr_b32 s2, s2, 30
	s_ashr_i32 s17, s16, 31
	s_add_i32 s2, s12, s2
	s_delay_alu instid0(SALU_CYCLE_1) | instskip(NEXT) | instid1(SALU_CYCLE_1)
	s_ashr_i32 s14, s2, 2
	v_cmp_gt_i32_e64 s2, s14, v0
	s_delay_alu instid0(VALU_DEP_1)
	s_and_saveexec_b32 s18, s2
	s_cbranch_execz .LBB165_11
; %bb.1:
	s_load_b32 s3, s[0:1], 0x44
	s_cmp_lg_u64 s[6:7], 0
	v_dual_mov_b32 v6, 0 :: v_dual_lshlrev_b32 v1, 3, v0
	s_cselect_b32 s20, -1, 0
	v_dual_mov_b32 v14, v0 :: v_dual_lshlrev_b32 v5, 2, v0
	v_lshl_add_u32 v13, v0, 4, 0
	s_mov_b32 s19, 0
	s_mov_b32 s31, 0x3fb8aa3b
	s_waitcnt lgkmcnt(0)
	s_and_b32 s21, s3, 0xffff
	s_add_u32 s22, s6, 2
	s_addc_u32 s23, s7, 0
	s_add_u32 s24, s6, 4
	s_addc_u32 s25, s7, 0
	s_add_u32 s26, s6, 6
	s_addc_u32 s27, s7, 0
	s_lshl_b64 s[28:29], s[16:17], 1
	s_delay_alu instid0(SALU_CYCLE_1) | instskip(SKIP_2) | instid1(VALU_DEP_1)
	s_add_u32 s3, s4, s28
	s_addc_u32 s29, s5, s29
	v_add_co_u32 v7, s3, s3, v1
	v_add_co_ci_u32_e64 v8, null, s29, 0, s3
	s_lshl_b32 s28, s21, 3
	s_lshl_b32 s29, s21, 2
	;; [unrolled: 1-line block ×3, first 2 shown]
	s_branch .LBB165_3
.LBB165_2:                              ;   in Loop: Header=BB165_3 Depth=1
	v_add_nc_u32_e32 v14, s21, v14
	v_add_co_u32 v7, s3, v7, s28
	ds_store_b128 v13, v[1:4]
	v_add_co_ci_u32_e64 v8, s3, 0, v8, s3
	v_cmp_le_i32_e32 vcc_lo, s14, v14
	v_add_nc_u32_e32 v5, s29, v5
	v_add_nc_u32_e32 v13, s30, v13
	s_or_b32 s19, vcc_lo, s19
	s_delay_alu instid0(SALU_CYCLE_1)
	s_and_not1_b32 exec_lo, exec_lo, s19
	s_cbranch_execz .LBB165_11
.LBB165_3:                              ; =>This Inner Loop Header: Depth=1
	global_load_b64 v[3:4], v[7:8], off
	s_waitcnt vmcnt(0)
	v_cvt_f32_f16_e32 v1, v3
	s_delay_alu instid0(VALU_DEP_1) | instskip(NEXT) | instid1(VALU_DEP_1)
	v_mul_f32_e32 v2, 0x3fb8aa3b, v1
	v_cmp_gt_f32_e32 vcc_lo, 0xc2fc0000, v2
	v_cndmask_b32_e64 v9, 0, 0x42800000, vcc_lo
	v_cndmask_b32_e64 v2, 1.0, 0x1f800000, vcc_lo
	s_delay_alu instid0(VALU_DEP_2) | instskip(NEXT) | instid1(VALU_DEP_1)
	v_fma_mix_f32 v9, v3, s31, v9 op_sel_hi:[1,0,0]
	v_exp_f32_e32 v9, v9
	s_waitcnt_depctr 0xfff
	v_fma_f32 v2, v9, v2, 1.0
	s_delay_alu instid0(VALU_DEP_1) | instskip(SKIP_1) | instid1(VALU_DEP_1)
	v_cmp_gt_f32_e32 vcc_lo, 0x800000, v2
	v_cndmask_b32_e64 v9, 1.0, 0x4f800000, vcc_lo
	v_mul_f32_e32 v2, v2, v9
	v_cndmask_b32_e64 v9, 0, 0x42000000, vcc_lo
	v_cmp_lt_f16_e32 vcc_lo, 0x4d00, v3
	s_delay_alu instid0(VALU_DEP_3) | instskip(SKIP_2) | instid1(VALU_DEP_1)
	v_log_f32_e32 v2, v2
	s_waitcnt_depctr 0xfff
	v_sub_f32_e32 v2, v2, v9
	v_mul_f32_e32 v2, 0x3f317218, v2
	s_delay_alu instid0(VALU_DEP_1) | instskip(NEXT) | instid1(VALU_DEP_1)
	v_cndmask_b32_e32 v1, v2, v1, vcc_lo
	v_mul_f32_e32 v2, 0x4f800000, v1
	v_cmp_gt_f32_e32 vcc_lo, 0xf800000, v1
	s_delay_alu instid0(VALU_DEP_2) | instskip(NEXT) | instid1(VALU_DEP_1)
	v_cndmask_b32_e32 v1, v1, v2, vcc_lo
	v_sqrt_f32_e32 v2, v1
	s_waitcnt_depctr 0xfff
	v_add_nc_u32_e32 v9, -1, v2
	v_add_nc_u32_e32 v10, 1, v2
	s_delay_alu instid0(VALU_DEP_2) | instskip(NEXT) | instid1(VALU_DEP_2)
	v_fma_f32 v15, -v9, v2, v1
	v_fma_f32 v16, -v10, v2, v1
	s_delay_alu instid0(VALU_DEP_2) | instskip(NEXT) | instid1(VALU_DEP_1)
	v_cmp_ge_f32_e64 s3, 0, v15
	v_cndmask_b32_e64 v2, v2, v9, s3
	s_delay_alu instid0(VALU_DEP_3) | instskip(NEXT) | instid1(VALU_DEP_1)
	v_cmp_lt_f32_e64 s3, 0, v16
	v_cndmask_b32_e64 v2, v2, v10, s3
	s_delay_alu instid0(VALU_DEP_1) | instskip(NEXT) | instid1(VALU_DEP_1)
	v_mul_f32_e32 v9, 0x37800000, v2
	v_cndmask_b32_e32 v2, v2, v9, vcc_lo
	v_cmp_class_f32_e64 vcc_lo, v1, 0x260
	v_lshlrev_b64 v[9:10], 1, v[5:6]
	s_delay_alu instid0(VALU_DEP_3)
	v_cndmask_b32_e32 v1, v2, v1, vcc_lo
	s_and_not1_b32 vcc_lo, exec_lo, s20
	s_cbranch_vccnz .LBB165_5
; %bb.4:                                ;   in Loop: Header=BB165_3 Depth=1
	s_delay_alu instid0(VALU_DEP_2) | instskip(NEXT) | instid1(VALU_DEP_3)
	v_add_co_u32 v15, vcc_lo, s6, v9
	v_add_co_ci_u32_e32 v16, vcc_lo, s7, v10, vcc_lo
	global_load_u16 v2, v[15:16], off
	s_waitcnt vmcnt(0)
	v_cvt_f32_f16_e32 v2, v2
	s_delay_alu instid0(VALU_DEP_1)
	v_add_f32_e32 v1, v1, v2
.LBB165_5:                              ;   in Loop: Header=BB165_3 Depth=1
	v_lshrrev_b32_e32 v2, 16, v3
	s_delay_alu instid0(VALU_DEP_1) | instskip(NEXT) | instid1(VALU_DEP_1)
	v_cvt_f32_f16_e32 v15, v2
	v_mul_f32_e32 v16, 0x3fb8aa3b, v15
	s_delay_alu instid0(VALU_DEP_1) | instskip(SKIP_2) | instid1(VALU_DEP_2)
	v_cmp_gt_f32_e32 vcc_lo, 0xc2fc0000, v16
	v_cndmask_b32_e64 v17, 0, 0x42800000, vcc_lo
	v_cndmask_b32_e64 v16, 1.0, 0x1f800000, vcc_lo
	v_fma_mix_f32 v3, v3, s31, v17 op_sel:[1,0,0] op_sel_hi:[1,0,0]
	s_delay_alu instid0(VALU_DEP_1) | instskip(SKIP_2) | instid1(VALU_DEP_1)
	v_exp_f32_e32 v3, v3
	s_waitcnt_depctr 0xfff
	v_fma_f32 v3, v3, v16, 1.0
	v_cmp_gt_f32_e32 vcc_lo, 0x800000, v3
	v_cndmask_b32_e64 v16, 1.0, 0x4f800000, vcc_lo
	s_delay_alu instid0(VALU_DEP_1) | instskip(SKIP_2) | instid1(VALU_DEP_3)
	v_mul_f32_e32 v3, v3, v16
	v_cndmask_b32_e64 v16, 0, 0x42000000, vcc_lo
	v_cmp_lt_f16_e32 vcc_lo, 0x4d00, v2
	v_log_f32_e32 v3, v3
	s_waitcnt_depctr 0xfff
	v_sub_f32_e32 v3, v3, v16
	s_delay_alu instid0(VALU_DEP_1) | instskip(NEXT) | instid1(VALU_DEP_1)
	v_mul_f32_e32 v3, 0x3f317218, v3
	v_cndmask_b32_e32 v2, v3, v15, vcc_lo
	s_delay_alu instid0(VALU_DEP_1) | instskip(SKIP_1) | instid1(VALU_DEP_2)
	v_mul_f32_e32 v3, 0x4f800000, v2
	v_cmp_gt_f32_e32 vcc_lo, 0xf800000, v2
	v_cndmask_b32_e32 v2, v2, v3, vcc_lo
	s_delay_alu instid0(VALU_DEP_1) | instskip(SKIP_3) | instid1(VALU_DEP_2)
	v_sqrt_f32_e32 v3, v2
	s_waitcnt_depctr 0xfff
	v_add_nc_u32_e32 v15, -1, v3
	v_add_nc_u32_e32 v16, 1, v3
	v_fma_f32 v17, -v15, v3, v2
	s_delay_alu instid0(VALU_DEP_2) | instskip(NEXT) | instid1(VALU_DEP_2)
	v_fma_f32 v18, -v16, v3, v2
	v_cmp_ge_f32_e64 s3, 0, v17
	s_delay_alu instid0(VALU_DEP_1) | instskip(NEXT) | instid1(VALU_DEP_3)
	v_cndmask_b32_e64 v3, v3, v15, s3
	v_cmp_lt_f32_e64 s3, 0, v18
	s_delay_alu instid0(VALU_DEP_1) | instskip(NEXT) | instid1(VALU_DEP_1)
	v_cndmask_b32_e64 v3, v3, v16, s3
	v_mul_f32_e32 v15, 0x37800000, v3
	s_delay_alu instid0(VALU_DEP_1) | instskip(SKIP_1) | instid1(VALU_DEP_2)
	v_cndmask_b32_e32 v3, v3, v15, vcc_lo
	v_cmp_class_f32_e64 vcc_lo, v2, 0x260
	v_cndmask_b32_e32 v2, v3, v2, vcc_lo
	s_and_not1_b32 vcc_lo, exec_lo, s20
	s_cbranch_vccnz .LBB165_7
; %bb.6:                                ;   in Loop: Header=BB165_3 Depth=1
	v_add_co_u32 v15, vcc_lo, s22, v9
	v_add_co_ci_u32_e32 v16, vcc_lo, s23, v10, vcc_lo
	global_load_u16 v3, v[15:16], off
	s_waitcnt vmcnt(0)
	v_cvt_f32_f16_e32 v3, v3
	s_delay_alu instid0(VALU_DEP_1)
	v_add_f32_e32 v2, v2, v3
.LBB165_7:                              ;   in Loop: Header=BB165_3 Depth=1
	v_cvt_f32_f16_e32 v3, v4
	s_delay_alu instid0(VALU_DEP_1) | instskip(NEXT) | instid1(VALU_DEP_1)
	v_mul_f32_e32 v15, 0x3fb8aa3b, v3
	v_cmp_gt_f32_e32 vcc_lo, 0xc2fc0000, v15
	v_cndmask_b32_e64 v16, 0, 0x42800000, vcc_lo
	v_cndmask_b32_e64 v15, 1.0, 0x1f800000, vcc_lo
	s_delay_alu instid0(VALU_DEP_2) | instskip(NEXT) | instid1(VALU_DEP_1)
	v_fma_mix_f32 v16, v4, s31, v16 op_sel_hi:[1,0,0]
	v_exp_f32_e32 v16, v16
	s_waitcnt_depctr 0xfff
	v_fma_f32 v15, v16, v15, 1.0
	s_delay_alu instid0(VALU_DEP_1) | instskip(SKIP_1) | instid1(VALU_DEP_1)
	v_cmp_gt_f32_e32 vcc_lo, 0x800000, v15
	v_cndmask_b32_e64 v16, 1.0, 0x4f800000, vcc_lo
	v_mul_f32_e32 v15, v15, v16
	v_cndmask_b32_e64 v16, 0, 0x42000000, vcc_lo
	v_cmp_lt_f16_e32 vcc_lo, 0x4d00, v4
	s_delay_alu instid0(VALU_DEP_3) | instskip(SKIP_2) | instid1(VALU_DEP_1)
	v_log_f32_e32 v15, v15
	s_waitcnt_depctr 0xfff
	v_sub_f32_e32 v15, v15, v16
	v_mul_f32_e32 v15, 0x3f317218, v15
	s_delay_alu instid0(VALU_DEP_1) | instskip(NEXT) | instid1(VALU_DEP_1)
	v_cndmask_b32_e32 v3, v15, v3, vcc_lo
	v_mul_f32_e32 v15, 0x4f800000, v3
	v_cmp_gt_f32_e32 vcc_lo, 0xf800000, v3
	s_delay_alu instid0(VALU_DEP_2) | instskip(NEXT) | instid1(VALU_DEP_1)
	v_cndmask_b32_e32 v3, v3, v15, vcc_lo
	v_sqrt_f32_e32 v15, v3
	s_waitcnt_depctr 0xfff
	v_add_nc_u32_e32 v16, -1, v15
	v_add_nc_u32_e32 v17, 1, v15
	s_delay_alu instid0(VALU_DEP_2) | instskip(NEXT) | instid1(VALU_DEP_2)
	v_fma_f32 v18, -v16, v15, v3
	v_fma_f32 v19, -v17, v15, v3
	s_delay_alu instid0(VALU_DEP_2) | instskip(NEXT) | instid1(VALU_DEP_1)
	v_cmp_ge_f32_e64 s3, 0, v18
	v_cndmask_b32_e64 v15, v15, v16, s3
	s_delay_alu instid0(VALU_DEP_3) | instskip(NEXT) | instid1(VALU_DEP_1)
	v_cmp_lt_f32_e64 s3, 0, v19
	v_cndmask_b32_e64 v15, v15, v17, s3
	s_delay_alu instid0(VALU_DEP_1) | instskip(NEXT) | instid1(VALU_DEP_1)
	v_mul_f32_e32 v16, 0x37800000, v15
	v_cndmask_b32_e32 v15, v15, v16, vcc_lo
	v_cmp_class_f32_e64 vcc_lo, v3, 0x260
	s_delay_alu instid0(VALU_DEP_2)
	v_cndmask_b32_e32 v3, v15, v3, vcc_lo
	s_and_not1_b32 vcc_lo, exec_lo, s20
	s_cbranch_vccnz .LBB165_9
; %bb.8:                                ;   in Loop: Header=BB165_3 Depth=1
	v_add_co_u32 v15, vcc_lo, s24, v9
	v_add_co_ci_u32_e32 v16, vcc_lo, s25, v10, vcc_lo
	global_load_u16 v15, v[15:16], off
	s_waitcnt vmcnt(0)
	v_cvt_f32_f16_e32 v15, v15
	s_delay_alu instid0(VALU_DEP_1)
	v_add_f32_e32 v3, v3, v15
.LBB165_9:                              ;   in Loop: Header=BB165_3 Depth=1
	v_lshrrev_b32_e32 v15, 16, v4
	s_delay_alu instid0(VALU_DEP_1) | instskip(NEXT) | instid1(VALU_DEP_1)
	v_cvt_f32_f16_e32 v16, v15
	v_mul_f32_e32 v17, 0x3fb8aa3b, v16
	s_delay_alu instid0(VALU_DEP_1) | instskip(SKIP_2) | instid1(VALU_DEP_2)
	v_cmp_gt_f32_e32 vcc_lo, 0xc2fc0000, v17
	v_cndmask_b32_e64 v18, 0, 0x42800000, vcc_lo
	v_cndmask_b32_e64 v17, 1.0, 0x1f800000, vcc_lo
	v_fma_mix_f32 v4, v4, s31, v18 op_sel:[1,0,0] op_sel_hi:[1,0,0]
	s_delay_alu instid0(VALU_DEP_1) | instskip(SKIP_2) | instid1(VALU_DEP_1)
	v_exp_f32_e32 v4, v4
	s_waitcnt_depctr 0xfff
	v_fma_f32 v4, v4, v17, 1.0
	v_cmp_gt_f32_e32 vcc_lo, 0x800000, v4
	v_cndmask_b32_e64 v17, 1.0, 0x4f800000, vcc_lo
	s_delay_alu instid0(VALU_DEP_1) | instskip(SKIP_2) | instid1(VALU_DEP_3)
	v_mul_f32_e32 v4, v4, v17
	v_cndmask_b32_e64 v17, 0, 0x42000000, vcc_lo
	v_cmp_lt_f16_e32 vcc_lo, 0x4d00, v15
	v_log_f32_e32 v4, v4
	s_waitcnt_depctr 0xfff
	v_sub_f32_e32 v4, v4, v17
	s_delay_alu instid0(VALU_DEP_1) | instskip(NEXT) | instid1(VALU_DEP_1)
	v_mul_f32_e32 v4, 0x3f317218, v4
	v_cndmask_b32_e32 v4, v4, v16, vcc_lo
	s_delay_alu instid0(VALU_DEP_1) | instskip(SKIP_1) | instid1(VALU_DEP_2)
	v_mul_f32_e32 v15, 0x4f800000, v4
	v_cmp_gt_f32_e32 vcc_lo, 0xf800000, v4
	v_cndmask_b32_e32 v4, v4, v15, vcc_lo
	s_delay_alu instid0(VALU_DEP_1) | instskip(SKIP_3) | instid1(VALU_DEP_2)
	v_sqrt_f32_e32 v15, v4
	s_waitcnt_depctr 0xfff
	v_add_nc_u32_e32 v16, -1, v15
	v_add_nc_u32_e32 v17, 1, v15
	v_fma_f32 v18, -v16, v15, v4
	s_delay_alu instid0(VALU_DEP_2) | instskip(NEXT) | instid1(VALU_DEP_2)
	v_fma_f32 v19, -v17, v15, v4
	v_cmp_ge_f32_e64 s3, 0, v18
	s_delay_alu instid0(VALU_DEP_1) | instskip(NEXT) | instid1(VALU_DEP_3)
	v_cndmask_b32_e64 v15, v15, v16, s3
	v_cmp_lt_f32_e64 s3, 0, v19
	s_delay_alu instid0(VALU_DEP_1) | instskip(NEXT) | instid1(VALU_DEP_1)
	v_cndmask_b32_e64 v15, v15, v17, s3
	v_mul_f32_e32 v16, 0x37800000, v15
	s_delay_alu instid0(VALU_DEP_1) | instskip(SKIP_1) | instid1(VALU_DEP_2)
	v_cndmask_b32_e32 v15, v15, v16, vcc_lo
	v_cmp_class_f32_e64 vcc_lo, v4, 0x260
	v_cndmask_b32_e32 v4, v15, v4, vcc_lo
	s_and_not1_b32 vcc_lo, exec_lo, s20
	s_cbranch_vccnz .LBB165_2
; %bb.10:                               ;   in Loop: Header=BB165_3 Depth=1
	v_add_co_u32 v9, vcc_lo, s26, v9
	v_add_co_ci_u32_e32 v10, vcc_lo, s27, v10, vcc_lo
	global_load_u16 v9, v[9:10], off
	s_waitcnt vmcnt(0)
	v_cvt_f32_f16_e32 v9, v9
	s_delay_alu instid0(VALU_DEP_1)
	v_add_f32_e32 v4, v4, v9
	s_branch .LBB165_2
.LBB165_11:
	s_or_b32 exec_lo, exec_lo, s18
	v_lshl_add_u32 v1, s14, 2, v0
	s_mov_b32 s18, exec_lo
	s_delay_alu instid0(VALU_DEP_1)
	v_cmpx_gt_i32_e64 s12, v1
	s_cbranch_execz .LBB165_16
; %bb.12:
	s_load_b32 s3, s[0:1], 0x44
	s_lshl_b64 s[16:17], s[16:17], 1
	v_lshlrev_b32_e32 v2, 2, v0
	s_add_u32 s4, s4, s16
	s_addc_u32 s5, s5, s17
	s_cmp_lg_u64 s[6:7], 0
	s_mov_b32 s19, 0
	s_cselect_b32 s16, -1, 0
	s_lshl_b32 s17, s14, 4
	s_mov_b32 s21, 0x3fb8aa3b
	v_add3_u32 v4, 0, s17, v2
	s_waitcnt lgkmcnt(0)
	s_and_b32 s17, s3, 0xffff
	s_delay_alu instid0(SALU_CYCLE_1)
	s_lshl_b32 s20, s17, 2
	s_branch .LBB165_14
.LBB165_13:                             ;   in Loop: Header=BB165_14 Depth=1
	v_add_nc_u32_e32 v1, s17, v1
	v_add_nc_u32_e32 v4, s20, v4
	s_delay_alu instid0(VALU_DEP_2) | instskip(SKIP_1) | instid1(SALU_CYCLE_1)
	v_cmp_le_i32_e32 vcc_lo, s12, v1
	s_or_b32 s19, vcc_lo, s19
	s_and_not1_b32 exec_lo, exec_lo, s19
	s_cbranch_execz .LBB165_16
.LBB165_14:                             ; =>This Inner Loop Header: Depth=1
	v_ashrrev_i32_e32 v2, 31, v1
	s_delay_alu instid0(VALU_DEP_1) | instskip(NEXT) | instid1(VALU_DEP_1)
	v_lshlrev_b64 v[2:3], 1, v[1:2]
	v_add_co_u32 v5, vcc_lo, s4, v2
	s_delay_alu instid0(VALU_DEP_2) | instskip(SKIP_3) | instid1(VALU_DEP_1)
	v_add_co_ci_u32_e32 v6, vcc_lo, s5, v3, vcc_lo
	global_load_u16 v5, v[5:6], off
	s_waitcnt vmcnt(0)
	v_cvt_f32_f16_e32 v6, v5
	v_mul_f32_e32 v7, 0x3fb8aa3b, v6
	s_delay_alu instid0(VALU_DEP_1) | instskip(SKIP_2) | instid1(VALU_DEP_2)
	v_cmp_gt_f32_e32 vcc_lo, 0xc2fc0000, v7
	v_cndmask_b32_e64 v7, 0, 0x42800000, vcc_lo
	v_cndmask_b32_e64 v8, 1.0, 0x1f800000, vcc_lo
	v_fma_mix_f32 v7, v5, s21, v7 op_sel_hi:[1,0,0]
	s_delay_alu instid0(VALU_DEP_1) | instskip(SKIP_2) | instid1(VALU_DEP_1)
	v_exp_f32_e32 v7, v7
	s_waitcnt_depctr 0xfff
	v_fma_f32 v7, v7, v8, 1.0
	v_cmp_gt_f32_e32 vcc_lo, 0x800000, v7
	v_cndmask_b32_e64 v8, 1.0, 0x4f800000, vcc_lo
	s_delay_alu instid0(VALU_DEP_1) | instskip(SKIP_2) | instid1(VALU_DEP_3)
	v_mul_f32_e32 v7, v7, v8
	v_cndmask_b32_e64 v8, 0, 0x42000000, vcc_lo
	v_cmp_lt_f16_e32 vcc_lo, 0x4d00, v5
	v_log_f32_e32 v7, v7
	s_waitcnt_depctr 0xfff
	v_sub_f32_e32 v7, v7, v8
	s_delay_alu instid0(VALU_DEP_1) | instskip(NEXT) | instid1(VALU_DEP_1)
	v_mul_f32_e32 v7, 0x3f317218, v7
	v_cndmask_b32_e32 v5, v7, v6, vcc_lo
	s_delay_alu instid0(VALU_DEP_1) | instskip(SKIP_1) | instid1(VALU_DEP_2)
	v_mul_f32_e32 v6, 0x4f800000, v5
	v_cmp_gt_f32_e32 vcc_lo, 0xf800000, v5
	v_cndmask_b32_e32 v5, v5, v6, vcc_lo
	s_delay_alu instid0(VALU_DEP_1) | instskip(SKIP_3) | instid1(VALU_DEP_2)
	v_sqrt_f32_e32 v6, v5
	s_waitcnt_depctr 0xfff
	v_add_nc_u32_e32 v7, -1, v6
	v_add_nc_u32_e32 v8, 1, v6
	v_fma_f32 v9, -v7, v6, v5
	s_delay_alu instid0(VALU_DEP_2) | instskip(NEXT) | instid1(VALU_DEP_2)
	v_fma_f32 v10, -v8, v6, v5
	v_cmp_ge_f32_e64 s3, 0, v9
	s_delay_alu instid0(VALU_DEP_1) | instskip(NEXT) | instid1(VALU_DEP_3)
	v_cndmask_b32_e64 v6, v6, v7, s3
	v_cmp_lt_f32_e64 s3, 0, v10
	s_delay_alu instid0(VALU_DEP_1) | instskip(NEXT) | instid1(VALU_DEP_1)
	v_cndmask_b32_e64 v6, v6, v8, s3
	v_mul_f32_e32 v7, 0x37800000, v6
	s_delay_alu instid0(VALU_DEP_1) | instskip(SKIP_1) | instid1(VALU_DEP_2)
	v_cndmask_b32_e32 v6, v6, v7, vcc_lo
	v_cmp_class_f32_e64 vcc_lo, v5, 0x260
	v_cndmask_b32_e32 v5, v6, v5, vcc_lo
	s_and_not1_b32 vcc_lo, exec_lo, s16
	ds_store_b32 v4, v5
	s_cbranch_vccnz .LBB165_13
; %bb.15:                               ;   in Loop: Header=BB165_14 Depth=1
	v_add_co_u32 v2, vcc_lo, s6, v2
	v_add_co_ci_u32_e32 v3, vcc_lo, s7, v3, vcc_lo
	global_load_u16 v2, v[2:3], off
	s_waitcnt vmcnt(0)
	v_cvt_f32_f16_e32 v2, v2
	s_delay_alu instid0(VALU_DEP_1)
	v_add_f32_e32 v2, v5, v2
	ds_store_b32 v4, v2
	s_branch .LBB165_13
.LBB165_16:
	s_or_b32 exec_lo, exec_lo, s18
	v_mov_b32_e32 v2, 0
	s_cmp_lt_i32 s13, 1
	s_waitcnt lgkmcnt(0)
	s_barrier
	buffer_gl0_inv
	s_cbranch_scc1 .LBB165_25
; %bb.17:
	s_add_u32 s4, s0, 56
	s_addc_u32 s5, s1, 0
	v_dual_mov_b32 v2, 0 :: v_dual_mov_b32 v5, 0xff800000
	v_dual_mov_b32 v4, 0 :: v_dual_mov_b32 v1, 0
	v_mov_b32_e32 v3, 0
	s_cmp_lg_u64 s[6:7], 0
	s_mov_b32 s18, 0
	s_cselect_b32 s12, -1, 0
	s_mov_b32 s19, 0x76543210
	s_branch .LBB165_19
.LBB165_18:                             ;   in Loop: Header=BB165_19 Depth=1
	v_cmp_eq_u32_e32 vcc_lo, s18, v0
	s_delay_alu instid0(VALU_DEP_2)
	s_lshl_b32 s3, s16, 2
	s_add_i32 s18, s18, 1
	s_add_i32 s3, s3, 0
	v_add_f32_e32 v3, v3, v8
	v_cndmask_b32_e64 v1, v1, s16, vcc_lo
	v_mov_b32_e32 v6, s3
	v_cndmask_b32_e32 v2, v2, v8, vcc_lo
	s_cmp_eq_u32 s18, s13
	ds_store_b32 v6, v5
	s_cbranch_scc1 .LBB165_26
.LBB165_19:                             ; =>This Loop Header: Depth=1
                                        ;     Child Loop BB165_21 Depth 2
	v_dual_mov_b32 v6, s18 :: v_dual_mov_b32 v7, 0xff800000
	s_and_saveexec_b32 s16, s2
	s_cbranch_execz .LBB165_23
; %bb.20:                               ;   in Loop: Header=BB165_19 Depth=1
	s_load_b32 s3, s[4:5], 0xc
	v_dual_mov_b32 v6, s18 :: v_dual_mov_b32 v7, 0xff800000
	v_dual_mov_b32 v8, v12 :: v_dual_mov_b32 v9, v11
	v_mov_b32_e32 v10, v0
	s_mov_b32 s21, 0
	s_waitcnt lgkmcnt(0)
	s_and_b32 s17, s3, 0xffff
	s_delay_alu instid0(SALU_CYCLE_1)
	s_lshl_b32 s20, s17, 2
	s_lshl_b32 s22, s17, 4
	.p2align	6
.LBB165_21:                             ;   Parent Loop BB165_19 Depth=1
                                        ; =>  This Inner Loop Header: Depth=2
	ds_load_b128 v[13:16], v8
	v_add_nc_u32_e32 v8, s22, v8
	v_add_nc_u32_e32 v10, s17, v10
	s_delay_alu instid0(VALU_DEP_1) | instskip(NEXT) | instid1(VALU_DEP_1)
	v_cmp_le_i32_e64 s3, s14, v10
	s_or_b32 s21, s3, s21
	s_waitcnt lgkmcnt(0)
	v_cmp_gt_f32_e32 vcc_lo, v13, v7
	v_cndmask_b32_e32 v7, v7, v13, vcc_lo
	v_cndmask_b32_e32 v6, v6, v9, vcc_lo
	s_delay_alu instid0(VALU_DEP_2) | instskip(SKIP_2) | instid1(VALU_DEP_1)
	v_cmp_gt_f32_e32 vcc_lo, v14, v7
	v_dual_cndmask_b32 v7, v7, v14 :: v_dual_add_nc_u32 v14, 2, v9
	v_add_nc_u32_e32 v13, 1, v9
	v_cndmask_b32_e32 v6, v6, v13, vcc_lo
	s_delay_alu instid0(VALU_DEP_3) | instskip(SKIP_2) | instid1(VALU_DEP_4)
	v_cmp_gt_f32_e32 vcc_lo, v15, v7
	v_add_nc_u32_e32 v13, 3, v9
	v_add_nc_u32_e32 v9, s20, v9
	v_dual_cndmask_b32 v7, v7, v15 :: v_dual_cndmask_b32 v6, v6, v14
	s_delay_alu instid0(VALU_DEP_1) | instskip(NEXT) | instid1(VALU_DEP_2)
	v_cmp_gt_f32_e32 vcc_lo, v16, v7
	v_dual_cndmask_b32 v7, v7, v16 :: v_dual_cndmask_b32 v6, v6, v13
	s_and_not1_b32 exec_lo, exec_lo, s21
	s_cbranch_execnz .LBB165_21
; %bb.22:                               ;   in Loop: Header=BB165_19 Depth=1
	s_or_b32 exec_lo, exec_lo, s21
.LBB165_23:                             ;   in Loop: Header=BB165_19 Depth=1
	s_delay_alu instid0(SALU_CYCLE_1)
	s_or_b32 exec_lo, exec_lo, s16
	;;#ASMSTART
	v_max_f32 v8, v7, v7 quad_perm:[1,0,3,2] row_mask:0xf bank_mask:0xf bound_ctrl:1
	;;#ASMEND
	;;#ASMSTART
	v_max_f32 v9, v8, v8 quad_perm:[2,3,0,1] row_mask:0xf bank_mask:0xf bound_ctrl:1
	;;#ASMEND
	;;#ASMSTART
	v_max_f32 v8, v9, v9 row_half_mirror row_mask:0xf bank_mask:0xf bound_ctrl:1
	;;#ASMEND
	;;#ASMSTART
	v_max_f32 v9, v8, v8 row_mirror row_mask:0xf bank_mask:0xf bound_ctrl:1
	;;#ASMEND
	v_permlanex16_b32 v8, v9, s19, 0xfedcba98 op_sel:[1,1]
	s_delay_alu instid0(VALU_DEP_1) | instskip(NEXT) | instid1(VALU_DEP_1)
	v_dual_max_f32 v9, v9, v9 :: v_dual_max_f32 v8, v8, v8
	v_max_f32_e32 v8, v9, v8
	s_delay_alu instid0(VALU_DEP_1)
	v_cmp_eq_f32_e32 vcc_lo, v7, v8
	s_ctz_i32_b32 s3, vcc_lo
	s_cmp_lg_u32 vcc_lo, 0
	s_cselect_b32 s3, s3, 0
	s_and_b32 vcc_lo, exec_lo, s12
	v_readlane_b32 s16, v6, s3
	s_cbranch_vccz .LBB165_18
; %bb.24:                               ;   in Loop: Header=BB165_19 Depth=1
	s_delay_alu instid0(VALU_DEP_1) | instskip(NEXT) | instid1(SALU_CYCLE_1)
	s_ashr_i32 s17, s16, 31
	s_lshl_b64 s[20:21], s[16:17], 1
	s_delay_alu instid0(SALU_CYCLE_1) | instskip(SKIP_4) | instid1(VALU_DEP_1)
	s_add_u32 s20, s6, s20
	s_addc_u32 s21, s7, s21
	global_load_u16 v6, v4, s[20:21]
	s_waitcnt vmcnt(0)
	v_cvt_f32_f16_e32 v6, v6
	v_sub_f32_e32 v8, v8, v6
	s_branch .LBB165_18
.LBB165_25:
	v_mov_b32_e32 v1, 0
	v_mov_b32_e32 v3, 0
.LBB165_26:
	s_mov_b32 s2, exec_lo
	v_cmpx_gt_i32_e64 s13, v0
	s_cbranch_execz .LBB165_29
; %bb.27:
	s_clause 0x1
	s_load_b32 s2, s[0:1], 0x34
	s_load_b32 s3, s[0:1], 0x44
	v_max_f32_e32 v3, v3, v3
	s_load_b64 s[0:1], s[0:1], 0x20
	s_ashr_i32 s4, s15, 31
	s_delay_alu instid0(VALU_DEP_1) | instskip(SKIP_1) | instid1(VALU_DEP_1)
	v_max_f32_e32 v3, 0x1e3ce508, v3
	s_waitcnt lgkmcnt(0)
	v_div_scale_f32 v4, null, v3, v3, s2
	v_div_scale_f32 v7, vcc_lo, s2, v3, s2
	s_mul_i32 s1, s15, s1
	s_delay_alu instid0(VALU_DEP_2) | instskip(SKIP_4) | instid1(VALU_DEP_1)
	v_rcp_f32_e32 v5, v4
	s_mul_i32 s4, s4, s0
	s_and_b32 s3, s3, 0xffff
	s_waitcnt_depctr 0xfff
	v_fma_f32 v6, -v4, v5, 1.0
	v_fmac_f32_e32 v5, v6, v5
	s_delay_alu instid0(VALU_DEP_1) | instskip(NEXT) | instid1(VALU_DEP_1)
	v_mul_f32_e32 v6, v7, v5
	v_fma_f32 v8, -v4, v6, v7
	s_delay_alu instid0(VALU_DEP_1) | instskip(NEXT) | instid1(VALU_DEP_1)
	v_fmac_f32_e32 v6, v8, v5
	v_fma_f32 v4, -v4, v6, v7
	s_delay_alu instid0(VALU_DEP_1) | instskip(NEXT) | instid1(VALU_DEP_1)
	v_div_fmas_f32 v4, v4, v5, v6
	v_div_fixup_f32 v3, v4, v3, s2
	s_mul_hi_u32 s2, s15, s0
	s_delay_alu instid0(SALU_CYCLE_1) | instskip(SKIP_1) | instid1(VALU_DEP_1)
	s_add_i32 s1, s2, s1
	s_mul_i32 s2, s15, s0
	v_mul_f32_e32 v2, v2, v3
	s_add_i32 s1, s1, s4
	s_mov_b32 s4, 0
	.p2align	6
.LBB165_28:                             ; =>This Inner Loop Header: Depth=1
	v_ashrrev_i32_e32 v4, 31, v0
	v_add_co_u32 v3, vcc_lo, s2, v0
	v_add_nc_u32_e32 v0, s3, v0
	s_delay_alu instid0(VALU_DEP_3) | instskip(NEXT) | instid1(VALU_DEP_2)
	v_add_co_ci_u32_e32 v4, vcc_lo, s1, v4, vcc_lo
	v_cmp_le_i32_e32 vcc_lo, s13, v0
	s_delay_alu instid0(VALU_DEP_2) | instskip(SKIP_1) | instid1(VALU_DEP_1)
	v_lshlrev_b64 v[3:4], 2, v[3:4]
	s_or_b32 s4, vcc_lo, s4
	v_add_co_u32 v5, s0, s8, v3
	s_delay_alu instid0(VALU_DEP_1) | instskip(SKIP_1) | instid1(VALU_DEP_1)
	v_add_co_ci_u32_e64 v6, s0, s9, v4, s0
	v_add_co_u32 v3, s0, s10, v3
	v_add_co_ci_u32_e64 v4, s0, s11, v4, s0
	global_store_b32 v[5:6], v2, off
	global_store_b32 v[3:4], v1, off
	s_and_not1_b32 exec_lo, exec_lo, s4
	s_cbranch_execnz .LBB165_28
.LBB165_29:
	s_nop 0
	s_sendmsg sendmsg(MSG_DEALLOC_VGPRS)
	s_endpgm
	.section	.rodata,"a",@progbits
	.p2align	6, 0x0
	.amdhsa_kernel _ZN5aiter20topk_softplus_kernelI6__halfS1_Dv4_fLb1ELi0EEEvPKT_PKT0_PfPimiiif
		.amdhsa_group_segment_fixed_size 0
		.amdhsa_private_segment_fixed_size 0
		.amdhsa_kernarg_size 312
		.amdhsa_user_sgpr_count 15
		.amdhsa_user_sgpr_dispatch_ptr 0
		.amdhsa_user_sgpr_queue_ptr 0
		.amdhsa_user_sgpr_kernarg_segment_ptr 1
		.amdhsa_user_sgpr_dispatch_id 0
		.amdhsa_user_sgpr_private_segment_size 0
		.amdhsa_wavefront_size32 1
		.amdhsa_uses_dynamic_stack 0
		.amdhsa_enable_private_segment 0
		.amdhsa_system_sgpr_workgroup_id_x 1
		.amdhsa_system_sgpr_workgroup_id_y 0
		.amdhsa_system_sgpr_workgroup_id_z 0
		.amdhsa_system_sgpr_workgroup_info 0
		.amdhsa_system_vgpr_workitem_id 0
		.amdhsa_next_free_vgpr 20
		.amdhsa_next_free_sgpr 32
		.amdhsa_reserve_vcc 1
		.amdhsa_float_round_mode_32 0
		.amdhsa_float_round_mode_16_64 0
		.amdhsa_float_denorm_mode_32 3
		.amdhsa_float_denorm_mode_16_64 3
		.amdhsa_dx10_clamp 1
		.amdhsa_ieee_mode 1
		.amdhsa_fp16_overflow 0
		.amdhsa_workgroup_processor_mode 1
		.amdhsa_memory_ordered 1
		.amdhsa_forward_progress 0
		.amdhsa_shared_vgpr_count 0
		.amdhsa_exception_fp_ieee_invalid_op 0
		.amdhsa_exception_fp_denorm_src 0
		.amdhsa_exception_fp_ieee_div_zero 0
		.amdhsa_exception_fp_ieee_overflow 0
		.amdhsa_exception_fp_ieee_underflow 0
		.amdhsa_exception_fp_ieee_inexact 0
		.amdhsa_exception_int_div_zero 0
	.end_amdhsa_kernel
	.section	.text._ZN5aiter20topk_softplus_kernelI6__halfS1_Dv4_fLb1ELi0EEEvPKT_PKT0_PfPimiiif,"axG",@progbits,_ZN5aiter20topk_softplus_kernelI6__halfS1_Dv4_fLb1ELi0EEEvPKT_PKT0_PfPimiiif,comdat
.Lfunc_end165:
	.size	_ZN5aiter20topk_softplus_kernelI6__halfS1_Dv4_fLb1ELi0EEEvPKT_PKT0_PfPimiiif, .Lfunc_end165-_ZN5aiter20topk_softplus_kernelI6__halfS1_Dv4_fLb1ELi0EEEvPKT_PKT0_PfPimiiif
                                        ; -- End function
	.section	.AMDGPU.csdata,"",@progbits
; Kernel info:
; codeLenInByte = 3068
; NumSgprs: 34
; NumVgprs: 20
; ScratchSize: 0
; MemoryBound: 0
; FloatMode: 240
; IeeeMode: 1
; LDSByteSize: 0 bytes/workgroup (compile time only)
; SGPRBlocks: 4
; VGPRBlocks: 2
; NumSGPRsForWavesPerEU: 34
; NumVGPRsForWavesPerEU: 20
; Occupancy: 16
; WaveLimiterHint : 0
; COMPUTE_PGM_RSRC2:SCRATCH_EN: 0
; COMPUTE_PGM_RSRC2:USER_SGPR: 15
; COMPUTE_PGM_RSRC2:TRAP_HANDLER: 0
; COMPUTE_PGM_RSRC2:TGID_X_EN: 1
; COMPUTE_PGM_RSRC2:TGID_Y_EN: 0
; COMPUTE_PGM_RSRC2:TGID_Z_EN: 0
; COMPUTE_PGM_RSRC2:TIDIG_COMP_CNT: 0
	.section	.text._ZN5aiter20topk_softplus_kernelI6__halfS1_Dv4_fLb0ELi0EEEvPKT_PKT0_PfPimiiif,"axG",@progbits,_ZN5aiter20topk_softplus_kernelI6__halfS1_Dv4_fLb0ELi0EEEvPKT_PKT0_PfPimiiif,comdat
	.protected	_ZN5aiter20topk_softplus_kernelI6__halfS1_Dv4_fLb0ELi0EEEvPKT_PKT0_PfPimiiif ; -- Begin function _ZN5aiter20topk_softplus_kernelI6__halfS1_Dv4_fLb0ELi0EEEvPKT_PKT0_PfPimiiif
	.globl	_ZN5aiter20topk_softplus_kernelI6__halfS1_Dv4_fLb0ELi0EEEvPKT_PKT0_PfPimiiif
	.p2align	8
	.type	_ZN5aiter20topk_softplus_kernelI6__halfS1_Dv4_fLb0ELi0EEEvPKT_PKT0_PfPimiiif,@function
_ZN5aiter20topk_softplus_kernelI6__halfS1_Dv4_fLb0ELi0EEEvPKT_PKT0_PfPimiiif: ; @_ZN5aiter20topk_softplus_kernelI6__halfS1_Dv4_fLb0ELi0EEEvPKT_PKT0_PfPimiiif
; %bb.0:
	s_clause 0x1
	s_load_b64 s[12:13], s[0:1], 0x28
	s_load_b256 s[4:11], s[0:1], 0x0
	v_lshlrev_b32_e32 v11, 2, v0
	v_lshl_add_u32 v12, v0, 4, 0
	s_waitcnt lgkmcnt(0)
	s_ashr_i32 s2, s12, 31
	s_mul_i32 s16, s15, s12
	s_lshr_b32 s2, s2, 30
	s_ashr_i32 s17, s16, 31
	s_add_i32 s2, s12, s2
	s_delay_alu instid0(SALU_CYCLE_1) | instskip(NEXT) | instid1(SALU_CYCLE_1)
	s_ashr_i32 s14, s2, 2
	v_cmp_gt_i32_e64 s2, s14, v0
	s_delay_alu instid0(VALU_DEP_1)
	s_and_saveexec_b32 s18, s2
	s_cbranch_execz .LBB166_11
; %bb.1:
	s_load_b32 s3, s[0:1], 0x44
	s_cmp_lg_u64 s[6:7], 0
	v_dual_mov_b32 v6, 0 :: v_dual_lshlrev_b32 v1, 3, v0
	s_cselect_b32 s20, -1, 0
	v_dual_mov_b32 v14, v0 :: v_dual_lshlrev_b32 v5, 2, v0
	v_lshl_add_u32 v13, v0, 4, 0
	s_mov_b32 s19, 0
	s_mov_b32 s31, 0x3fb8aa3b
	s_waitcnt lgkmcnt(0)
	s_and_b32 s21, s3, 0xffff
	s_add_u32 s22, s6, 2
	s_addc_u32 s23, s7, 0
	s_add_u32 s24, s6, 4
	s_addc_u32 s25, s7, 0
	;; [unrolled: 2-line block ×3, first 2 shown]
	s_lshl_b64 s[28:29], s[16:17], 1
	s_delay_alu instid0(SALU_CYCLE_1) | instskip(SKIP_2) | instid1(VALU_DEP_1)
	s_add_u32 s3, s4, s28
	s_addc_u32 s29, s5, s29
	v_add_co_u32 v7, s3, s3, v1
	v_add_co_ci_u32_e64 v8, null, s29, 0, s3
	s_lshl_b32 s28, s21, 3
	s_lshl_b32 s29, s21, 2
	;; [unrolled: 1-line block ×3, first 2 shown]
	s_branch .LBB166_3
.LBB166_2:                              ;   in Loop: Header=BB166_3 Depth=1
	v_add_nc_u32_e32 v14, s21, v14
	v_add_co_u32 v7, s3, v7, s28
	ds_store_b128 v13, v[1:4]
	v_add_co_ci_u32_e64 v8, s3, 0, v8, s3
	v_cmp_le_i32_e32 vcc_lo, s14, v14
	v_add_nc_u32_e32 v5, s29, v5
	v_add_nc_u32_e32 v13, s30, v13
	s_or_b32 s19, vcc_lo, s19
	s_delay_alu instid0(SALU_CYCLE_1)
	s_and_not1_b32 exec_lo, exec_lo, s19
	s_cbranch_execz .LBB166_11
.LBB166_3:                              ; =>This Inner Loop Header: Depth=1
	global_load_b64 v[3:4], v[7:8], off
	s_waitcnt vmcnt(0)
	v_cvt_f32_f16_e32 v1, v3
	s_delay_alu instid0(VALU_DEP_1) | instskip(NEXT) | instid1(VALU_DEP_1)
	v_mul_f32_e32 v2, 0x3fb8aa3b, v1
	v_cmp_gt_f32_e32 vcc_lo, 0xc2fc0000, v2
	v_cndmask_b32_e64 v9, 0, 0x42800000, vcc_lo
	v_cndmask_b32_e64 v2, 1.0, 0x1f800000, vcc_lo
	s_delay_alu instid0(VALU_DEP_2) | instskip(NEXT) | instid1(VALU_DEP_1)
	v_fma_mix_f32 v9, v3, s31, v9 op_sel_hi:[1,0,0]
	v_exp_f32_e32 v9, v9
	s_waitcnt_depctr 0xfff
	v_fma_f32 v2, v9, v2, 1.0
	s_delay_alu instid0(VALU_DEP_1) | instskip(SKIP_1) | instid1(VALU_DEP_1)
	v_cmp_gt_f32_e32 vcc_lo, 0x800000, v2
	v_cndmask_b32_e64 v9, 1.0, 0x4f800000, vcc_lo
	v_mul_f32_e32 v2, v2, v9
	v_cndmask_b32_e64 v9, 0, 0x42000000, vcc_lo
	v_cmp_lt_f16_e32 vcc_lo, 0x4d00, v3
	s_delay_alu instid0(VALU_DEP_3) | instskip(SKIP_2) | instid1(VALU_DEP_1)
	v_log_f32_e32 v2, v2
	s_waitcnt_depctr 0xfff
	v_sub_f32_e32 v2, v2, v9
	v_mul_f32_e32 v2, 0x3f317218, v2
	s_delay_alu instid0(VALU_DEP_1) | instskip(NEXT) | instid1(VALU_DEP_1)
	v_cndmask_b32_e32 v1, v2, v1, vcc_lo
	v_mul_f32_e32 v2, 0x4f800000, v1
	v_cmp_gt_f32_e32 vcc_lo, 0xf800000, v1
	s_delay_alu instid0(VALU_DEP_2) | instskip(NEXT) | instid1(VALU_DEP_1)
	v_cndmask_b32_e32 v1, v1, v2, vcc_lo
	v_sqrt_f32_e32 v2, v1
	s_waitcnt_depctr 0xfff
	v_add_nc_u32_e32 v9, -1, v2
	v_add_nc_u32_e32 v10, 1, v2
	s_delay_alu instid0(VALU_DEP_2) | instskip(NEXT) | instid1(VALU_DEP_2)
	v_fma_f32 v15, -v9, v2, v1
	v_fma_f32 v16, -v10, v2, v1
	s_delay_alu instid0(VALU_DEP_2) | instskip(NEXT) | instid1(VALU_DEP_1)
	v_cmp_ge_f32_e64 s3, 0, v15
	v_cndmask_b32_e64 v2, v2, v9, s3
	s_delay_alu instid0(VALU_DEP_3) | instskip(NEXT) | instid1(VALU_DEP_1)
	v_cmp_lt_f32_e64 s3, 0, v16
	v_cndmask_b32_e64 v2, v2, v10, s3
	s_delay_alu instid0(VALU_DEP_1) | instskip(NEXT) | instid1(VALU_DEP_1)
	v_mul_f32_e32 v9, 0x37800000, v2
	v_cndmask_b32_e32 v2, v2, v9, vcc_lo
	v_cmp_class_f32_e64 vcc_lo, v1, 0x260
	v_lshlrev_b64 v[9:10], 1, v[5:6]
	s_delay_alu instid0(VALU_DEP_3)
	v_cndmask_b32_e32 v1, v2, v1, vcc_lo
	s_and_not1_b32 vcc_lo, exec_lo, s20
	s_cbranch_vccnz .LBB166_5
; %bb.4:                                ;   in Loop: Header=BB166_3 Depth=1
	s_delay_alu instid0(VALU_DEP_2) | instskip(NEXT) | instid1(VALU_DEP_3)
	v_add_co_u32 v15, vcc_lo, s6, v9
	v_add_co_ci_u32_e32 v16, vcc_lo, s7, v10, vcc_lo
	global_load_u16 v2, v[15:16], off
	s_waitcnt vmcnt(0)
	v_cvt_f32_f16_e32 v2, v2
	s_delay_alu instid0(VALU_DEP_1)
	v_add_f32_e32 v1, v1, v2
.LBB166_5:                              ;   in Loop: Header=BB166_3 Depth=1
	v_lshrrev_b32_e32 v2, 16, v3
	s_delay_alu instid0(VALU_DEP_1) | instskip(NEXT) | instid1(VALU_DEP_1)
	v_cvt_f32_f16_e32 v15, v2
	v_mul_f32_e32 v16, 0x3fb8aa3b, v15
	s_delay_alu instid0(VALU_DEP_1) | instskip(SKIP_2) | instid1(VALU_DEP_2)
	v_cmp_gt_f32_e32 vcc_lo, 0xc2fc0000, v16
	v_cndmask_b32_e64 v17, 0, 0x42800000, vcc_lo
	v_cndmask_b32_e64 v16, 1.0, 0x1f800000, vcc_lo
	v_fma_mix_f32 v3, v3, s31, v17 op_sel:[1,0,0] op_sel_hi:[1,0,0]
	s_delay_alu instid0(VALU_DEP_1) | instskip(SKIP_2) | instid1(VALU_DEP_1)
	v_exp_f32_e32 v3, v3
	s_waitcnt_depctr 0xfff
	v_fma_f32 v3, v3, v16, 1.0
	v_cmp_gt_f32_e32 vcc_lo, 0x800000, v3
	v_cndmask_b32_e64 v16, 1.0, 0x4f800000, vcc_lo
	s_delay_alu instid0(VALU_DEP_1) | instskip(SKIP_2) | instid1(VALU_DEP_3)
	v_mul_f32_e32 v3, v3, v16
	v_cndmask_b32_e64 v16, 0, 0x42000000, vcc_lo
	v_cmp_lt_f16_e32 vcc_lo, 0x4d00, v2
	v_log_f32_e32 v3, v3
	s_waitcnt_depctr 0xfff
	v_sub_f32_e32 v3, v3, v16
	s_delay_alu instid0(VALU_DEP_1) | instskip(NEXT) | instid1(VALU_DEP_1)
	v_mul_f32_e32 v3, 0x3f317218, v3
	v_cndmask_b32_e32 v2, v3, v15, vcc_lo
	s_delay_alu instid0(VALU_DEP_1) | instskip(SKIP_1) | instid1(VALU_DEP_2)
	v_mul_f32_e32 v3, 0x4f800000, v2
	v_cmp_gt_f32_e32 vcc_lo, 0xf800000, v2
	v_cndmask_b32_e32 v2, v2, v3, vcc_lo
	s_delay_alu instid0(VALU_DEP_1) | instskip(SKIP_3) | instid1(VALU_DEP_2)
	v_sqrt_f32_e32 v3, v2
	s_waitcnt_depctr 0xfff
	v_add_nc_u32_e32 v15, -1, v3
	v_add_nc_u32_e32 v16, 1, v3
	v_fma_f32 v17, -v15, v3, v2
	s_delay_alu instid0(VALU_DEP_2) | instskip(NEXT) | instid1(VALU_DEP_2)
	v_fma_f32 v18, -v16, v3, v2
	v_cmp_ge_f32_e64 s3, 0, v17
	s_delay_alu instid0(VALU_DEP_1) | instskip(NEXT) | instid1(VALU_DEP_3)
	v_cndmask_b32_e64 v3, v3, v15, s3
	v_cmp_lt_f32_e64 s3, 0, v18
	s_delay_alu instid0(VALU_DEP_1) | instskip(NEXT) | instid1(VALU_DEP_1)
	v_cndmask_b32_e64 v3, v3, v16, s3
	v_mul_f32_e32 v15, 0x37800000, v3
	s_delay_alu instid0(VALU_DEP_1) | instskip(SKIP_1) | instid1(VALU_DEP_2)
	v_cndmask_b32_e32 v3, v3, v15, vcc_lo
	v_cmp_class_f32_e64 vcc_lo, v2, 0x260
	v_cndmask_b32_e32 v2, v3, v2, vcc_lo
	s_and_not1_b32 vcc_lo, exec_lo, s20
	s_cbranch_vccnz .LBB166_7
; %bb.6:                                ;   in Loop: Header=BB166_3 Depth=1
	v_add_co_u32 v15, vcc_lo, s22, v9
	v_add_co_ci_u32_e32 v16, vcc_lo, s23, v10, vcc_lo
	global_load_u16 v3, v[15:16], off
	s_waitcnt vmcnt(0)
	v_cvt_f32_f16_e32 v3, v3
	s_delay_alu instid0(VALU_DEP_1)
	v_add_f32_e32 v2, v2, v3
.LBB166_7:                              ;   in Loop: Header=BB166_3 Depth=1
	v_cvt_f32_f16_e32 v3, v4
	s_delay_alu instid0(VALU_DEP_1) | instskip(NEXT) | instid1(VALU_DEP_1)
	v_mul_f32_e32 v15, 0x3fb8aa3b, v3
	v_cmp_gt_f32_e32 vcc_lo, 0xc2fc0000, v15
	v_cndmask_b32_e64 v16, 0, 0x42800000, vcc_lo
	v_cndmask_b32_e64 v15, 1.0, 0x1f800000, vcc_lo
	s_delay_alu instid0(VALU_DEP_2) | instskip(NEXT) | instid1(VALU_DEP_1)
	v_fma_mix_f32 v16, v4, s31, v16 op_sel_hi:[1,0,0]
	v_exp_f32_e32 v16, v16
	s_waitcnt_depctr 0xfff
	v_fma_f32 v15, v16, v15, 1.0
	s_delay_alu instid0(VALU_DEP_1) | instskip(SKIP_1) | instid1(VALU_DEP_1)
	v_cmp_gt_f32_e32 vcc_lo, 0x800000, v15
	v_cndmask_b32_e64 v16, 1.0, 0x4f800000, vcc_lo
	v_mul_f32_e32 v15, v15, v16
	v_cndmask_b32_e64 v16, 0, 0x42000000, vcc_lo
	v_cmp_lt_f16_e32 vcc_lo, 0x4d00, v4
	s_delay_alu instid0(VALU_DEP_3) | instskip(SKIP_2) | instid1(VALU_DEP_1)
	v_log_f32_e32 v15, v15
	s_waitcnt_depctr 0xfff
	v_sub_f32_e32 v15, v15, v16
	v_mul_f32_e32 v15, 0x3f317218, v15
	s_delay_alu instid0(VALU_DEP_1) | instskip(NEXT) | instid1(VALU_DEP_1)
	v_cndmask_b32_e32 v3, v15, v3, vcc_lo
	v_mul_f32_e32 v15, 0x4f800000, v3
	v_cmp_gt_f32_e32 vcc_lo, 0xf800000, v3
	s_delay_alu instid0(VALU_DEP_2) | instskip(NEXT) | instid1(VALU_DEP_1)
	v_cndmask_b32_e32 v3, v3, v15, vcc_lo
	v_sqrt_f32_e32 v15, v3
	s_waitcnt_depctr 0xfff
	v_add_nc_u32_e32 v16, -1, v15
	v_add_nc_u32_e32 v17, 1, v15
	s_delay_alu instid0(VALU_DEP_2) | instskip(NEXT) | instid1(VALU_DEP_2)
	v_fma_f32 v18, -v16, v15, v3
	v_fma_f32 v19, -v17, v15, v3
	s_delay_alu instid0(VALU_DEP_2) | instskip(NEXT) | instid1(VALU_DEP_1)
	v_cmp_ge_f32_e64 s3, 0, v18
	v_cndmask_b32_e64 v15, v15, v16, s3
	s_delay_alu instid0(VALU_DEP_3) | instskip(NEXT) | instid1(VALU_DEP_1)
	v_cmp_lt_f32_e64 s3, 0, v19
	v_cndmask_b32_e64 v15, v15, v17, s3
	s_delay_alu instid0(VALU_DEP_1) | instskip(NEXT) | instid1(VALU_DEP_1)
	v_mul_f32_e32 v16, 0x37800000, v15
	v_cndmask_b32_e32 v15, v15, v16, vcc_lo
	v_cmp_class_f32_e64 vcc_lo, v3, 0x260
	s_delay_alu instid0(VALU_DEP_2)
	v_cndmask_b32_e32 v3, v15, v3, vcc_lo
	s_and_not1_b32 vcc_lo, exec_lo, s20
	s_cbranch_vccnz .LBB166_9
; %bb.8:                                ;   in Loop: Header=BB166_3 Depth=1
	v_add_co_u32 v15, vcc_lo, s24, v9
	v_add_co_ci_u32_e32 v16, vcc_lo, s25, v10, vcc_lo
	global_load_u16 v15, v[15:16], off
	s_waitcnt vmcnt(0)
	v_cvt_f32_f16_e32 v15, v15
	s_delay_alu instid0(VALU_DEP_1)
	v_add_f32_e32 v3, v3, v15
.LBB166_9:                              ;   in Loop: Header=BB166_3 Depth=1
	v_lshrrev_b32_e32 v15, 16, v4
	s_delay_alu instid0(VALU_DEP_1) | instskip(NEXT) | instid1(VALU_DEP_1)
	v_cvt_f32_f16_e32 v16, v15
	v_mul_f32_e32 v17, 0x3fb8aa3b, v16
	s_delay_alu instid0(VALU_DEP_1) | instskip(SKIP_2) | instid1(VALU_DEP_2)
	v_cmp_gt_f32_e32 vcc_lo, 0xc2fc0000, v17
	v_cndmask_b32_e64 v18, 0, 0x42800000, vcc_lo
	v_cndmask_b32_e64 v17, 1.0, 0x1f800000, vcc_lo
	v_fma_mix_f32 v4, v4, s31, v18 op_sel:[1,0,0] op_sel_hi:[1,0,0]
	s_delay_alu instid0(VALU_DEP_1) | instskip(SKIP_2) | instid1(VALU_DEP_1)
	v_exp_f32_e32 v4, v4
	s_waitcnt_depctr 0xfff
	v_fma_f32 v4, v4, v17, 1.0
	v_cmp_gt_f32_e32 vcc_lo, 0x800000, v4
	v_cndmask_b32_e64 v17, 1.0, 0x4f800000, vcc_lo
	s_delay_alu instid0(VALU_DEP_1) | instskip(SKIP_2) | instid1(VALU_DEP_3)
	v_mul_f32_e32 v4, v4, v17
	v_cndmask_b32_e64 v17, 0, 0x42000000, vcc_lo
	v_cmp_lt_f16_e32 vcc_lo, 0x4d00, v15
	v_log_f32_e32 v4, v4
	s_waitcnt_depctr 0xfff
	v_sub_f32_e32 v4, v4, v17
	s_delay_alu instid0(VALU_DEP_1) | instskip(NEXT) | instid1(VALU_DEP_1)
	v_mul_f32_e32 v4, 0x3f317218, v4
	v_cndmask_b32_e32 v4, v4, v16, vcc_lo
	s_delay_alu instid0(VALU_DEP_1) | instskip(SKIP_1) | instid1(VALU_DEP_2)
	v_mul_f32_e32 v15, 0x4f800000, v4
	v_cmp_gt_f32_e32 vcc_lo, 0xf800000, v4
	v_cndmask_b32_e32 v4, v4, v15, vcc_lo
	s_delay_alu instid0(VALU_DEP_1) | instskip(SKIP_3) | instid1(VALU_DEP_2)
	v_sqrt_f32_e32 v15, v4
	s_waitcnt_depctr 0xfff
	v_add_nc_u32_e32 v16, -1, v15
	v_add_nc_u32_e32 v17, 1, v15
	v_fma_f32 v18, -v16, v15, v4
	s_delay_alu instid0(VALU_DEP_2) | instskip(NEXT) | instid1(VALU_DEP_2)
	v_fma_f32 v19, -v17, v15, v4
	v_cmp_ge_f32_e64 s3, 0, v18
	s_delay_alu instid0(VALU_DEP_1) | instskip(NEXT) | instid1(VALU_DEP_3)
	v_cndmask_b32_e64 v15, v15, v16, s3
	v_cmp_lt_f32_e64 s3, 0, v19
	s_delay_alu instid0(VALU_DEP_1) | instskip(NEXT) | instid1(VALU_DEP_1)
	v_cndmask_b32_e64 v15, v15, v17, s3
	v_mul_f32_e32 v16, 0x37800000, v15
	s_delay_alu instid0(VALU_DEP_1) | instskip(SKIP_1) | instid1(VALU_DEP_2)
	v_cndmask_b32_e32 v15, v15, v16, vcc_lo
	v_cmp_class_f32_e64 vcc_lo, v4, 0x260
	v_cndmask_b32_e32 v4, v15, v4, vcc_lo
	s_and_not1_b32 vcc_lo, exec_lo, s20
	s_cbranch_vccnz .LBB166_2
; %bb.10:                               ;   in Loop: Header=BB166_3 Depth=1
	v_add_co_u32 v9, vcc_lo, s26, v9
	v_add_co_ci_u32_e32 v10, vcc_lo, s27, v10, vcc_lo
	global_load_u16 v9, v[9:10], off
	s_waitcnt vmcnt(0)
	v_cvt_f32_f16_e32 v9, v9
	s_delay_alu instid0(VALU_DEP_1)
	v_add_f32_e32 v4, v4, v9
	s_branch .LBB166_2
.LBB166_11:
	s_or_b32 exec_lo, exec_lo, s18
	v_lshl_add_u32 v1, s14, 2, v0
	s_mov_b32 s18, exec_lo
	s_delay_alu instid0(VALU_DEP_1)
	v_cmpx_gt_i32_e64 s12, v1
	s_cbranch_execz .LBB166_16
; %bb.12:
	s_load_b32 s3, s[0:1], 0x44
	s_lshl_b64 s[16:17], s[16:17], 1
	v_lshlrev_b32_e32 v2, 2, v0
	s_add_u32 s4, s4, s16
	s_addc_u32 s5, s5, s17
	s_cmp_lg_u64 s[6:7], 0
	s_mov_b32 s19, 0
	s_cselect_b32 s16, -1, 0
	s_lshl_b32 s17, s14, 4
	s_mov_b32 s21, 0x3fb8aa3b
	v_add3_u32 v4, 0, s17, v2
	s_waitcnt lgkmcnt(0)
	s_and_b32 s17, s3, 0xffff
	s_delay_alu instid0(SALU_CYCLE_1)
	s_lshl_b32 s20, s17, 2
	s_branch .LBB166_14
.LBB166_13:                             ;   in Loop: Header=BB166_14 Depth=1
	v_add_nc_u32_e32 v1, s17, v1
	v_add_nc_u32_e32 v4, s20, v4
	s_delay_alu instid0(VALU_DEP_2) | instskip(SKIP_1) | instid1(SALU_CYCLE_1)
	v_cmp_le_i32_e32 vcc_lo, s12, v1
	s_or_b32 s19, vcc_lo, s19
	s_and_not1_b32 exec_lo, exec_lo, s19
	s_cbranch_execz .LBB166_16
.LBB166_14:                             ; =>This Inner Loop Header: Depth=1
	v_ashrrev_i32_e32 v2, 31, v1
	s_delay_alu instid0(VALU_DEP_1) | instskip(NEXT) | instid1(VALU_DEP_1)
	v_lshlrev_b64 v[2:3], 1, v[1:2]
	v_add_co_u32 v5, vcc_lo, s4, v2
	s_delay_alu instid0(VALU_DEP_2) | instskip(SKIP_3) | instid1(VALU_DEP_1)
	v_add_co_ci_u32_e32 v6, vcc_lo, s5, v3, vcc_lo
	global_load_u16 v5, v[5:6], off
	s_waitcnt vmcnt(0)
	v_cvt_f32_f16_e32 v6, v5
	v_mul_f32_e32 v7, 0x3fb8aa3b, v6
	s_delay_alu instid0(VALU_DEP_1) | instskip(SKIP_2) | instid1(VALU_DEP_2)
	v_cmp_gt_f32_e32 vcc_lo, 0xc2fc0000, v7
	v_cndmask_b32_e64 v7, 0, 0x42800000, vcc_lo
	v_cndmask_b32_e64 v8, 1.0, 0x1f800000, vcc_lo
	v_fma_mix_f32 v7, v5, s21, v7 op_sel_hi:[1,0,0]
	s_delay_alu instid0(VALU_DEP_1) | instskip(SKIP_2) | instid1(VALU_DEP_1)
	v_exp_f32_e32 v7, v7
	s_waitcnt_depctr 0xfff
	v_fma_f32 v7, v7, v8, 1.0
	v_cmp_gt_f32_e32 vcc_lo, 0x800000, v7
	v_cndmask_b32_e64 v8, 1.0, 0x4f800000, vcc_lo
	s_delay_alu instid0(VALU_DEP_1) | instskip(SKIP_2) | instid1(VALU_DEP_3)
	v_mul_f32_e32 v7, v7, v8
	v_cndmask_b32_e64 v8, 0, 0x42000000, vcc_lo
	v_cmp_lt_f16_e32 vcc_lo, 0x4d00, v5
	v_log_f32_e32 v7, v7
	s_waitcnt_depctr 0xfff
	v_sub_f32_e32 v7, v7, v8
	s_delay_alu instid0(VALU_DEP_1) | instskip(NEXT) | instid1(VALU_DEP_1)
	v_mul_f32_e32 v7, 0x3f317218, v7
	v_cndmask_b32_e32 v5, v7, v6, vcc_lo
	s_delay_alu instid0(VALU_DEP_1) | instskip(SKIP_1) | instid1(VALU_DEP_2)
	v_mul_f32_e32 v6, 0x4f800000, v5
	v_cmp_gt_f32_e32 vcc_lo, 0xf800000, v5
	v_cndmask_b32_e32 v5, v5, v6, vcc_lo
	s_delay_alu instid0(VALU_DEP_1) | instskip(SKIP_3) | instid1(VALU_DEP_2)
	v_sqrt_f32_e32 v6, v5
	s_waitcnt_depctr 0xfff
	v_add_nc_u32_e32 v7, -1, v6
	v_add_nc_u32_e32 v8, 1, v6
	v_fma_f32 v9, -v7, v6, v5
	s_delay_alu instid0(VALU_DEP_2) | instskip(NEXT) | instid1(VALU_DEP_2)
	v_fma_f32 v10, -v8, v6, v5
	v_cmp_ge_f32_e64 s3, 0, v9
	s_delay_alu instid0(VALU_DEP_1) | instskip(NEXT) | instid1(VALU_DEP_3)
	v_cndmask_b32_e64 v6, v6, v7, s3
	v_cmp_lt_f32_e64 s3, 0, v10
	s_delay_alu instid0(VALU_DEP_1) | instskip(NEXT) | instid1(VALU_DEP_1)
	v_cndmask_b32_e64 v6, v6, v8, s3
	v_mul_f32_e32 v7, 0x37800000, v6
	s_delay_alu instid0(VALU_DEP_1) | instskip(SKIP_1) | instid1(VALU_DEP_2)
	v_cndmask_b32_e32 v6, v6, v7, vcc_lo
	v_cmp_class_f32_e64 vcc_lo, v5, 0x260
	v_cndmask_b32_e32 v5, v6, v5, vcc_lo
	s_and_not1_b32 vcc_lo, exec_lo, s16
	ds_store_b32 v4, v5
	s_cbranch_vccnz .LBB166_13
; %bb.15:                               ;   in Loop: Header=BB166_14 Depth=1
	v_add_co_u32 v2, vcc_lo, s6, v2
	v_add_co_ci_u32_e32 v3, vcc_lo, s7, v3, vcc_lo
	global_load_u16 v2, v[2:3], off
	s_waitcnt vmcnt(0)
	v_cvt_f32_f16_e32 v2, v2
	s_delay_alu instid0(VALU_DEP_1)
	v_add_f32_e32 v2, v5, v2
	ds_store_b32 v4, v2
	s_branch .LBB166_13
.LBB166_16:
	s_or_b32 exec_lo, exec_lo, s18
	s_cmp_lt_i32 s13, 1
	s_waitcnt lgkmcnt(0)
	s_barrier
	buffer_gl0_inv
	s_cbranch_scc1 .LBB166_25
; %bb.17:
	s_add_u32 s4, s0, 56
	s_addc_u32 s5, s1, 0
	v_dual_mov_b32 v3, 0 :: v_dual_mov_b32 v4, 0xff800000
	v_dual_mov_b32 v1, 0 :: v_dual_mov_b32 v2, 0
	s_cmp_lg_u64 s[6:7], 0
	s_mov_b32 s18, 0
	s_cselect_b32 s12, -1, 0
	s_mov_b32 s19, 0x76543210
	s_branch .LBB166_19
.LBB166_18:                             ;   in Loop: Header=BB166_19 Depth=1
	v_cmp_eq_u32_e32 vcc_lo, s18, v0
	s_delay_alu instid0(VALU_DEP_2)
	s_lshl_b32 s3, s16, 2
	s_add_i32 s18, s18, 1
	s_add_i32 s3, s3, 0
	s_cmp_eq_u32 s18, s13
	v_cndmask_b32_e64 v1, v1, s16, vcc_lo
	v_dual_mov_b32 v5, s3 :: v_dual_cndmask_b32 v2, v2, v7
	ds_store_b32 v5, v4
	s_cbranch_scc1 .LBB166_26
.LBB166_19:                             ; =>This Loop Header: Depth=1
                                        ;     Child Loop BB166_21 Depth 2
	v_dual_mov_b32 v5, s18 :: v_dual_mov_b32 v6, 0xff800000
	s_and_saveexec_b32 s16, s2
	s_cbranch_execz .LBB166_23
; %bb.20:                               ;   in Loop: Header=BB166_19 Depth=1
	s_load_b32 s3, s[4:5], 0xc
	v_dual_mov_b32 v5, s18 :: v_dual_mov_b32 v6, 0xff800000
	v_dual_mov_b32 v7, v12 :: v_dual_mov_b32 v8, v11
	v_mov_b32_e32 v9, v0
	s_mov_b32 s21, 0
	s_waitcnt lgkmcnt(0)
	s_and_b32 s17, s3, 0xffff
	s_delay_alu instid0(SALU_CYCLE_1)
	s_lshl_b32 s20, s17, 2
	s_lshl_b32 s22, s17, 4
	.p2align	6
.LBB166_21:                             ;   Parent Loop BB166_19 Depth=1
                                        ; =>  This Inner Loop Header: Depth=2
	ds_load_b128 v[13:16], v7
	v_add_nc_u32_e32 v7, s22, v7
	s_waitcnt lgkmcnt(0)
	v_cmp_gt_f32_e32 vcc_lo, v13, v6
	v_dual_cndmask_b32 v6, v6, v13 :: v_dual_cndmask_b32 v5, v5, v8
	v_add_nc_u32_e32 v13, 2, v8
	v_add_nc_u32_e32 v10, 1, v8
	s_delay_alu instid0(VALU_DEP_3) | instskip(SKIP_1) | instid1(VALU_DEP_3)
	v_cmp_gt_f32_e32 vcc_lo, v14, v6
	v_cndmask_b32_e32 v6, v6, v14, vcc_lo
	v_dual_cndmask_b32 v5, v5, v10 :: v_dual_add_nc_u32 v10, 3, v8
	s_delay_alu instid0(VALU_DEP_2) | instskip(NEXT) | instid1(VALU_DEP_2)
	v_cmp_gt_f32_e32 vcc_lo, v15, v6
	v_dual_cndmask_b32 v6, v6, v15 :: v_dual_cndmask_b32 v5, v5, v13
	s_delay_alu instid0(VALU_DEP_1) | instskip(SKIP_1) | instid1(VALU_DEP_3)
	v_cmp_gt_f32_e32 vcc_lo, v16, v6
	v_add_nc_u32_e32 v9, s17, v9
	v_dual_cndmask_b32 v5, v5, v10 :: v_dual_add_nc_u32 v8, s20, v8
	v_cndmask_b32_e32 v6, v6, v16, vcc_lo
	s_delay_alu instid0(VALU_DEP_3) | instskip(NEXT) | instid1(VALU_DEP_1)
	v_cmp_le_i32_e64 s3, s14, v9
	s_or_b32 s21, s3, s21
	s_delay_alu instid0(SALU_CYCLE_1)
	s_and_not1_b32 exec_lo, exec_lo, s21
	s_cbranch_execnz .LBB166_21
; %bb.22:                               ;   in Loop: Header=BB166_19 Depth=1
	s_or_b32 exec_lo, exec_lo, s21
.LBB166_23:                             ;   in Loop: Header=BB166_19 Depth=1
	s_delay_alu instid0(SALU_CYCLE_1)
	s_or_b32 exec_lo, exec_lo, s16
	;;#ASMSTART
	v_max_f32 v7, v6, v6 quad_perm:[1,0,3,2] row_mask:0xf bank_mask:0xf bound_ctrl:1
	;;#ASMEND
	;;#ASMSTART
	v_max_f32 v8, v7, v7 quad_perm:[2,3,0,1] row_mask:0xf bank_mask:0xf bound_ctrl:1
	;;#ASMEND
	;;#ASMSTART
	v_max_f32 v7, v8, v8 row_half_mirror row_mask:0xf bank_mask:0xf bound_ctrl:1
	;;#ASMEND
	;;#ASMSTART
	v_max_f32 v8, v7, v7 row_mirror row_mask:0xf bank_mask:0xf bound_ctrl:1
	;;#ASMEND
	v_permlanex16_b32 v7, v8, s19, 0xfedcba98 op_sel:[1,1]
	s_delay_alu instid0(VALU_DEP_1) | instskip(NEXT) | instid1(VALU_DEP_1)
	v_dual_max_f32 v8, v8, v8 :: v_dual_max_f32 v7, v7, v7
	v_max_f32_e32 v7, v8, v7
	s_delay_alu instid0(VALU_DEP_1)
	v_cmp_eq_f32_e32 vcc_lo, v6, v7
	s_ctz_i32_b32 s3, vcc_lo
	s_cmp_lg_u32 vcc_lo, 0
	s_cselect_b32 s3, s3, 0
	s_and_b32 vcc_lo, exec_lo, s12
	v_readlane_b32 s16, v5, s3
	s_cbranch_vccz .LBB166_18
; %bb.24:                               ;   in Loop: Header=BB166_19 Depth=1
	s_delay_alu instid0(VALU_DEP_1) | instskip(NEXT) | instid1(SALU_CYCLE_1)
	s_ashr_i32 s17, s16, 31
	s_lshl_b64 s[20:21], s[16:17], 1
	s_delay_alu instid0(SALU_CYCLE_1) | instskip(SKIP_4) | instid1(VALU_DEP_1)
	s_add_u32 s20, s6, s20
	s_addc_u32 s21, s7, s21
	global_load_u16 v5, v3, s[20:21]
	s_waitcnt vmcnt(0)
	v_cvt_f32_f16_e32 v5, v5
	v_sub_f32_e32 v7, v7, v5
	s_branch .LBB166_18
.LBB166_25:
	v_dual_mov_b32 v2, 0 :: v_dual_mov_b32 v1, 0
.LBB166_26:
	s_mov_b32 s2, exec_lo
	v_cmpx_gt_i32_e64 s13, v0
	s_cbranch_execz .LBB166_29
; %bb.27:
	s_clause 0x2
	s_load_b32 s4, s[0:1], 0x34
	s_load_b64 s[2:3], s[0:1], 0x20
	s_load_b32 s0, s[0:1], 0x44
	s_ashr_i32 s1, s15, 31
	s_waitcnt lgkmcnt(0)
	v_mul_f32_e32 v2, s4, v2
	s_mul_i32 s3, s15, s3
	s_mul_hi_u32 s4, s15, s2
	s_mul_i32 s5, s1, s2
	s_add_i32 s3, s4, s3
	s_mul_i32 s1, s15, s2
	s_and_b32 s2, s0, 0xffff
	s_add_i32 s3, s3, s5
	s_mov_b32 s4, 0
	.p2align	6
.LBB166_28:                             ; =>This Inner Loop Header: Depth=1
	v_ashrrev_i32_e32 v4, 31, v0
	v_add_co_u32 v3, vcc_lo, s1, v0
	v_add_nc_u32_e32 v0, s2, v0
	s_delay_alu instid0(VALU_DEP_3) | instskip(NEXT) | instid1(VALU_DEP_2)
	v_add_co_ci_u32_e32 v4, vcc_lo, s3, v4, vcc_lo
	v_cmp_le_i32_e32 vcc_lo, s13, v0
	s_delay_alu instid0(VALU_DEP_2) | instskip(SKIP_1) | instid1(VALU_DEP_1)
	v_lshlrev_b64 v[3:4], 2, v[3:4]
	s_or_b32 s4, vcc_lo, s4
	v_add_co_u32 v5, s0, s8, v3
	s_delay_alu instid0(VALU_DEP_1) | instskip(SKIP_1) | instid1(VALU_DEP_1)
	v_add_co_ci_u32_e64 v6, s0, s9, v4, s0
	v_add_co_u32 v3, s0, s10, v3
	v_add_co_ci_u32_e64 v4, s0, s11, v4, s0
	global_store_b32 v[5:6], v2, off
	global_store_b32 v[3:4], v1, off
	s_and_not1_b32 exec_lo, exec_lo, s4
	s_cbranch_execnz .LBB166_28
.LBB166_29:
	s_nop 0
	s_sendmsg sendmsg(MSG_DEALLOC_VGPRS)
	s_endpgm
	.section	.rodata,"a",@progbits
	.p2align	6, 0x0
	.amdhsa_kernel _ZN5aiter20topk_softplus_kernelI6__halfS1_Dv4_fLb0ELi0EEEvPKT_PKT0_PfPimiiif
		.amdhsa_group_segment_fixed_size 0
		.amdhsa_private_segment_fixed_size 0
		.amdhsa_kernarg_size 312
		.amdhsa_user_sgpr_count 15
		.amdhsa_user_sgpr_dispatch_ptr 0
		.amdhsa_user_sgpr_queue_ptr 0
		.amdhsa_user_sgpr_kernarg_segment_ptr 1
		.amdhsa_user_sgpr_dispatch_id 0
		.amdhsa_user_sgpr_private_segment_size 0
		.amdhsa_wavefront_size32 1
		.amdhsa_uses_dynamic_stack 0
		.amdhsa_enable_private_segment 0
		.amdhsa_system_sgpr_workgroup_id_x 1
		.amdhsa_system_sgpr_workgroup_id_y 0
		.amdhsa_system_sgpr_workgroup_id_z 0
		.amdhsa_system_sgpr_workgroup_info 0
		.amdhsa_system_vgpr_workitem_id 0
		.amdhsa_next_free_vgpr 20
		.amdhsa_next_free_sgpr 32
		.amdhsa_reserve_vcc 1
		.amdhsa_float_round_mode_32 0
		.amdhsa_float_round_mode_16_64 0
		.amdhsa_float_denorm_mode_32 3
		.amdhsa_float_denorm_mode_16_64 3
		.amdhsa_dx10_clamp 1
		.amdhsa_ieee_mode 1
		.amdhsa_fp16_overflow 0
		.amdhsa_workgroup_processor_mode 1
		.amdhsa_memory_ordered 1
		.amdhsa_forward_progress 0
		.amdhsa_shared_vgpr_count 0
		.amdhsa_exception_fp_ieee_invalid_op 0
		.amdhsa_exception_fp_denorm_src 0
		.amdhsa_exception_fp_ieee_div_zero 0
		.amdhsa_exception_fp_ieee_overflow 0
		.amdhsa_exception_fp_ieee_underflow 0
		.amdhsa_exception_fp_ieee_inexact 0
		.amdhsa_exception_int_div_zero 0
	.end_amdhsa_kernel
	.section	.text._ZN5aiter20topk_softplus_kernelI6__halfS1_Dv4_fLb0ELi0EEEvPKT_PKT0_PfPimiiif,"axG",@progbits,_ZN5aiter20topk_softplus_kernelI6__halfS1_Dv4_fLb0ELi0EEEvPKT_PKT0_PfPimiiif,comdat
.Lfunc_end166:
	.size	_ZN5aiter20topk_softplus_kernelI6__halfS1_Dv4_fLb0ELi0EEEvPKT_PKT0_PfPimiiif, .Lfunc_end166-_ZN5aiter20topk_softplus_kernelI6__halfS1_Dv4_fLb0ELi0EEEvPKT_PKT0_PfPimiiif
                                        ; -- End function
	.section	.AMDGPU.csdata,"",@progbits
; Kernel info:
; codeLenInByte = 2948
; NumSgprs: 34
; NumVgprs: 20
; ScratchSize: 0
; MemoryBound: 0
; FloatMode: 240
; IeeeMode: 1
; LDSByteSize: 0 bytes/workgroup (compile time only)
; SGPRBlocks: 4
; VGPRBlocks: 2
; NumSGPRsForWavesPerEU: 34
; NumVGPRsForWavesPerEU: 20
; Occupancy: 16
; WaveLimiterHint : 0
; COMPUTE_PGM_RSRC2:SCRATCH_EN: 0
; COMPUTE_PGM_RSRC2:USER_SGPR: 15
; COMPUTE_PGM_RSRC2:TRAP_HANDLER: 0
; COMPUTE_PGM_RSRC2:TGID_X_EN: 1
; COMPUTE_PGM_RSRC2:TGID_Y_EN: 0
; COMPUTE_PGM_RSRC2:TGID_Z_EN: 0
; COMPUTE_PGM_RSRC2:TIDIG_COMP_CNT: 0
	.section	.text._ZN5aiter20topk_softplus_kernelI6__halfS1_Dv2_fLb1ELi0EEEvPKT_PKT0_PfPimiiif,"axG",@progbits,_ZN5aiter20topk_softplus_kernelI6__halfS1_Dv2_fLb1ELi0EEEvPKT_PKT0_PfPimiiif,comdat
	.protected	_ZN5aiter20topk_softplus_kernelI6__halfS1_Dv2_fLb1ELi0EEEvPKT_PKT0_PfPimiiif ; -- Begin function _ZN5aiter20topk_softplus_kernelI6__halfS1_Dv2_fLb1ELi0EEEvPKT_PKT0_PfPimiiif
	.globl	_ZN5aiter20topk_softplus_kernelI6__halfS1_Dv2_fLb1ELi0EEEvPKT_PKT0_PfPimiiif
	.p2align	8
	.type	_ZN5aiter20topk_softplus_kernelI6__halfS1_Dv2_fLb1ELi0EEEvPKT_PKT0_PfPimiiif,@function
_ZN5aiter20topk_softplus_kernelI6__halfS1_Dv2_fLb1ELi0EEEvPKT_PKT0_PfPimiiif: ; @_ZN5aiter20topk_softplus_kernelI6__halfS1_Dv2_fLb1ELi0EEEvPKT_PKT0_PfPimiiif
; %bb.0:
	s_clause 0x1
	s_load_b64 s[12:13], s[0:1], 0x28
	s_load_b256 s[4:11], s[0:1], 0x0
	v_lshl_add_u32 v4, v0, 3, 0
	s_waitcnt lgkmcnt(0)
	s_lshr_b32 s3, s12, 31
	s_mul_i32 s2, s15, s12
	s_add_i32 s14, s12, s3
	s_ashr_i32 s3, s2, 31
	s_ashr_i32 s14, s14, 1
	s_lshl_b64 s[16:17], s[2:3], 1
	v_cmp_gt_i32_e64 s2, s14, v0
	s_add_u32 s4, s4, s16
	s_addc_u32 s5, s5, s17
	s_delay_alu instid0(VALU_DEP_1)
	s_and_saveexec_b32 s16, s2
	s_cbranch_execz .LBB167_7
; %bb.1:
	s_load_b32 s3, s[0:1], 0x44
	s_cmp_lg_u64 s[6:7], 0
	v_lshlrev_b32_e32 v3, 2, v0
	v_mov_b32_e32 v5, 0
	v_lshl_add_u32 v6, v0, 3, 0
	v_mov_b32_e32 v7, v0
	s_cselect_b32 s18, -1, 0
	s_mov_b32 s17, 0
	s_mov_b32 s22, 0x3fb8aa3b
	s_waitcnt lgkmcnt(0)
	s_and_b32 s19, s3, 0xffff
	s_delay_alu instid0(SALU_CYCLE_1)
	s_lshl_b32 s20, s19, 2
	s_lshl_b32 s21, s19, 3
	s_branch .LBB167_3
.LBB167_2:                              ;   in Loop: Header=BB167_3 Depth=1
	v_add_nc_u32_e32 v7, s19, v7
	v_add_co_u32 v3, s3, v3, s20
	ds_store_b64 v6, v[1:2]
	v_add_co_ci_u32_e64 v5, s3, 0, v5, s3
	v_cmp_le_i32_e32 vcc_lo, s14, v7
	v_add_nc_u32_e32 v6, s21, v6
	s_or_b32 s17, vcc_lo, s17
	s_delay_alu instid0(SALU_CYCLE_1)
	s_and_not1_b32 exec_lo, exec_lo, s17
	s_cbranch_execz .LBB167_7
.LBB167_3:                              ; =>This Inner Loop Header: Depth=1
	v_add_co_u32 v1, vcc_lo, s4, v3
	v_add_co_ci_u32_e32 v2, vcc_lo, s5, v5, vcc_lo
	global_load_b32 v2, v[1:2], off
	s_waitcnt vmcnt(0)
	v_cvt_f32_f16_e32 v1, v2
	s_delay_alu instid0(VALU_DEP_1) | instskip(NEXT) | instid1(VALU_DEP_1)
	v_mul_f32_e32 v8, 0x3fb8aa3b, v1
	v_cmp_gt_f32_e32 vcc_lo, 0xc2fc0000, v8
	v_cndmask_b32_e64 v8, 0, 0x42800000, vcc_lo
	v_cndmask_b32_e64 v9, 1.0, 0x1f800000, vcc_lo
	s_delay_alu instid0(VALU_DEP_2) | instskip(NEXT) | instid1(VALU_DEP_1)
	v_fma_mix_f32 v8, v2, s22, v8 op_sel_hi:[1,0,0]
	v_exp_f32_e32 v8, v8
	s_waitcnt_depctr 0xfff
	v_fma_f32 v8, v8, v9, 1.0
	s_delay_alu instid0(VALU_DEP_1) | instskip(SKIP_1) | instid1(VALU_DEP_1)
	v_cmp_gt_f32_e32 vcc_lo, 0x800000, v8
	v_cndmask_b32_e64 v9, 1.0, 0x4f800000, vcc_lo
	v_mul_f32_e32 v8, v8, v9
	v_cndmask_b32_e64 v9, 0, 0x42000000, vcc_lo
	v_cmp_lt_f16_e32 vcc_lo, 0x4d00, v2
	s_delay_alu instid0(VALU_DEP_3) | instskip(SKIP_2) | instid1(VALU_DEP_1)
	v_log_f32_e32 v8, v8
	s_waitcnt_depctr 0xfff
	v_sub_f32_e32 v8, v8, v9
	v_mul_f32_e32 v8, 0x3f317218, v8
	s_delay_alu instid0(VALU_DEP_1) | instskip(NEXT) | instid1(VALU_DEP_1)
	v_cndmask_b32_e32 v1, v8, v1, vcc_lo
	v_mul_f32_e32 v8, 0x4f800000, v1
	v_cmp_gt_f32_e32 vcc_lo, 0xf800000, v1
	s_delay_alu instid0(VALU_DEP_2) | instskip(NEXT) | instid1(VALU_DEP_1)
	v_cndmask_b32_e32 v1, v1, v8, vcc_lo
	v_sqrt_f32_e32 v8, v1
	s_waitcnt_depctr 0xfff
	v_add_nc_u32_e32 v9, -1, v8
	v_add_nc_u32_e32 v10, 1, v8
	s_delay_alu instid0(VALU_DEP_2) | instskip(NEXT) | instid1(VALU_DEP_2)
	v_fma_f32 v11, -v9, v8, v1
	v_fma_f32 v12, -v10, v8, v1
	s_delay_alu instid0(VALU_DEP_2) | instskip(NEXT) | instid1(VALU_DEP_1)
	v_cmp_ge_f32_e64 s3, 0, v11
	v_cndmask_b32_e64 v8, v8, v9, s3
	s_delay_alu instid0(VALU_DEP_3) | instskip(NEXT) | instid1(VALU_DEP_1)
	v_cmp_lt_f32_e64 s3, 0, v12
	v_cndmask_b32_e64 v8, v8, v10, s3
	s_delay_alu instid0(VALU_DEP_1) | instskip(NEXT) | instid1(VALU_DEP_1)
	v_mul_f32_e32 v9, 0x37800000, v8
	v_cndmask_b32_e32 v8, v8, v9, vcc_lo
	v_cmp_class_f32_e64 vcc_lo, v1, 0x260
	s_delay_alu instid0(VALU_DEP_2)
	v_cndmask_b32_e32 v1, v8, v1, vcc_lo
	s_and_not1_b32 vcc_lo, exec_lo, s18
	s_cbranch_vccnz .LBB167_5
; %bb.4:                                ;   in Loop: Header=BB167_3 Depth=1
	v_add_co_u32 v8, vcc_lo, s6, v3
	v_add_co_ci_u32_e32 v9, vcc_lo, s7, v5, vcc_lo
	global_load_u16 v8, v[8:9], off
	s_waitcnt vmcnt(0)
	v_cvt_f32_f16_e32 v8, v8
	s_delay_alu instid0(VALU_DEP_1)
	v_add_f32_e32 v1, v1, v8
.LBB167_5:                              ;   in Loop: Header=BB167_3 Depth=1
	v_lshrrev_b32_e32 v8, 16, v2
	s_delay_alu instid0(VALU_DEP_1) | instskip(NEXT) | instid1(VALU_DEP_1)
	v_cvt_f32_f16_e32 v9, v8
	v_mul_f32_e32 v10, 0x3fb8aa3b, v9
	s_delay_alu instid0(VALU_DEP_1) | instskip(SKIP_2) | instid1(VALU_DEP_2)
	v_cmp_gt_f32_e32 vcc_lo, 0xc2fc0000, v10
	v_cndmask_b32_e64 v11, 0, 0x42800000, vcc_lo
	v_cndmask_b32_e64 v10, 1.0, 0x1f800000, vcc_lo
	v_fma_mix_f32 v2, v2, s22, v11 op_sel:[1,0,0] op_sel_hi:[1,0,0]
	s_delay_alu instid0(VALU_DEP_1) | instskip(SKIP_2) | instid1(VALU_DEP_1)
	v_exp_f32_e32 v2, v2
	s_waitcnt_depctr 0xfff
	v_fma_f32 v2, v2, v10, 1.0
	v_cmp_gt_f32_e32 vcc_lo, 0x800000, v2
	v_cndmask_b32_e64 v10, 1.0, 0x4f800000, vcc_lo
	s_delay_alu instid0(VALU_DEP_1) | instskip(SKIP_2) | instid1(VALU_DEP_3)
	v_mul_f32_e32 v2, v2, v10
	v_cndmask_b32_e64 v10, 0, 0x42000000, vcc_lo
	v_cmp_lt_f16_e32 vcc_lo, 0x4d00, v8
	v_log_f32_e32 v2, v2
	s_waitcnt_depctr 0xfff
	v_sub_f32_e32 v2, v2, v10
	s_delay_alu instid0(VALU_DEP_1) | instskip(NEXT) | instid1(VALU_DEP_1)
	v_mul_f32_e32 v2, 0x3f317218, v2
	v_cndmask_b32_e32 v2, v2, v9, vcc_lo
	s_delay_alu instid0(VALU_DEP_1) | instskip(SKIP_1) | instid1(VALU_DEP_2)
	v_mul_f32_e32 v8, 0x4f800000, v2
	v_cmp_gt_f32_e32 vcc_lo, 0xf800000, v2
	v_cndmask_b32_e32 v2, v2, v8, vcc_lo
	s_delay_alu instid0(VALU_DEP_1) | instskip(SKIP_3) | instid1(VALU_DEP_2)
	v_sqrt_f32_e32 v8, v2
	s_waitcnt_depctr 0xfff
	v_add_nc_u32_e32 v9, -1, v8
	v_add_nc_u32_e32 v10, 1, v8
	v_fma_f32 v11, -v9, v8, v2
	s_delay_alu instid0(VALU_DEP_2) | instskip(NEXT) | instid1(VALU_DEP_2)
	v_fma_f32 v12, -v10, v8, v2
	v_cmp_ge_f32_e64 s3, 0, v11
	s_delay_alu instid0(VALU_DEP_1) | instskip(NEXT) | instid1(VALU_DEP_3)
	v_cndmask_b32_e64 v8, v8, v9, s3
	v_cmp_lt_f32_e64 s3, 0, v12
	s_delay_alu instid0(VALU_DEP_1) | instskip(NEXT) | instid1(VALU_DEP_1)
	v_cndmask_b32_e64 v8, v8, v10, s3
	v_mul_f32_e32 v9, 0x37800000, v8
	s_delay_alu instid0(VALU_DEP_1) | instskip(SKIP_1) | instid1(VALU_DEP_2)
	v_cndmask_b32_e32 v8, v8, v9, vcc_lo
	v_cmp_class_f32_e64 vcc_lo, v2, 0x260
	v_cndmask_b32_e32 v2, v8, v2, vcc_lo
	s_and_not1_b32 vcc_lo, exec_lo, s18
	s_cbranch_vccnz .LBB167_2
; %bb.6:                                ;   in Loop: Header=BB167_3 Depth=1
	v_add_co_u32 v8, vcc_lo, s6, v3
	v_add_co_ci_u32_e32 v9, vcc_lo, s7, v5, vcc_lo
	global_load_u16 v8, v[8:9], off offset:2
	s_waitcnt vmcnt(0)
	v_cvt_f32_f16_e32 v8, v8
	s_delay_alu instid0(VALU_DEP_1)
	v_add_f32_e32 v2, v2, v8
	s_branch .LBB167_2
.LBB167_7:
	s_or_b32 exec_lo, exec_lo, s16
	v_lshl_add_u32 v1, s14, 1, v0
	s_mov_b32 s16, exec_lo
	s_delay_alu instid0(VALU_DEP_1)
	v_cmpx_gt_i32_e64 s12, v1
	s_cbranch_execz .LBB167_12
; %bb.8:
	s_load_b32 s3, s[0:1], 0x44
	v_lshlrev_b32_e32 v2, 2, v0
	s_cmp_lg_u64 s[6:7], 0
	s_mov_b32 s19, 0
	s_cselect_b32 s17, -1, 0
	s_lshl_b32 s18, s14, 3
	s_mov_b32 s21, 0x3fb8aa3b
	v_add3_u32 v5, 0, s18, v2
	s_waitcnt lgkmcnt(0)
	s_and_b32 s18, s3, 0xffff
	s_delay_alu instid0(SALU_CYCLE_1)
	s_lshl_b32 s20, s18, 2
	s_branch .LBB167_10
.LBB167_9:                              ;   in Loop: Header=BB167_10 Depth=1
	v_add_nc_u32_e32 v1, s18, v1
	v_add_nc_u32_e32 v5, s20, v5
	s_delay_alu instid0(VALU_DEP_2) | instskip(SKIP_1) | instid1(SALU_CYCLE_1)
	v_cmp_le_i32_e32 vcc_lo, s12, v1
	s_or_b32 s19, vcc_lo, s19
	s_and_not1_b32 exec_lo, exec_lo, s19
	s_cbranch_execz .LBB167_12
.LBB167_10:                             ; =>This Inner Loop Header: Depth=1
	v_ashrrev_i32_e32 v2, 31, v1
	s_delay_alu instid0(VALU_DEP_1) | instskip(NEXT) | instid1(VALU_DEP_1)
	v_lshlrev_b64 v[2:3], 1, v[1:2]
	v_add_co_u32 v6, vcc_lo, s4, v2
	s_delay_alu instid0(VALU_DEP_2) | instskip(SKIP_3) | instid1(VALU_DEP_1)
	v_add_co_ci_u32_e32 v7, vcc_lo, s5, v3, vcc_lo
	global_load_u16 v6, v[6:7], off
	s_waitcnt vmcnt(0)
	v_cvt_f32_f16_e32 v7, v6
	v_mul_f32_e32 v8, 0x3fb8aa3b, v7
	s_delay_alu instid0(VALU_DEP_1) | instskip(SKIP_2) | instid1(VALU_DEP_2)
	v_cmp_gt_f32_e32 vcc_lo, 0xc2fc0000, v8
	v_cndmask_b32_e64 v8, 0, 0x42800000, vcc_lo
	v_cndmask_b32_e64 v9, 1.0, 0x1f800000, vcc_lo
	v_fma_mix_f32 v8, v6, s21, v8 op_sel_hi:[1,0,0]
	s_delay_alu instid0(VALU_DEP_1) | instskip(SKIP_2) | instid1(VALU_DEP_1)
	v_exp_f32_e32 v8, v8
	s_waitcnt_depctr 0xfff
	v_fma_f32 v8, v8, v9, 1.0
	v_cmp_gt_f32_e32 vcc_lo, 0x800000, v8
	v_cndmask_b32_e64 v9, 1.0, 0x4f800000, vcc_lo
	s_delay_alu instid0(VALU_DEP_1) | instskip(SKIP_2) | instid1(VALU_DEP_3)
	v_mul_f32_e32 v8, v8, v9
	v_cndmask_b32_e64 v9, 0, 0x42000000, vcc_lo
	v_cmp_lt_f16_e32 vcc_lo, 0x4d00, v6
	v_log_f32_e32 v8, v8
	s_waitcnt_depctr 0xfff
	v_sub_f32_e32 v8, v8, v9
	s_delay_alu instid0(VALU_DEP_1) | instskip(NEXT) | instid1(VALU_DEP_1)
	v_mul_f32_e32 v8, 0x3f317218, v8
	v_cndmask_b32_e32 v6, v8, v7, vcc_lo
	s_delay_alu instid0(VALU_DEP_1) | instskip(SKIP_1) | instid1(VALU_DEP_2)
	v_mul_f32_e32 v7, 0x4f800000, v6
	v_cmp_gt_f32_e32 vcc_lo, 0xf800000, v6
	v_cndmask_b32_e32 v6, v6, v7, vcc_lo
	s_delay_alu instid0(VALU_DEP_1) | instskip(SKIP_3) | instid1(VALU_DEP_2)
	v_sqrt_f32_e32 v7, v6
	s_waitcnt_depctr 0xfff
	v_add_nc_u32_e32 v8, -1, v7
	v_add_nc_u32_e32 v9, 1, v7
	v_fma_f32 v10, -v8, v7, v6
	s_delay_alu instid0(VALU_DEP_2) | instskip(NEXT) | instid1(VALU_DEP_2)
	v_fma_f32 v11, -v9, v7, v6
	v_cmp_ge_f32_e64 s3, 0, v10
	s_delay_alu instid0(VALU_DEP_1) | instskip(NEXT) | instid1(VALU_DEP_3)
	v_cndmask_b32_e64 v7, v7, v8, s3
	v_cmp_lt_f32_e64 s3, 0, v11
	s_delay_alu instid0(VALU_DEP_1) | instskip(NEXT) | instid1(VALU_DEP_1)
	v_cndmask_b32_e64 v7, v7, v9, s3
	v_mul_f32_e32 v8, 0x37800000, v7
	s_delay_alu instid0(VALU_DEP_1) | instskip(SKIP_1) | instid1(VALU_DEP_2)
	v_cndmask_b32_e32 v7, v7, v8, vcc_lo
	v_cmp_class_f32_e64 vcc_lo, v6, 0x260
	v_cndmask_b32_e32 v6, v7, v6, vcc_lo
	s_and_not1_b32 vcc_lo, exec_lo, s17
	ds_store_b32 v5, v6
	s_cbranch_vccnz .LBB167_9
; %bb.11:                               ;   in Loop: Header=BB167_10 Depth=1
	v_add_co_u32 v2, vcc_lo, s6, v2
	v_add_co_ci_u32_e32 v3, vcc_lo, s7, v3, vcc_lo
	global_load_u16 v2, v[2:3], off
	s_waitcnt vmcnt(0)
	v_cvt_f32_f16_e32 v2, v2
	s_delay_alu instid0(VALU_DEP_1)
	v_add_f32_e32 v2, v6, v2
	ds_store_b32 v5, v2
	s_branch .LBB167_9
.LBB167_12:
	s_or_b32 exec_lo, exec_lo, s16
	v_mov_b32_e32 v2, 0
	s_cmp_lt_i32 s13, 1
	s_waitcnt lgkmcnt(0)
	s_barrier
	buffer_gl0_inv
	s_cbranch_scc1 .LBB167_21
; %bb.13:
	s_add_u32 s4, s0, 56
	s_addc_u32 s5, s1, 0
	v_dual_mov_b32 v2, 0 :: v_dual_lshlrev_b32 v5, 1, v0
	v_dual_mov_b32 v6, 0 :: v_dual_mov_b32 v7, 0xff800000
	v_mov_b32_e32 v1, 0
	v_mov_b32_e32 v3, 0
	s_cmp_lg_u64 s[6:7], 0
	s_mov_b32 s18, 0
	s_cselect_b32 s12, -1, 0
	s_mov_b32 s19, 0x76543210
	s_branch .LBB167_15
.LBB167_14:                             ;   in Loop: Header=BB167_15 Depth=1
	v_cmp_eq_u32_e32 vcc_lo, s18, v0
	s_delay_alu instid0(VALU_DEP_2)
	s_lshl_b32 s3, s16, 2
	s_add_i32 s18, s18, 1
	s_add_i32 s3, s3, 0
	v_add_f32_e32 v3, v3, v10
	v_cndmask_b32_e64 v1, v1, s16, vcc_lo
	v_mov_b32_e32 v8, s3
	v_cndmask_b32_e32 v2, v2, v10, vcc_lo
	s_cmp_eq_u32 s18, s13
	ds_store_b32 v8, v7
	s_cbranch_scc1 .LBB167_22
.LBB167_15:                             ; =>This Loop Header: Depth=1
                                        ;     Child Loop BB167_17 Depth 2
	v_dual_mov_b32 v8, s18 :: v_dual_mov_b32 v9, 0xff800000
	s_and_saveexec_b32 s16, s2
	s_cbranch_execz .LBB167_19
; %bb.16:                               ;   in Loop: Header=BB167_15 Depth=1
	s_load_b32 s3, s[4:5], 0xc
	v_dual_mov_b32 v8, s18 :: v_dual_mov_b32 v9, 0xff800000
	v_dual_mov_b32 v10, v4 :: v_dual_mov_b32 v11, v5
	v_mov_b32_e32 v12, v0
	s_mov_b32 s21, 0
	s_waitcnt lgkmcnt(0)
	s_and_b32 s17, s3, 0xffff
	s_delay_alu instid0(SALU_CYCLE_1)
	s_lshl_b32 s20, s17, 1
	s_lshl_b32 s22, s17, 3
	.p2align	6
.LBB167_17:                             ;   Parent Loop BB167_15 Depth=1
                                        ; =>  This Inner Loop Header: Depth=2
	ds_load_b64 v[13:14], v10
	v_add_nc_u32_e32 v10, s22, v10
	v_add_nc_u32_e32 v12, s17, v12
	s_delay_alu instid0(VALU_DEP_1) | instskip(NEXT) | instid1(VALU_DEP_1)
	v_cmp_le_i32_e64 s3, s14, v12
	s_or_b32 s21, s3, s21
	s_waitcnt lgkmcnt(0)
	v_cmp_gt_f32_e32 vcc_lo, v13, v9
	v_cndmask_b32_e32 v9, v9, v13, vcc_lo
	v_add_nc_u32_e32 v13, 1, v11
	v_cndmask_b32_e32 v8, v8, v11, vcc_lo
	s_delay_alu instid0(VALU_DEP_3) | instskip(SKIP_1) | instid1(VALU_DEP_3)
	v_cmp_gt_f32_e32 vcc_lo, v14, v9
	v_cndmask_b32_e32 v9, v9, v14, vcc_lo
	v_dual_cndmask_b32 v8, v8, v13 :: v_dual_add_nc_u32 v11, s20, v11
	s_and_not1_b32 exec_lo, exec_lo, s21
	s_cbranch_execnz .LBB167_17
; %bb.18:                               ;   in Loop: Header=BB167_15 Depth=1
	s_or_b32 exec_lo, exec_lo, s21
.LBB167_19:                             ;   in Loop: Header=BB167_15 Depth=1
	s_delay_alu instid0(SALU_CYCLE_1)
	s_or_b32 exec_lo, exec_lo, s16
	;;#ASMSTART
	v_max_f32 v10, v9, v9 quad_perm:[1,0,3,2] row_mask:0xf bank_mask:0xf bound_ctrl:1
	;;#ASMEND
	;;#ASMSTART
	v_max_f32 v11, v10, v10 quad_perm:[2,3,0,1] row_mask:0xf bank_mask:0xf bound_ctrl:1
	;;#ASMEND
	;;#ASMSTART
	v_max_f32 v10, v11, v11 row_half_mirror row_mask:0xf bank_mask:0xf bound_ctrl:1
	;;#ASMEND
	;;#ASMSTART
	v_max_f32 v11, v10, v10 row_mirror row_mask:0xf bank_mask:0xf bound_ctrl:1
	;;#ASMEND
	v_permlanex16_b32 v10, v11, s19, 0xfedcba98 op_sel:[1,1]
	s_delay_alu instid0(VALU_DEP_1) | instskip(NEXT) | instid1(VALU_DEP_1)
	v_dual_max_f32 v11, v11, v11 :: v_dual_max_f32 v10, v10, v10
	v_max_f32_e32 v10, v11, v10
	s_delay_alu instid0(VALU_DEP_1)
	v_cmp_eq_f32_e32 vcc_lo, v9, v10
	s_ctz_i32_b32 s3, vcc_lo
	s_cmp_lg_u32 vcc_lo, 0
	s_cselect_b32 s3, s3, 0
	s_and_b32 vcc_lo, exec_lo, s12
	v_readlane_b32 s16, v8, s3
	s_cbranch_vccz .LBB167_14
; %bb.20:                               ;   in Loop: Header=BB167_15 Depth=1
	s_delay_alu instid0(VALU_DEP_1) | instskip(NEXT) | instid1(SALU_CYCLE_1)
	s_ashr_i32 s17, s16, 31
	s_lshl_b64 s[20:21], s[16:17], 1
	s_delay_alu instid0(SALU_CYCLE_1) | instskip(SKIP_4) | instid1(VALU_DEP_1)
	s_add_u32 s20, s6, s20
	s_addc_u32 s21, s7, s21
	global_load_u16 v8, v6, s[20:21]
	s_waitcnt vmcnt(0)
	v_cvt_f32_f16_e32 v8, v8
	v_sub_f32_e32 v10, v10, v8
	s_branch .LBB167_14
.LBB167_21:
	v_mov_b32_e32 v1, 0
	v_mov_b32_e32 v3, 0
.LBB167_22:
	s_mov_b32 s2, exec_lo
	v_cmpx_gt_i32_e64 s13, v0
	s_cbranch_execz .LBB167_25
; %bb.23:
	s_clause 0x1
	s_load_b32 s2, s[0:1], 0x34
	s_load_b32 s3, s[0:1], 0x44
	v_max_f32_e32 v3, v3, v3
	s_load_b64 s[0:1], s[0:1], 0x20
	s_ashr_i32 s4, s15, 31
	s_delay_alu instid0(VALU_DEP_1) | instskip(SKIP_1) | instid1(VALU_DEP_1)
	v_max_f32_e32 v3, 0x1e3ce508, v3
	s_waitcnt lgkmcnt(0)
	v_div_scale_f32 v4, null, v3, v3, s2
	v_div_scale_f32 v7, vcc_lo, s2, v3, s2
	s_mul_i32 s1, s15, s1
	s_delay_alu instid0(VALU_DEP_2) | instskip(SKIP_4) | instid1(VALU_DEP_1)
	v_rcp_f32_e32 v5, v4
	s_mul_i32 s4, s4, s0
	s_and_b32 s3, s3, 0xffff
	s_waitcnt_depctr 0xfff
	v_fma_f32 v6, -v4, v5, 1.0
	v_fmac_f32_e32 v5, v6, v5
	s_delay_alu instid0(VALU_DEP_1) | instskip(NEXT) | instid1(VALU_DEP_1)
	v_mul_f32_e32 v6, v7, v5
	v_fma_f32 v8, -v4, v6, v7
	s_delay_alu instid0(VALU_DEP_1) | instskip(NEXT) | instid1(VALU_DEP_1)
	v_fmac_f32_e32 v6, v8, v5
	v_fma_f32 v4, -v4, v6, v7
	s_delay_alu instid0(VALU_DEP_1) | instskip(NEXT) | instid1(VALU_DEP_1)
	v_div_fmas_f32 v4, v4, v5, v6
	v_div_fixup_f32 v3, v4, v3, s2
	s_mul_hi_u32 s2, s15, s0
	s_delay_alu instid0(SALU_CYCLE_1) | instskip(SKIP_1) | instid1(VALU_DEP_1)
	s_add_i32 s1, s2, s1
	s_mul_i32 s2, s15, s0
	v_mul_f32_e32 v2, v2, v3
	s_add_i32 s1, s1, s4
	s_mov_b32 s4, 0
	.p2align	6
.LBB167_24:                             ; =>This Inner Loop Header: Depth=1
	v_ashrrev_i32_e32 v4, 31, v0
	v_add_co_u32 v3, vcc_lo, s2, v0
	v_add_nc_u32_e32 v0, s3, v0
	s_delay_alu instid0(VALU_DEP_3) | instskip(NEXT) | instid1(VALU_DEP_2)
	v_add_co_ci_u32_e32 v4, vcc_lo, s1, v4, vcc_lo
	v_cmp_le_i32_e32 vcc_lo, s13, v0
	s_delay_alu instid0(VALU_DEP_2) | instskip(SKIP_1) | instid1(VALU_DEP_1)
	v_lshlrev_b64 v[3:4], 2, v[3:4]
	s_or_b32 s4, vcc_lo, s4
	v_add_co_u32 v5, s0, s8, v3
	s_delay_alu instid0(VALU_DEP_1) | instskip(SKIP_1) | instid1(VALU_DEP_1)
	v_add_co_ci_u32_e64 v6, s0, s9, v4, s0
	v_add_co_u32 v3, s0, s10, v3
	v_add_co_ci_u32_e64 v4, s0, s11, v4, s0
	global_store_b32 v[5:6], v2, off
	global_store_b32 v[3:4], v1, off
	s_and_not1_b32 exec_lo, exec_lo, s4
	s_cbranch_execnz .LBB167_24
.LBB167_25:
	s_nop 0
	s_sendmsg sendmsg(MSG_DEALLOC_VGPRS)
	s_endpgm
	.section	.rodata,"a",@progbits
	.p2align	6, 0x0
	.amdhsa_kernel _ZN5aiter20topk_softplus_kernelI6__halfS1_Dv2_fLb1ELi0EEEvPKT_PKT0_PfPimiiif
		.amdhsa_group_segment_fixed_size 0
		.amdhsa_private_segment_fixed_size 0
		.amdhsa_kernarg_size 312
		.amdhsa_user_sgpr_count 15
		.amdhsa_user_sgpr_dispatch_ptr 0
		.amdhsa_user_sgpr_queue_ptr 0
		.amdhsa_user_sgpr_kernarg_segment_ptr 1
		.amdhsa_user_sgpr_dispatch_id 0
		.amdhsa_user_sgpr_private_segment_size 0
		.amdhsa_wavefront_size32 1
		.amdhsa_uses_dynamic_stack 0
		.amdhsa_enable_private_segment 0
		.amdhsa_system_sgpr_workgroup_id_x 1
		.amdhsa_system_sgpr_workgroup_id_y 0
		.amdhsa_system_sgpr_workgroup_id_z 0
		.amdhsa_system_sgpr_workgroup_info 0
		.amdhsa_system_vgpr_workitem_id 0
		.amdhsa_next_free_vgpr 15
		.amdhsa_next_free_sgpr 23
		.amdhsa_reserve_vcc 1
		.amdhsa_float_round_mode_32 0
		.amdhsa_float_round_mode_16_64 0
		.amdhsa_float_denorm_mode_32 3
		.amdhsa_float_denorm_mode_16_64 3
		.amdhsa_dx10_clamp 1
		.amdhsa_ieee_mode 1
		.amdhsa_fp16_overflow 0
		.amdhsa_workgroup_processor_mode 1
		.amdhsa_memory_ordered 1
		.amdhsa_forward_progress 0
		.amdhsa_shared_vgpr_count 0
		.amdhsa_exception_fp_ieee_invalid_op 0
		.amdhsa_exception_fp_denorm_src 0
		.amdhsa_exception_fp_ieee_div_zero 0
		.amdhsa_exception_fp_ieee_overflow 0
		.amdhsa_exception_fp_ieee_underflow 0
		.amdhsa_exception_fp_ieee_inexact 0
		.amdhsa_exception_int_div_zero 0
	.end_amdhsa_kernel
	.section	.text._ZN5aiter20topk_softplus_kernelI6__halfS1_Dv2_fLb1ELi0EEEvPKT_PKT0_PfPimiiif,"axG",@progbits,_ZN5aiter20topk_softplus_kernelI6__halfS1_Dv2_fLb1ELi0EEEvPKT_PKT0_PfPimiiif,comdat
.Lfunc_end167:
	.size	_ZN5aiter20topk_softplus_kernelI6__halfS1_Dv2_fLb1ELi0EEEvPKT_PKT0_PfPimiiif, .Lfunc_end167-_ZN5aiter20topk_softplus_kernelI6__halfS1_Dv2_fLb1ELi0EEEvPKT_PKT0_PfPimiiif
                                        ; -- End function
	.section	.AMDGPU.csdata,"",@progbits
; Kernel info:
; codeLenInByte = 2280
; NumSgprs: 25
; NumVgprs: 15
; ScratchSize: 0
; MemoryBound: 0
; FloatMode: 240
; IeeeMode: 1
; LDSByteSize: 0 bytes/workgroup (compile time only)
; SGPRBlocks: 3
; VGPRBlocks: 1
; NumSGPRsForWavesPerEU: 25
; NumVGPRsForWavesPerEU: 15
; Occupancy: 16
; WaveLimiterHint : 0
; COMPUTE_PGM_RSRC2:SCRATCH_EN: 0
; COMPUTE_PGM_RSRC2:USER_SGPR: 15
; COMPUTE_PGM_RSRC2:TRAP_HANDLER: 0
; COMPUTE_PGM_RSRC2:TGID_X_EN: 1
; COMPUTE_PGM_RSRC2:TGID_Y_EN: 0
; COMPUTE_PGM_RSRC2:TGID_Z_EN: 0
; COMPUTE_PGM_RSRC2:TIDIG_COMP_CNT: 0
	.section	.text._ZN5aiter20topk_softplus_kernelI6__halfS1_Dv2_fLb0ELi0EEEvPKT_PKT0_PfPimiiif,"axG",@progbits,_ZN5aiter20topk_softplus_kernelI6__halfS1_Dv2_fLb0ELi0EEEvPKT_PKT0_PfPimiiif,comdat
	.protected	_ZN5aiter20topk_softplus_kernelI6__halfS1_Dv2_fLb0ELi0EEEvPKT_PKT0_PfPimiiif ; -- Begin function _ZN5aiter20topk_softplus_kernelI6__halfS1_Dv2_fLb0ELi0EEEvPKT_PKT0_PfPimiiif
	.globl	_ZN5aiter20topk_softplus_kernelI6__halfS1_Dv2_fLb0ELi0EEEvPKT_PKT0_PfPimiiif
	.p2align	8
	.type	_ZN5aiter20topk_softplus_kernelI6__halfS1_Dv2_fLb0ELi0EEEvPKT_PKT0_PfPimiiif,@function
_ZN5aiter20topk_softplus_kernelI6__halfS1_Dv2_fLb0ELi0EEEvPKT_PKT0_PfPimiiif: ; @_ZN5aiter20topk_softplus_kernelI6__halfS1_Dv2_fLb0ELi0EEEvPKT_PKT0_PfPimiiif
; %bb.0:
	s_clause 0x1
	s_load_b64 s[12:13], s[0:1], 0x28
	s_load_b256 s[4:11], s[0:1], 0x0
	v_lshl_add_u32 v4, v0, 3, 0
	s_waitcnt lgkmcnt(0)
	s_lshr_b32 s3, s12, 31
	s_mul_i32 s2, s15, s12
	s_add_i32 s14, s12, s3
	s_ashr_i32 s3, s2, 31
	s_ashr_i32 s14, s14, 1
	s_lshl_b64 s[16:17], s[2:3], 1
	v_cmp_gt_i32_e64 s2, s14, v0
	s_add_u32 s4, s4, s16
	s_addc_u32 s5, s5, s17
	s_delay_alu instid0(VALU_DEP_1)
	s_and_saveexec_b32 s16, s2
	s_cbranch_execz .LBB168_7
; %bb.1:
	s_load_b32 s3, s[0:1], 0x44
	s_cmp_lg_u64 s[6:7], 0
	v_lshlrev_b32_e32 v3, 2, v0
	v_mov_b32_e32 v5, 0
	v_lshl_add_u32 v6, v0, 3, 0
	v_mov_b32_e32 v7, v0
	s_cselect_b32 s18, -1, 0
	s_mov_b32 s17, 0
	s_mov_b32 s22, 0x3fb8aa3b
	s_waitcnt lgkmcnt(0)
	s_and_b32 s19, s3, 0xffff
	s_delay_alu instid0(SALU_CYCLE_1)
	s_lshl_b32 s20, s19, 2
	s_lshl_b32 s21, s19, 3
	s_branch .LBB168_3
.LBB168_2:                              ;   in Loop: Header=BB168_3 Depth=1
	v_add_nc_u32_e32 v7, s19, v7
	v_add_co_u32 v3, s3, v3, s20
	ds_store_b64 v6, v[1:2]
	v_add_co_ci_u32_e64 v5, s3, 0, v5, s3
	v_cmp_le_i32_e32 vcc_lo, s14, v7
	v_add_nc_u32_e32 v6, s21, v6
	s_or_b32 s17, vcc_lo, s17
	s_delay_alu instid0(SALU_CYCLE_1)
	s_and_not1_b32 exec_lo, exec_lo, s17
	s_cbranch_execz .LBB168_7
.LBB168_3:                              ; =>This Inner Loop Header: Depth=1
	v_add_co_u32 v1, vcc_lo, s4, v3
	v_add_co_ci_u32_e32 v2, vcc_lo, s5, v5, vcc_lo
	global_load_b32 v2, v[1:2], off
	s_waitcnt vmcnt(0)
	v_cvt_f32_f16_e32 v1, v2
	s_delay_alu instid0(VALU_DEP_1) | instskip(NEXT) | instid1(VALU_DEP_1)
	v_mul_f32_e32 v8, 0x3fb8aa3b, v1
	v_cmp_gt_f32_e32 vcc_lo, 0xc2fc0000, v8
	v_cndmask_b32_e64 v8, 0, 0x42800000, vcc_lo
	v_cndmask_b32_e64 v9, 1.0, 0x1f800000, vcc_lo
	s_delay_alu instid0(VALU_DEP_2) | instskip(NEXT) | instid1(VALU_DEP_1)
	v_fma_mix_f32 v8, v2, s22, v8 op_sel_hi:[1,0,0]
	v_exp_f32_e32 v8, v8
	s_waitcnt_depctr 0xfff
	v_fma_f32 v8, v8, v9, 1.0
	s_delay_alu instid0(VALU_DEP_1) | instskip(SKIP_1) | instid1(VALU_DEP_1)
	v_cmp_gt_f32_e32 vcc_lo, 0x800000, v8
	v_cndmask_b32_e64 v9, 1.0, 0x4f800000, vcc_lo
	v_mul_f32_e32 v8, v8, v9
	v_cndmask_b32_e64 v9, 0, 0x42000000, vcc_lo
	v_cmp_lt_f16_e32 vcc_lo, 0x4d00, v2
	s_delay_alu instid0(VALU_DEP_3) | instskip(SKIP_2) | instid1(VALU_DEP_1)
	v_log_f32_e32 v8, v8
	s_waitcnt_depctr 0xfff
	v_sub_f32_e32 v8, v8, v9
	v_mul_f32_e32 v8, 0x3f317218, v8
	s_delay_alu instid0(VALU_DEP_1) | instskip(NEXT) | instid1(VALU_DEP_1)
	v_cndmask_b32_e32 v1, v8, v1, vcc_lo
	v_mul_f32_e32 v8, 0x4f800000, v1
	v_cmp_gt_f32_e32 vcc_lo, 0xf800000, v1
	s_delay_alu instid0(VALU_DEP_2) | instskip(NEXT) | instid1(VALU_DEP_1)
	v_cndmask_b32_e32 v1, v1, v8, vcc_lo
	v_sqrt_f32_e32 v8, v1
	s_waitcnt_depctr 0xfff
	v_add_nc_u32_e32 v9, -1, v8
	v_add_nc_u32_e32 v10, 1, v8
	s_delay_alu instid0(VALU_DEP_2) | instskip(NEXT) | instid1(VALU_DEP_2)
	v_fma_f32 v11, -v9, v8, v1
	v_fma_f32 v12, -v10, v8, v1
	s_delay_alu instid0(VALU_DEP_2) | instskip(NEXT) | instid1(VALU_DEP_1)
	v_cmp_ge_f32_e64 s3, 0, v11
	v_cndmask_b32_e64 v8, v8, v9, s3
	s_delay_alu instid0(VALU_DEP_3) | instskip(NEXT) | instid1(VALU_DEP_1)
	v_cmp_lt_f32_e64 s3, 0, v12
	v_cndmask_b32_e64 v8, v8, v10, s3
	s_delay_alu instid0(VALU_DEP_1) | instskip(NEXT) | instid1(VALU_DEP_1)
	v_mul_f32_e32 v9, 0x37800000, v8
	v_cndmask_b32_e32 v8, v8, v9, vcc_lo
	v_cmp_class_f32_e64 vcc_lo, v1, 0x260
	s_delay_alu instid0(VALU_DEP_2)
	v_cndmask_b32_e32 v1, v8, v1, vcc_lo
	s_and_not1_b32 vcc_lo, exec_lo, s18
	s_cbranch_vccnz .LBB168_5
; %bb.4:                                ;   in Loop: Header=BB168_3 Depth=1
	v_add_co_u32 v8, vcc_lo, s6, v3
	v_add_co_ci_u32_e32 v9, vcc_lo, s7, v5, vcc_lo
	global_load_u16 v8, v[8:9], off
	s_waitcnt vmcnt(0)
	v_cvt_f32_f16_e32 v8, v8
	s_delay_alu instid0(VALU_DEP_1)
	v_add_f32_e32 v1, v1, v8
.LBB168_5:                              ;   in Loop: Header=BB168_3 Depth=1
	v_lshrrev_b32_e32 v8, 16, v2
	s_delay_alu instid0(VALU_DEP_1) | instskip(NEXT) | instid1(VALU_DEP_1)
	v_cvt_f32_f16_e32 v9, v8
	v_mul_f32_e32 v10, 0x3fb8aa3b, v9
	s_delay_alu instid0(VALU_DEP_1) | instskip(SKIP_2) | instid1(VALU_DEP_2)
	v_cmp_gt_f32_e32 vcc_lo, 0xc2fc0000, v10
	v_cndmask_b32_e64 v11, 0, 0x42800000, vcc_lo
	v_cndmask_b32_e64 v10, 1.0, 0x1f800000, vcc_lo
	v_fma_mix_f32 v2, v2, s22, v11 op_sel:[1,0,0] op_sel_hi:[1,0,0]
	s_delay_alu instid0(VALU_DEP_1) | instskip(SKIP_2) | instid1(VALU_DEP_1)
	v_exp_f32_e32 v2, v2
	s_waitcnt_depctr 0xfff
	v_fma_f32 v2, v2, v10, 1.0
	v_cmp_gt_f32_e32 vcc_lo, 0x800000, v2
	v_cndmask_b32_e64 v10, 1.0, 0x4f800000, vcc_lo
	s_delay_alu instid0(VALU_DEP_1) | instskip(SKIP_2) | instid1(VALU_DEP_3)
	v_mul_f32_e32 v2, v2, v10
	v_cndmask_b32_e64 v10, 0, 0x42000000, vcc_lo
	v_cmp_lt_f16_e32 vcc_lo, 0x4d00, v8
	v_log_f32_e32 v2, v2
	s_waitcnt_depctr 0xfff
	v_sub_f32_e32 v2, v2, v10
	s_delay_alu instid0(VALU_DEP_1) | instskip(NEXT) | instid1(VALU_DEP_1)
	v_mul_f32_e32 v2, 0x3f317218, v2
	v_cndmask_b32_e32 v2, v2, v9, vcc_lo
	s_delay_alu instid0(VALU_DEP_1) | instskip(SKIP_1) | instid1(VALU_DEP_2)
	v_mul_f32_e32 v8, 0x4f800000, v2
	v_cmp_gt_f32_e32 vcc_lo, 0xf800000, v2
	v_cndmask_b32_e32 v2, v2, v8, vcc_lo
	s_delay_alu instid0(VALU_DEP_1) | instskip(SKIP_3) | instid1(VALU_DEP_2)
	v_sqrt_f32_e32 v8, v2
	s_waitcnt_depctr 0xfff
	v_add_nc_u32_e32 v9, -1, v8
	v_add_nc_u32_e32 v10, 1, v8
	v_fma_f32 v11, -v9, v8, v2
	s_delay_alu instid0(VALU_DEP_2) | instskip(NEXT) | instid1(VALU_DEP_2)
	v_fma_f32 v12, -v10, v8, v2
	v_cmp_ge_f32_e64 s3, 0, v11
	s_delay_alu instid0(VALU_DEP_1) | instskip(NEXT) | instid1(VALU_DEP_3)
	v_cndmask_b32_e64 v8, v8, v9, s3
	v_cmp_lt_f32_e64 s3, 0, v12
	s_delay_alu instid0(VALU_DEP_1) | instskip(NEXT) | instid1(VALU_DEP_1)
	v_cndmask_b32_e64 v8, v8, v10, s3
	v_mul_f32_e32 v9, 0x37800000, v8
	s_delay_alu instid0(VALU_DEP_1) | instskip(SKIP_1) | instid1(VALU_DEP_2)
	v_cndmask_b32_e32 v8, v8, v9, vcc_lo
	v_cmp_class_f32_e64 vcc_lo, v2, 0x260
	v_cndmask_b32_e32 v2, v8, v2, vcc_lo
	s_and_not1_b32 vcc_lo, exec_lo, s18
	s_cbranch_vccnz .LBB168_2
; %bb.6:                                ;   in Loop: Header=BB168_3 Depth=1
	v_add_co_u32 v8, vcc_lo, s6, v3
	v_add_co_ci_u32_e32 v9, vcc_lo, s7, v5, vcc_lo
	global_load_u16 v8, v[8:9], off offset:2
	s_waitcnt vmcnt(0)
	v_cvt_f32_f16_e32 v8, v8
	s_delay_alu instid0(VALU_DEP_1)
	v_add_f32_e32 v2, v2, v8
	s_branch .LBB168_2
.LBB168_7:
	s_or_b32 exec_lo, exec_lo, s16
	v_lshl_add_u32 v1, s14, 1, v0
	s_mov_b32 s16, exec_lo
	s_delay_alu instid0(VALU_DEP_1)
	v_cmpx_gt_i32_e64 s12, v1
	s_cbranch_execz .LBB168_12
; %bb.8:
	s_load_b32 s3, s[0:1], 0x44
	v_lshlrev_b32_e32 v2, 2, v0
	s_cmp_lg_u64 s[6:7], 0
	s_mov_b32 s19, 0
	s_cselect_b32 s17, -1, 0
	s_lshl_b32 s18, s14, 3
	s_mov_b32 s21, 0x3fb8aa3b
	v_add3_u32 v5, 0, s18, v2
	s_waitcnt lgkmcnt(0)
	s_and_b32 s18, s3, 0xffff
	s_delay_alu instid0(SALU_CYCLE_1)
	s_lshl_b32 s20, s18, 2
	s_branch .LBB168_10
.LBB168_9:                              ;   in Loop: Header=BB168_10 Depth=1
	v_add_nc_u32_e32 v1, s18, v1
	v_add_nc_u32_e32 v5, s20, v5
	s_delay_alu instid0(VALU_DEP_2) | instskip(SKIP_1) | instid1(SALU_CYCLE_1)
	v_cmp_le_i32_e32 vcc_lo, s12, v1
	s_or_b32 s19, vcc_lo, s19
	s_and_not1_b32 exec_lo, exec_lo, s19
	s_cbranch_execz .LBB168_12
.LBB168_10:                             ; =>This Inner Loop Header: Depth=1
	v_ashrrev_i32_e32 v2, 31, v1
	s_delay_alu instid0(VALU_DEP_1) | instskip(NEXT) | instid1(VALU_DEP_1)
	v_lshlrev_b64 v[2:3], 1, v[1:2]
	v_add_co_u32 v6, vcc_lo, s4, v2
	s_delay_alu instid0(VALU_DEP_2) | instskip(SKIP_3) | instid1(VALU_DEP_1)
	v_add_co_ci_u32_e32 v7, vcc_lo, s5, v3, vcc_lo
	global_load_u16 v6, v[6:7], off
	s_waitcnt vmcnt(0)
	v_cvt_f32_f16_e32 v7, v6
	v_mul_f32_e32 v8, 0x3fb8aa3b, v7
	s_delay_alu instid0(VALU_DEP_1) | instskip(SKIP_2) | instid1(VALU_DEP_2)
	v_cmp_gt_f32_e32 vcc_lo, 0xc2fc0000, v8
	v_cndmask_b32_e64 v8, 0, 0x42800000, vcc_lo
	v_cndmask_b32_e64 v9, 1.0, 0x1f800000, vcc_lo
	v_fma_mix_f32 v8, v6, s21, v8 op_sel_hi:[1,0,0]
	s_delay_alu instid0(VALU_DEP_1) | instskip(SKIP_2) | instid1(VALU_DEP_1)
	v_exp_f32_e32 v8, v8
	s_waitcnt_depctr 0xfff
	v_fma_f32 v8, v8, v9, 1.0
	v_cmp_gt_f32_e32 vcc_lo, 0x800000, v8
	v_cndmask_b32_e64 v9, 1.0, 0x4f800000, vcc_lo
	s_delay_alu instid0(VALU_DEP_1) | instskip(SKIP_2) | instid1(VALU_DEP_3)
	v_mul_f32_e32 v8, v8, v9
	v_cndmask_b32_e64 v9, 0, 0x42000000, vcc_lo
	v_cmp_lt_f16_e32 vcc_lo, 0x4d00, v6
	v_log_f32_e32 v8, v8
	s_waitcnt_depctr 0xfff
	v_sub_f32_e32 v8, v8, v9
	s_delay_alu instid0(VALU_DEP_1) | instskip(NEXT) | instid1(VALU_DEP_1)
	v_mul_f32_e32 v8, 0x3f317218, v8
	v_cndmask_b32_e32 v6, v8, v7, vcc_lo
	s_delay_alu instid0(VALU_DEP_1) | instskip(SKIP_1) | instid1(VALU_DEP_2)
	v_mul_f32_e32 v7, 0x4f800000, v6
	v_cmp_gt_f32_e32 vcc_lo, 0xf800000, v6
	v_cndmask_b32_e32 v6, v6, v7, vcc_lo
	s_delay_alu instid0(VALU_DEP_1) | instskip(SKIP_3) | instid1(VALU_DEP_2)
	v_sqrt_f32_e32 v7, v6
	s_waitcnt_depctr 0xfff
	v_add_nc_u32_e32 v8, -1, v7
	v_add_nc_u32_e32 v9, 1, v7
	v_fma_f32 v10, -v8, v7, v6
	s_delay_alu instid0(VALU_DEP_2) | instskip(NEXT) | instid1(VALU_DEP_2)
	v_fma_f32 v11, -v9, v7, v6
	v_cmp_ge_f32_e64 s3, 0, v10
	s_delay_alu instid0(VALU_DEP_1) | instskip(NEXT) | instid1(VALU_DEP_3)
	v_cndmask_b32_e64 v7, v7, v8, s3
	v_cmp_lt_f32_e64 s3, 0, v11
	s_delay_alu instid0(VALU_DEP_1) | instskip(NEXT) | instid1(VALU_DEP_1)
	v_cndmask_b32_e64 v7, v7, v9, s3
	v_mul_f32_e32 v8, 0x37800000, v7
	s_delay_alu instid0(VALU_DEP_1) | instskip(SKIP_1) | instid1(VALU_DEP_2)
	v_cndmask_b32_e32 v7, v7, v8, vcc_lo
	v_cmp_class_f32_e64 vcc_lo, v6, 0x260
	v_cndmask_b32_e32 v6, v7, v6, vcc_lo
	s_and_not1_b32 vcc_lo, exec_lo, s17
	ds_store_b32 v5, v6
	s_cbranch_vccnz .LBB168_9
; %bb.11:                               ;   in Loop: Header=BB168_10 Depth=1
	v_add_co_u32 v2, vcc_lo, s6, v2
	v_add_co_ci_u32_e32 v3, vcc_lo, s7, v3, vcc_lo
	global_load_u16 v2, v[2:3], off
	s_waitcnt vmcnt(0)
	v_cvt_f32_f16_e32 v2, v2
	s_delay_alu instid0(VALU_DEP_1)
	v_add_f32_e32 v2, v6, v2
	ds_store_b32 v5, v2
	s_branch .LBB168_9
.LBB168_12:
	s_or_b32 exec_lo, exec_lo, s16
	s_cmp_lt_i32 s13, 1
	s_waitcnt lgkmcnt(0)
	s_barrier
	buffer_gl0_inv
	s_cbranch_scc1 .LBB168_21
; %bb.13:
	s_add_u32 s4, s0, 56
	s_addc_u32 s5, s1, 0
	v_dual_mov_b32 v6, 0xff800000 :: v_dual_lshlrev_b32 v3, 1, v0
	v_dual_mov_b32 v5, 0 :: v_dual_mov_b32 v2, 0
	v_mov_b32_e32 v1, 0
	s_cmp_lg_u64 s[6:7], 0
	s_mov_b32 s18, 0
	s_cselect_b32 s12, -1, 0
	s_mov_b32 s19, 0x76543210
	s_branch .LBB168_15
.LBB168_14:                             ;   in Loop: Header=BB168_15 Depth=1
	v_cmp_eq_u32_e32 vcc_lo, s18, v0
	s_delay_alu instid0(VALU_DEP_2)
	s_lshl_b32 s3, s16, 2
	s_add_i32 s18, s18, 1
	s_add_i32 s3, s3, 0
	s_cmp_eq_u32 s18, s13
	v_cndmask_b32_e64 v1, v1, s16, vcc_lo
	v_dual_mov_b32 v7, s3 :: v_dual_cndmask_b32 v2, v2, v9
	ds_store_b32 v7, v6
	s_cbranch_scc1 .LBB168_22
.LBB168_15:                             ; =>This Loop Header: Depth=1
                                        ;     Child Loop BB168_17 Depth 2
	v_dual_mov_b32 v7, s18 :: v_dual_mov_b32 v8, 0xff800000
	s_and_saveexec_b32 s16, s2
	s_cbranch_execz .LBB168_19
; %bb.16:                               ;   in Loop: Header=BB168_15 Depth=1
	s_load_b32 s3, s[4:5], 0xc
	v_dual_mov_b32 v7, s18 :: v_dual_mov_b32 v8, 0xff800000
	v_dual_mov_b32 v9, v4 :: v_dual_mov_b32 v10, v3
	v_mov_b32_e32 v11, v0
	s_mov_b32 s21, 0
	s_waitcnt lgkmcnt(0)
	s_and_b32 s17, s3, 0xffff
	s_delay_alu instid0(SALU_CYCLE_1)
	s_lshl_b32 s20, s17, 1
	s_lshl_b32 s22, s17, 3
	.p2align	6
.LBB168_17:                             ;   Parent Loop BB168_15 Depth=1
                                        ; =>  This Inner Loop Header: Depth=2
	ds_load_b64 v[12:13], v9
	v_add_nc_u32_e32 v9, s22, v9
	v_add_nc_u32_e32 v11, s17, v11
	s_delay_alu instid0(VALU_DEP_1) | instskip(NEXT) | instid1(VALU_DEP_1)
	v_cmp_le_i32_e64 s3, s14, v11
	s_or_b32 s21, s3, s21
	s_waitcnt lgkmcnt(0)
	v_cmp_gt_f32_e32 vcc_lo, v12, v8
	v_cndmask_b32_e32 v8, v8, v12, vcc_lo
	v_add_nc_u32_e32 v12, 1, v10
	v_cndmask_b32_e32 v7, v7, v10, vcc_lo
	s_delay_alu instid0(VALU_DEP_3) | instskip(SKIP_1) | instid1(VALU_DEP_3)
	v_cmp_gt_f32_e32 vcc_lo, v13, v8
	v_cndmask_b32_e32 v8, v8, v13, vcc_lo
	v_dual_cndmask_b32 v7, v7, v12 :: v_dual_add_nc_u32 v10, s20, v10
	s_and_not1_b32 exec_lo, exec_lo, s21
	s_cbranch_execnz .LBB168_17
; %bb.18:                               ;   in Loop: Header=BB168_15 Depth=1
	s_or_b32 exec_lo, exec_lo, s21
.LBB168_19:                             ;   in Loop: Header=BB168_15 Depth=1
	s_delay_alu instid0(SALU_CYCLE_1)
	s_or_b32 exec_lo, exec_lo, s16
	;;#ASMSTART
	v_max_f32 v9, v8, v8 quad_perm:[1,0,3,2] row_mask:0xf bank_mask:0xf bound_ctrl:1
	;;#ASMEND
	;;#ASMSTART
	v_max_f32 v10, v9, v9 quad_perm:[2,3,0,1] row_mask:0xf bank_mask:0xf bound_ctrl:1
	;;#ASMEND
	;;#ASMSTART
	v_max_f32 v9, v10, v10 row_half_mirror row_mask:0xf bank_mask:0xf bound_ctrl:1
	;;#ASMEND
	;;#ASMSTART
	v_max_f32 v10, v9, v9 row_mirror row_mask:0xf bank_mask:0xf bound_ctrl:1
	;;#ASMEND
	v_permlanex16_b32 v9, v10, s19, 0xfedcba98 op_sel:[1,1]
	s_delay_alu instid0(VALU_DEP_1) | instskip(NEXT) | instid1(VALU_DEP_1)
	v_dual_max_f32 v10, v10, v10 :: v_dual_max_f32 v9, v9, v9
	v_max_f32_e32 v9, v10, v9
	s_delay_alu instid0(VALU_DEP_1)
	v_cmp_eq_f32_e32 vcc_lo, v8, v9
	s_ctz_i32_b32 s3, vcc_lo
	s_cmp_lg_u32 vcc_lo, 0
	s_cselect_b32 s3, s3, 0
	s_and_b32 vcc_lo, exec_lo, s12
	v_readlane_b32 s16, v7, s3
	s_cbranch_vccz .LBB168_14
; %bb.20:                               ;   in Loop: Header=BB168_15 Depth=1
	s_delay_alu instid0(VALU_DEP_1) | instskip(NEXT) | instid1(SALU_CYCLE_1)
	s_ashr_i32 s17, s16, 31
	s_lshl_b64 s[20:21], s[16:17], 1
	s_delay_alu instid0(SALU_CYCLE_1) | instskip(SKIP_4) | instid1(VALU_DEP_1)
	s_add_u32 s20, s6, s20
	s_addc_u32 s21, s7, s21
	global_load_u16 v7, v5, s[20:21]
	s_waitcnt vmcnt(0)
	v_cvt_f32_f16_e32 v7, v7
	v_sub_f32_e32 v9, v9, v7
	s_branch .LBB168_14
.LBB168_21:
	v_dual_mov_b32 v2, 0 :: v_dual_mov_b32 v1, 0
.LBB168_22:
	s_mov_b32 s2, exec_lo
	v_cmpx_gt_i32_e64 s13, v0
	s_cbranch_execz .LBB168_25
; %bb.23:
	s_clause 0x2
	s_load_b32 s4, s[0:1], 0x34
	s_load_b64 s[2:3], s[0:1], 0x20
	s_load_b32 s0, s[0:1], 0x44
	s_ashr_i32 s1, s15, 31
	s_waitcnt lgkmcnt(0)
	v_mul_f32_e32 v2, s4, v2
	s_mul_i32 s3, s15, s3
	s_mul_hi_u32 s4, s15, s2
	s_mul_i32 s5, s1, s2
	s_add_i32 s3, s4, s3
	s_mul_i32 s1, s15, s2
	s_and_b32 s2, s0, 0xffff
	s_add_i32 s3, s3, s5
	s_mov_b32 s4, 0
	.p2align	6
.LBB168_24:                             ; =>This Inner Loop Header: Depth=1
	v_ashrrev_i32_e32 v4, 31, v0
	v_add_co_u32 v3, vcc_lo, s1, v0
	v_add_nc_u32_e32 v0, s2, v0
	s_delay_alu instid0(VALU_DEP_3) | instskip(NEXT) | instid1(VALU_DEP_2)
	v_add_co_ci_u32_e32 v4, vcc_lo, s3, v4, vcc_lo
	v_cmp_le_i32_e32 vcc_lo, s13, v0
	s_delay_alu instid0(VALU_DEP_2) | instskip(SKIP_1) | instid1(VALU_DEP_1)
	v_lshlrev_b64 v[3:4], 2, v[3:4]
	s_or_b32 s4, vcc_lo, s4
	v_add_co_u32 v5, s0, s8, v3
	s_delay_alu instid0(VALU_DEP_1) | instskip(SKIP_1) | instid1(VALU_DEP_1)
	v_add_co_ci_u32_e64 v6, s0, s9, v4, s0
	v_add_co_u32 v3, s0, s10, v3
	v_add_co_ci_u32_e64 v4, s0, s11, v4, s0
	global_store_b32 v[5:6], v2, off
	global_store_b32 v[3:4], v1, off
	s_and_not1_b32 exec_lo, exec_lo, s4
	s_cbranch_execnz .LBB168_24
.LBB168_25:
	s_nop 0
	s_sendmsg sendmsg(MSG_DEALLOC_VGPRS)
	s_endpgm
	.section	.rodata,"a",@progbits
	.p2align	6, 0x0
	.amdhsa_kernel _ZN5aiter20topk_softplus_kernelI6__halfS1_Dv2_fLb0ELi0EEEvPKT_PKT0_PfPimiiif
		.amdhsa_group_segment_fixed_size 0
		.amdhsa_private_segment_fixed_size 0
		.amdhsa_kernarg_size 312
		.amdhsa_user_sgpr_count 15
		.amdhsa_user_sgpr_dispatch_ptr 0
		.amdhsa_user_sgpr_queue_ptr 0
		.amdhsa_user_sgpr_kernarg_segment_ptr 1
		.amdhsa_user_sgpr_dispatch_id 0
		.amdhsa_user_sgpr_private_segment_size 0
		.amdhsa_wavefront_size32 1
		.amdhsa_uses_dynamic_stack 0
		.amdhsa_enable_private_segment 0
		.amdhsa_system_sgpr_workgroup_id_x 1
		.amdhsa_system_sgpr_workgroup_id_y 0
		.amdhsa_system_sgpr_workgroup_id_z 0
		.amdhsa_system_sgpr_workgroup_info 0
		.amdhsa_system_vgpr_workitem_id 0
		.amdhsa_next_free_vgpr 14
		.amdhsa_next_free_sgpr 23
		.amdhsa_reserve_vcc 1
		.amdhsa_float_round_mode_32 0
		.amdhsa_float_round_mode_16_64 0
		.amdhsa_float_denorm_mode_32 3
		.amdhsa_float_denorm_mode_16_64 3
		.amdhsa_dx10_clamp 1
		.amdhsa_ieee_mode 1
		.amdhsa_fp16_overflow 0
		.amdhsa_workgroup_processor_mode 1
		.amdhsa_memory_ordered 1
		.amdhsa_forward_progress 0
		.amdhsa_shared_vgpr_count 0
		.amdhsa_exception_fp_ieee_invalid_op 0
		.amdhsa_exception_fp_denorm_src 0
		.amdhsa_exception_fp_ieee_div_zero 0
		.amdhsa_exception_fp_ieee_overflow 0
		.amdhsa_exception_fp_ieee_underflow 0
		.amdhsa_exception_fp_ieee_inexact 0
		.amdhsa_exception_int_div_zero 0
	.end_amdhsa_kernel
	.section	.text._ZN5aiter20topk_softplus_kernelI6__halfS1_Dv2_fLb0ELi0EEEvPKT_PKT0_PfPimiiif,"axG",@progbits,_ZN5aiter20topk_softplus_kernelI6__halfS1_Dv2_fLb0ELi0EEEvPKT_PKT0_PfPimiiif,comdat
.Lfunc_end168:
	.size	_ZN5aiter20topk_softplus_kernelI6__halfS1_Dv2_fLb0ELi0EEEvPKT_PKT0_PfPimiiif, .Lfunc_end168-_ZN5aiter20topk_softplus_kernelI6__halfS1_Dv2_fLb0ELi0EEEvPKT_PKT0_PfPimiiif
                                        ; -- End function
	.section	.AMDGPU.csdata,"",@progbits
; Kernel info:
; codeLenInByte = 2156
; NumSgprs: 25
; NumVgprs: 14
; ScratchSize: 0
; MemoryBound: 0
; FloatMode: 240
; IeeeMode: 1
; LDSByteSize: 0 bytes/workgroup (compile time only)
; SGPRBlocks: 3
; VGPRBlocks: 1
; NumSGPRsForWavesPerEU: 25
; NumVGPRsForWavesPerEU: 14
; Occupancy: 16
; WaveLimiterHint : 0
; COMPUTE_PGM_RSRC2:SCRATCH_EN: 0
; COMPUTE_PGM_RSRC2:USER_SGPR: 15
; COMPUTE_PGM_RSRC2:TRAP_HANDLER: 0
; COMPUTE_PGM_RSRC2:TGID_X_EN: 1
; COMPUTE_PGM_RSRC2:TGID_Y_EN: 0
; COMPUTE_PGM_RSRC2:TGID_Z_EN: 0
; COMPUTE_PGM_RSRC2:TIDIG_COMP_CNT: 0
	.section	.text._ZN5aiter20topk_softplus_kernelI6__halfS1_Dv1_fLb1ELi0EEEvPKT_PKT0_PfPimiiif,"axG",@progbits,_ZN5aiter20topk_softplus_kernelI6__halfS1_Dv1_fLb1ELi0EEEvPKT_PKT0_PfPimiiif,comdat
	.protected	_ZN5aiter20topk_softplus_kernelI6__halfS1_Dv1_fLb1ELi0EEEvPKT_PKT0_PfPimiiif ; -- Begin function _ZN5aiter20topk_softplus_kernelI6__halfS1_Dv1_fLb1ELi0EEEvPKT_PKT0_PfPimiiif
	.globl	_ZN5aiter20topk_softplus_kernelI6__halfS1_Dv1_fLb1ELi0EEEvPKT_PKT0_PfPimiiif
	.p2align	8
	.type	_ZN5aiter20topk_softplus_kernelI6__halfS1_Dv1_fLb1ELi0EEEvPKT_PKT0_PfPimiiif,@function
_ZN5aiter20topk_softplus_kernelI6__halfS1_Dv1_fLb1ELi0EEEvPKT_PKT0_PfPimiiif: ; @_ZN5aiter20topk_softplus_kernelI6__halfS1_Dv1_fLb1ELi0EEEvPKT_PKT0_PfPimiiif
; %bb.0:
	s_clause 0x1
	s_load_b64 s[12:13], s[0:1], 0x28
	s_load_b256 s[4:11], s[0:1], 0x0
	v_lshl_add_u32 v4, v0, 2, 0
	s_waitcnt lgkmcnt(0)
	s_mul_i32 s16, s15, s12
	v_cmp_gt_i32_e64 s2, s12, v0
	s_ashr_i32 s17, s16, 31
	s_delay_alu instid0(SALU_CYCLE_1) | instskip(NEXT) | instid1(SALU_CYCLE_1)
	s_lshl_b64 s[16:17], s[16:17], 1
	s_add_u32 s4, s4, s16
	s_addc_u32 s5, s5, s17
	s_and_saveexec_b32 s14, s2
	s_cbranch_execz .LBB169_5
; %bb.1:
	s_load_b32 s3, s[0:1], 0x44
	s_cmp_lg_u64 s[6:7], 0
	v_lshl_add_u32 v5, v0, 2, 0
	v_mov_b32_e32 v1, v0
	s_cselect_b32 s16, -1, 0
	s_mov_b32 s18, 0
	s_mov_b32 s20, 0x3fb8aa3b
	s_waitcnt lgkmcnt(0)
	s_and_b32 s17, s3, 0xffff
	s_delay_alu instid0(SALU_CYCLE_1)
	s_lshl_b32 s19, s17, 2
	s_branch .LBB169_3
.LBB169_2:                              ;   in Loop: Header=BB169_3 Depth=1
	v_add_nc_u32_e32 v1, s17, v1
	ds_store_b32 v5, v6
	v_add_nc_u32_e32 v5, s19, v5
	v_cmp_le_i32_e32 vcc_lo, s12, v1
	s_or_b32 s18, vcc_lo, s18
	s_delay_alu instid0(SALU_CYCLE_1)
	s_and_not1_b32 exec_lo, exec_lo, s18
	s_cbranch_execz .LBB169_5
.LBB169_3:                              ; =>This Inner Loop Header: Depth=1
	v_ashrrev_i32_e32 v2, 31, v1
	s_delay_alu instid0(VALU_DEP_1) | instskip(NEXT) | instid1(VALU_DEP_1)
	v_lshlrev_b64 v[2:3], 1, v[1:2]
	v_add_co_u32 v6, vcc_lo, s4, v2
	s_delay_alu instid0(VALU_DEP_2) | instskip(SKIP_3) | instid1(VALU_DEP_1)
	v_add_co_ci_u32_e32 v7, vcc_lo, s5, v3, vcc_lo
	global_load_u16 v6, v[6:7], off
	s_waitcnt vmcnt(0)
	v_cvt_f32_f16_e32 v7, v6
	v_mul_f32_e32 v8, 0x3fb8aa3b, v7
	s_delay_alu instid0(VALU_DEP_1) | instskip(SKIP_2) | instid1(VALU_DEP_2)
	v_cmp_gt_f32_e32 vcc_lo, 0xc2fc0000, v8
	v_cndmask_b32_e64 v8, 0, 0x42800000, vcc_lo
	v_cndmask_b32_e64 v9, 1.0, 0x1f800000, vcc_lo
	v_fma_mix_f32 v8, v6, s20, v8 op_sel_hi:[1,0,0]
	s_delay_alu instid0(VALU_DEP_1) | instskip(SKIP_2) | instid1(VALU_DEP_1)
	v_exp_f32_e32 v8, v8
	s_waitcnt_depctr 0xfff
	v_fma_f32 v8, v8, v9, 1.0
	v_cmp_gt_f32_e32 vcc_lo, 0x800000, v8
	v_cndmask_b32_e64 v9, 1.0, 0x4f800000, vcc_lo
	s_delay_alu instid0(VALU_DEP_1) | instskip(SKIP_2) | instid1(VALU_DEP_3)
	v_mul_f32_e32 v8, v8, v9
	v_cndmask_b32_e64 v9, 0, 0x42000000, vcc_lo
	v_cmp_lt_f16_e32 vcc_lo, 0x4d00, v6
	v_log_f32_e32 v8, v8
	s_waitcnt_depctr 0xfff
	v_sub_f32_e32 v8, v8, v9
	s_delay_alu instid0(VALU_DEP_1) | instskip(NEXT) | instid1(VALU_DEP_1)
	v_mul_f32_e32 v8, 0x3f317218, v8
	v_cndmask_b32_e32 v6, v8, v7, vcc_lo
	s_delay_alu instid0(VALU_DEP_1) | instskip(SKIP_1) | instid1(VALU_DEP_2)
	v_mul_f32_e32 v7, 0x4f800000, v6
	v_cmp_gt_f32_e32 vcc_lo, 0xf800000, v6
	v_cndmask_b32_e32 v6, v6, v7, vcc_lo
	s_delay_alu instid0(VALU_DEP_1) | instskip(SKIP_3) | instid1(VALU_DEP_2)
	v_sqrt_f32_e32 v7, v6
	s_waitcnt_depctr 0xfff
	v_add_nc_u32_e32 v8, -1, v7
	v_add_nc_u32_e32 v9, 1, v7
	v_fma_f32 v10, -v8, v7, v6
	s_delay_alu instid0(VALU_DEP_2) | instskip(NEXT) | instid1(VALU_DEP_2)
	v_fma_f32 v11, -v9, v7, v6
	v_cmp_ge_f32_e64 s3, 0, v10
	s_delay_alu instid0(VALU_DEP_1) | instskip(NEXT) | instid1(VALU_DEP_3)
	v_cndmask_b32_e64 v7, v7, v8, s3
	v_cmp_lt_f32_e64 s3, 0, v11
	s_delay_alu instid0(VALU_DEP_1) | instskip(NEXT) | instid1(VALU_DEP_1)
	v_cndmask_b32_e64 v7, v7, v9, s3
	v_mul_f32_e32 v8, 0x37800000, v7
	s_delay_alu instid0(VALU_DEP_1) | instskip(SKIP_1) | instid1(VALU_DEP_2)
	v_cndmask_b32_e32 v7, v7, v8, vcc_lo
	v_cmp_class_f32_e64 vcc_lo, v6, 0x260
	v_cndmask_b32_e32 v6, v7, v6, vcc_lo
	s_and_not1_b32 vcc_lo, exec_lo, s16
	s_cbranch_vccnz .LBB169_2
; %bb.4:                                ;   in Loop: Header=BB169_3 Depth=1
	v_add_co_u32 v2, vcc_lo, s6, v2
	v_add_co_ci_u32_e32 v3, vcc_lo, s7, v3, vcc_lo
	global_load_u16 v2, v[2:3], off
	s_waitcnt vmcnt(0)
	v_cvt_f32_f16_e32 v2, v2
	s_delay_alu instid0(VALU_DEP_1)
	v_add_f32_e32 v6, v6, v2
	s_branch .LBB169_2
.LBB169_5:
	s_or_b32 exec_lo, exec_lo, s14
	v_add_nc_u32_e32 v1, s12, v0
	s_mov_b32 s14, exec_lo
	s_delay_alu instid0(VALU_DEP_1)
	v_cmpx_gt_i32_e64 s12, v1
	s_cbranch_execz .LBB169_10
; %bb.6:
	s_load_b32 s3, s[0:1], 0x44
	s_cmp_lg_u64 s[6:7], 0
	v_lshl_add_u32 v5, v1, 2, 0
	s_cselect_b32 s16, -1, 0
	s_mov_b32 s18, 0
	s_mov_b32 s20, 0x3fb8aa3b
	s_waitcnt lgkmcnt(0)
	s_and_b32 s17, s3, 0xffff
	s_delay_alu instid0(SALU_CYCLE_1)
	s_lshl_b32 s19, s17, 2
	s_branch .LBB169_8
.LBB169_7:                              ;   in Loop: Header=BB169_8 Depth=1
	v_add_nc_u32_e32 v1, s17, v1
	v_add_nc_u32_e32 v5, s19, v5
	s_delay_alu instid0(VALU_DEP_2) | instskip(SKIP_1) | instid1(SALU_CYCLE_1)
	v_cmp_le_i32_e32 vcc_lo, s12, v1
	s_or_b32 s18, vcc_lo, s18
	s_and_not1_b32 exec_lo, exec_lo, s18
	s_cbranch_execz .LBB169_10
.LBB169_8:                              ; =>This Inner Loop Header: Depth=1
	v_ashrrev_i32_e32 v2, 31, v1
	s_delay_alu instid0(VALU_DEP_1) | instskip(NEXT) | instid1(VALU_DEP_1)
	v_lshlrev_b64 v[2:3], 1, v[1:2]
	v_add_co_u32 v6, vcc_lo, s4, v2
	s_delay_alu instid0(VALU_DEP_2) | instskip(SKIP_3) | instid1(VALU_DEP_1)
	v_add_co_ci_u32_e32 v7, vcc_lo, s5, v3, vcc_lo
	global_load_u16 v6, v[6:7], off
	s_waitcnt vmcnt(0)
	v_cvt_f32_f16_e32 v7, v6
	v_mul_f32_e32 v8, 0x3fb8aa3b, v7
	s_delay_alu instid0(VALU_DEP_1) | instskip(SKIP_2) | instid1(VALU_DEP_2)
	v_cmp_gt_f32_e32 vcc_lo, 0xc2fc0000, v8
	v_cndmask_b32_e64 v8, 0, 0x42800000, vcc_lo
	v_cndmask_b32_e64 v9, 1.0, 0x1f800000, vcc_lo
	v_fma_mix_f32 v8, v6, s20, v8 op_sel_hi:[1,0,0]
	s_delay_alu instid0(VALU_DEP_1) | instskip(SKIP_2) | instid1(VALU_DEP_1)
	v_exp_f32_e32 v8, v8
	s_waitcnt_depctr 0xfff
	v_fma_f32 v8, v8, v9, 1.0
	v_cmp_gt_f32_e32 vcc_lo, 0x800000, v8
	v_cndmask_b32_e64 v9, 1.0, 0x4f800000, vcc_lo
	s_delay_alu instid0(VALU_DEP_1) | instskip(SKIP_2) | instid1(VALU_DEP_3)
	v_mul_f32_e32 v8, v8, v9
	v_cndmask_b32_e64 v9, 0, 0x42000000, vcc_lo
	v_cmp_lt_f16_e32 vcc_lo, 0x4d00, v6
	v_log_f32_e32 v8, v8
	s_waitcnt_depctr 0xfff
	v_sub_f32_e32 v8, v8, v9
	s_delay_alu instid0(VALU_DEP_1) | instskip(NEXT) | instid1(VALU_DEP_1)
	v_mul_f32_e32 v8, 0x3f317218, v8
	v_cndmask_b32_e32 v6, v8, v7, vcc_lo
	s_delay_alu instid0(VALU_DEP_1) | instskip(SKIP_1) | instid1(VALU_DEP_2)
	v_mul_f32_e32 v7, 0x4f800000, v6
	v_cmp_gt_f32_e32 vcc_lo, 0xf800000, v6
	v_cndmask_b32_e32 v6, v6, v7, vcc_lo
	s_delay_alu instid0(VALU_DEP_1) | instskip(SKIP_3) | instid1(VALU_DEP_2)
	v_sqrt_f32_e32 v7, v6
	s_waitcnt_depctr 0xfff
	v_add_nc_u32_e32 v8, -1, v7
	v_add_nc_u32_e32 v9, 1, v7
	v_fma_f32 v10, -v8, v7, v6
	s_delay_alu instid0(VALU_DEP_2) | instskip(NEXT) | instid1(VALU_DEP_2)
	v_fma_f32 v11, -v9, v7, v6
	v_cmp_ge_f32_e64 s3, 0, v10
	s_delay_alu instid0(VALU_DEP_1) | instskip(NEXT) | instid1(VALU_DEP_3)
	v_cndmask_b32_e64 v7, v7, v8, s3
	v_cmp_lt_f32_e64 s3, 0, v11
	s_delay_alu instid0(VALU_DEP_1) | instskip(NEXT) | instid1(VALU_DEP_1)
	v_cndmask_b32_e64 v7, v7, v9, s3
	v_mul_f32_e32 v8, 0x37800000, v7
	s_delay_alu instid0(VALU_DEP_1) | instskip(SKIP_1) | instid1(VALU_DEP_2)
	v_cndmask_b32_e32 v7, v7, v8, vcc_lo
	v_cmp_class_f32_e64 vcc_lo, v6, 0x260
	v_cndmask_b32_e32 v6, v7, v6, vcc_lo
	s_and_not1_b32 vcc_lo, exec_lo, s16
	ds_store_b32 v5, v6
	s_cbranch_vccnz .LBB169_7
; %bb.9:                                ;   in Loop: Header=BB169_8 Depth=1
	v_add_co_u32 v2, vcc_lo, s6, v2
	v_add_co_ci_u32_e32 v3, vcc_lo, s7, v3, vcc_lo
	global_load_u16 v2, v[2:3], off
	s_waitcnt vmcnt(0)
	v_cvt_f32_f16_e32 v2, v2
	s_delay_alu instid0(VALU_DEP_1)
	v_add_f32_e32 v2, v6, v2
	ds_store_b32 v5, v2
	s_branch .LBB169_7
.LBB169_10:
	s_or_b32 exec_lo, exec_lo, s14
	v_mov_b32_e32 v2, 0
	s_cmp_lt_i32 s13, 1
	s_waitcnt lgkmcnt(0)
	s_barrier
	buffer_gl0_inv
	s_cbranch_scc1 .LBB169_19
; %bb.11:
	s_add_u32 s4, s0, 56
	s_addc_u32 s5, s1, 0
	v_dual_mov_b32 v2, 0 :: v_dual_mov_b32 v5, 0
	v_dual_mov_b32 v6, 0xff800000 :: v_dual_mov_b32 v1, 0
	v_mov_b32_e32 v3, 0
	s_cmp_lg_u64 s[6:7], 0
	s_mov_b32 s14, 0
	s_cselect_b32 s3, -1, 0
	s_mov_b32 s18, 0x76543210
	s_branch .LBB169_13
.LBB169_12:                             ;   in Loop: Header=BB169_13 Depth=1
	v_cmp_eq_u32_e32 vcc_lo, s14, v0
	s_delay_alu instid0(VALU_DEP_2) | instskip(NEXT) | instid1(VALU_DEP_2)
	s_lshl_b32 s17, s16, 2
	v_add_f32_e32 v3, v3, v9
	s_add_i32 s17, s17, 0
	s_add_i32 s14, s14, 1
	v_cndmask_b32_e64 v1, v1, s16, vcc_lo
	v_dual_mov_b32 v7, s17 :: v_dual_cndmask_b32 v2, v2, v9
	s_cmp_eq_u32 s14, s13
	ds_store_b32 v7, v6
	s_cbranch_scc1 .LBB169_20
.LBB169_13:                             ; =>This Loop Header: Depth=1
                                        ;     Child Loop BB169_15 Depth 2
	v_dual_mov_b32 v7, s14 :: v_dual_mov_b32 v8, 0xff800000
	s_and_saveexec_b32 s16, s2
	s_cbranch_execz .LBB169_17
; %bb.14:                               ;   in Loop: Header=BB169_13 Depth=1
	s_load_b32 s17, s[4:5], 0xc
	v_dual_mov_b32 v7, s14 :: v_dual_mov_b32 v8, 0xff800000
	v_mov_b32_e32 v9, v4
	v_mov_b32_e32 v10, v0
	s_mov_b32 s19, 0
	s_waitcnt lgkmcnt(0)
	s_and_b32 s17, s17, 0xffff
	s_delay_alu instid0(SALU_CYCLE_1)
	s_lshl_b32 s20, s17, 2
.LBB169_15:                             ;   Parent Loop BB169_13 Depth=1
                                        ; =>  This Inner Loop Header: Depth=2
	ds_load_b32 v11, v9
	v_add_nc_u32_e32 v9, s20, v9
	s_waitcnt lgkmcnt(0)
	v_cmp_gt_f32_e32 vcc_lo, v11, v8
	v_dual_cndmask_b32 v8, v8, v11 :: v_dual_cndmask_b32 v7, v7, v10
	v_add_nc_u32_e32 v10, s17, v10
	s_delay_alu instid0(VALU_DEP_1) | instskip(SKIP_1) | instid1(SALU_CYCLE_1)
	v_cmp_le_i32_e32 vcc_lo, s12, v10
	s_or_b32 s19, vcc_lo, s19
	s_and_not1_b32 exec_lo, exec_lo, s19
	s_cbranch_execnz .LBB169_15
; %bb.16:                               ;   in Loop: Header=BB169_13 Depth=1
	s_or_b32 exec_lo, exec_lo, s19
.LBB169_17:                             ;   in Loop: Header=BB169_13 Depth=1
	s_delay_alu instid0(SALU_CYCLE_1)
	s_or_b32 exec_lo, exec_lo, s16
	;;#ASMSTART
	v_max_f32 v9, v8, v8 quad_perm:[1,0,3,2] row_mask:0xf bank_mask:0xf bound_ctrl:1
	;;#ASMEND
	;;#ASMSTART
	v_max_f32 v10, v9, v9 quad_perm:[2,3,0,1] row_mask:0xf bank_mask:0xf bound_ctrl:1
	;;#ASMEND
	;;#ASMSTART
	v_max_f32 v9, v10, v10 row_half_mirror row_mask:0xf bank_mask:0xf bound_ctrl:1
	;;#ASMEND
	;;#ASMSTART
	v_max_f32 v10, v9, v9 row_mirror row_mask:0xf bank_mask:0xf bound_ctrl:1
	;;#ASMEND
	v_permlanex16_b32 v9, v10, s18, 0xfedcba98 op_sel:[1,1]
	s_delay_alu instid0(VALU_DEP_1) | instskip(NEXT) | instid1(VALU_DEP_1)
	v_dual_max_f32 v10, v10, v10 :: v_dual_max_f32 v9, v9, v9
	v_max_f32_e32 v9, v10, v9
	s_delay_alu instid0(VALU_DEP_1)
	v_cmp_eq_f32_e32 vcc_lo, v8, v9
	s_ctz_i32_b32 s16, vcc_lo
	s_cmp_lg_u32 vcc_lo, 0
	s_cselect_b32 s16, s16, 0
	s_and_b32 vcc_lo, exec_lo, s3
	v_readlane_b32 s16, v7, s16
	s_cbranch_vccz .LBB169_12
; %bb.18:                               ;   in Loop: Header=BB169_13 Depth=1
	s_delay_alu instid0(VALU_DEP_1) | instskip(NEXT) | instid1(SALU_CYCLE_1)
	s_ashr_i32 s17, s16, 31
	s_lshl_b64 s[20:21], s[16:17], 1
	s_delay_alu instid0(SALU_CYCLE_1) | instskip(SKIP_4) | instid1(VALU_DEP_1)
	s_add_u32 s20, s6, s20
	s_addc_u32 s21, s7, s21
	global_load_u16 v7, v5, s[20:21]
	s_waitcnt vmcnt(0)
	v_cvt_f32_f16_e32 v7, v7
	v_sub_f32_e32 v9, v9, v7
	s_branch .LBB169_12
.LBB169_19:
	v_mov_b32_e32 v1, 0
	v_mov_b32_e32 v3, 0
.LBB169_20:
	s_mov_b32 s2, exec_lo
	v_cmpx_gt_i32_e64 s13, v0
	s_cbranch_execz .LBB169_23
; %bb.21:
	s_clause 0x1
	s_load_b32 s2, s[0:1], 0x34
	s_load_b32 s3, s[0:1], 0x44
	v_max_f32_e32 v3, v3, v3
	s_load_b64 s[0:1], s[0:1], 0x20
	s_ashr_i32 s4, s15, 31
	s_delay_alu instid0(VALU_DEP_1) | instskip(SKIP_1) | instid1(VALU_DEP_1)
	v_max_f32_e32 v3, 0x1e3ce508, v3
	s_waitcnt lgkmcnt(0)
	v_div_scale_f32 v4, null, v3, v3, s2
	v_div_scale_f32 v7, vcc_lo, s2, v3, s2
	s_mul_i32 s1, s15, s1
	s_delay_alu instid0(VALU_DEP_2) | instskip(SKIP_4) | instid1(VALU_DEP_1)
	v_rcp_f32_e32 v5, v4
	s_mul_i32 s4, s4, s0
	s_and_b32 s3, s3, 0xffff
	s_waitcnt_depctr 0xfff
	v_fma_f32 v6, -v4, v5, 1.0
	v_fmac_f32_e32 v5, v6, v5
	s_delay_alu instid0(VALU_DEP_1) | instskip(NEXT) | instid1(VALU_DEP_1)
	v_mul_f32_e32 v6, v7, v5
	v_fma_f32 v8, -v4, v6, v7
	s_delay_alu instid0(VALU_DEP_1) | instskip(NEXT) | instid1(VALU_DEP_1)
	v_fmac_f32_e32 v6, v8, v5
	v_fma_f32 v4, -v4, v6, v7
	s_delay_alu instid0(VALU_DEP_1) | instskip(NEXT) | instid1(VALU_DEP_1)
	v_div_fmas_f32 v4, v4, v5, v6
	v_div_fixup_f32 v3, v4, v3, s2
	s_mul_hi_u32 s2, s15, s0
	s_delay_alu instid0(SALU_CYCLE_1) | instskip(SKIP_1) | instid1(VALU_DEP_1)
	s_add_i32 s1, s2, s1
	s_mul_i32 s2, s15, s0
	v_mul_f32_e32 v2, v2, v3
	s_add_i32 s1, s1, s4
	s_mov_b32 s4, 0
	.p2align	6
.LBB169_22:                             ; =>This Inner Loop Header: Depth=1
	v_ashrrev_i32_e32 v4, 31, v0
	v_add_co_u32 v3, vcc_lo, s2, v0
	v_add_nc_u32_e32 v0, s3, v0
	s_delay_alu instid0(VALU_DEP_3) | instskip(NEXT) | instid1(VALU_DEP_2)
	v_add_co_ci_u32_e32 v4, vcc_lo, s1, v4, vcc_lo
	v_cmp_le_i32_e32 vcc_lo, s13, v0
	s_delay_alu instid0(VALU_DEP_2) | instskip(SKIP_1) | instid1(VALU_DEP_1)
	v_lshlrev_b64 v[3:4], 2, v[3:4]
	s_or_b32 s4, vcc_lo, s4
	v_add_co_u32 v5, s0, s8, v3
	s_delay_alu instid0(VALU_DEP_1) | instskip(SKIP_1) | instid1(VALU_DEP_1)
	v_add_co_ci_u32_e64 v6, s0, s9, v4, s0
	v_add_co_u32 v3, s0, s10, v3
	v_add_co_ci_u32_e64 v4, s0, s11, v4, s0
	global_store_b32 v[5:6], v2, off
	global_store_b32 v[3:4], v1, off
	s_and_not1_b32 exec_lo, exec_lo, s4
	s_cbranch_execnz .LBB169_22
.LBB169_23:
	s_nop 0
	s_sendmsg sendmsg(MSG_DEALLOC_VGPRS)
	s_endpgm
	.section	.rodata,"a",@progbits
	.p2align	6, 0x0
	.amdhsa_kernel _ZN5aiter20topk_softplus_kernelI6__halfS1_Dv1_fLb1ELi0EEEvPKT_PKT0_PfPimiiif
		.amdhsa_group_segment_fixed_size 0
		.amdhsa_private_segment_fixed_size 0
		.amdhsa_kernarg_size 312
		.amdhsa_user_sgpr_count 15
		.amdhsa_user_sgpr_dispatch_ptr 0
		.amdhsa_user_sgpr_queue_ptr 0
		.amdhsa_user_sgpr_kernarg_segment_ptr 1
		.amdhsa_user_sgpr_dispatch_id 0
		.amdhsa_user_sgpr_private_segment_size 0
		.amdhsa_wavefront_size32 1
		.amdhsa_uses_dynamic_stack 0
		.amdhsa_enable_private_segment 0
		.amdhsa_system_sgpr_workgroup_id_x 1
		.amdhsa_system_sgpr_workgroup_id_y 0
		.amdhsa_system_sgpr_workgroup_id_z 0
		.amdhsa_system_sgpr_workgroup_info 0
		.amdhsa_system_vgpr_workitem_id 0
		.amdhsa_next_free_vgpr 12
		.amdhsa_next_free_sgpr 22
		.amdhsa_reserve_vcc 1
		.amdhsa_float_round_mode_32 0
		.amdhsa_float_round_mode_16_64 0
		.amdhsa_float_denorm_mode_32 3
		.amdhsa_float_denorm_mode_16_64 3
		.amdhsa_dx10_clamp 1
		.amdhsa_ieee_mode 1
		.amdhsa_fp16_overflow 0
		.amdhsa_workgroup_processor_mode 1
		.amdhsa_memory_ordered 1
		.amdhsa_forward_progress 0
		.amdhsa_shared_vgpr_count 0
		.amdhsa_exception_fp_ieee_invalid_op 0
		.amdhsa_exception_fp_denorm_src 0
		.amdhsa_exception_fp_ieee_div_zero 0
		.amdhsa_exception_fp_ieee_overflow 0
		.amdhsa_exception_fp_ieee_underflow 0
		.amdhsa_exception_fp_ieee_inexact 0
		.amdhsa_exception_int_div_zero 0
	.end_amdhsa_kernel
	.section	.text._ZN5aiter20topk_softplus_kernelI6__halfS1_Dv1_fLb1ELi0EEEvPKT_PKT0_PfPimiiif,"axG",@progbits,_ZN5aiter20topk_softplus_kernelI6__halfS1_Dv1_fLb1ELi0EEEvPKT_PKT0_PfPimiiif,comdat
.Lfunc_end169:
	.size	_ZN5aiter20topk_softplus_kernelI6__halfS1_Dv1_fLb1ELi0EEEvPKT_PKT0_PfPimiiif, .Lfunc_end169-_ZN5aiter20topk_softplus_kernelI6__halfS1_Dv1_fLb1ELi0EEEvPKT_PKT0_PfPimiiif
                                        ; -- End function
	.section	.AMDGPU.csdata,"",@progbits
; Kernel info:
; codeLenInByte = 1864
; NumSgprs: 24
; NumVgprs: 12
; ScratchSize: 0
; MemoryBound: 0
; FloatMode: 240
; IeeeMode: 1
; LDSByteSize: 0 bytes/workgroup (compile time only)
; SGPRBlocks: 2
; VGPRBlocks: 1
; NumSGPRsForWavesPerEU: 24
; NumVGPRsForWavesPerEU: 12
; Occupancy: 16
; WaveLimiterHint : 0
; COMPUTE_PGM_RSRC2:SCRATCH_EN: 0
; COMPUTE_PGM_RSRC2:USER_SGPR: 15
; COMPUTE_PGM_RSRC2:TRAP_HANDLER: 0
; COMPUTE_PGM_RSRC2:TGID_X_EN: 1
; COMPUTE_PGM_RSRC2:TGID_Y_EN: 0
; COMPUTE_PGM_RSRC2:TGID_Z_EN: 0
; COMPUTE_PGM_RSRC2:TIDIG_COMP_CNT: 0
	.section	.text._ZN5aiter20topk_softplus_kernelI6__halfS1_Dv1_fLb0ELi0EEEvPKT_PKT0_PfPimiiif,"axG",@progbits,_ZN5aiter20topk_softplus_kernelI6__halfS1_Dv1_fLb0ELi0EEEvPKT_PKT0_PfPimiiif,comdat
	.protected	_ZN5aiter20topk_softplus_kernelI6__halfS1_Dv1_fLb0ELi0EEEvPKT_PKT0_PfPimiiif ; -- Begin function _ZN5aiter20topk_softplus_kernelI6__halfS1_Dv1_fLb0ELi0EEEvPKT_PKT0_PfPimiiif
	.globl	_ZN5aiter20topk_softplus_kernelI6__halfS1_Dv1_fLb0ELi0EEEvPKT_PKT0_PfPimiiif
	.p2align	8
	.type	_ZN5aiter20topk_softplus_kernelI6__halfS1_Dv1_fLb0ELi0EEEvPKT_PKT0_PfPimiiif,@function
_ZN5aiter20topk_softplus_kernelI6__halfS1_Dv1_fLb0ELi0EEEvPKT_PKT0_PfPimiiif: ; @_ZN5aiter20topk_softplus_kernelI6__halfS1_Dv1_fLb0ELi0EEEvPKT_PKT0_PfPimiiif
; %bb.0:
	s_clause 0x1
	s_load_b64 s[12:13], s[0:1], 0x28
	s_load_b256 s[4:11], s[0:1], 0x0
	v_lshl_add_u32 v4, v0, 2, 0
	s_waitcnt lgkmcnt(0)
	s_mul_i32 s16, s15, s12
	v_cmp_gt_i32_e64 s2, s12, v0
	s_ashr_i32 s17, s16, 31
	s_delay_alu instid0(SALU_CYCLE_1) | instskip(NEXT) | instid1(SALU_CYCLE_1)
	s_lshl_b64 s[16:17], s[16:17], 1
	s_add_u32 s4, s4, s16
	s_addc_u32 s5, s5, s17
	s_and_saveexec_b32 s14, s2
	s_cbranch_execz .LBB170_5
; %bb.1:
	s_load_b32 s3, s[0:1], 0x44
	s_cmp_lg_u64 s[6:7], 0
	v_lshl_add_u32 v5, v0, 2, 0
	v_mov_b32_e32 v1, v0
	s_cselect_b32 s16, -1, 0
	s_mov_b32 s18, 0
	s_mov_b32 s20, 0x3fb8aa3b
	s_waitcnt lgkmcnt(0)
	s_and_b32 s17, s3, 0xffff
	s_delay_alu instid0(SALU_CYCLE_1)
	s_lshl_b32 s19, s17, 2
	s_branch .LBB170_3
.LBB170_2:                              ;   in Loop: Header=BB170_3 Depth=1
	v_add_nc_u32_e32 v1, s17, v1
	ds_store_b32 v5, v6
	v_add_nc_u32_e32 v5, s19, v5
	v_cmp_le_i32_e32 vcc_lo, s12, v1
	s_or_b32 s18, vcc_lo, s18
	s_delay_alu instid0(SALU_CYCLE_1)
	s_and_not1_b32 exec_lo, exec_lo, s18
	s_cbranch_execz .LBB170_5
.LBB170_3:                              ; =>This Inner Loop Header: Depth=1
	v_ashrrev_i32_e32 v2, 31, v1
	s_delay_alu instid0(VALU_DEP_1) | instskip(NEXT) | instid1(VALU_DEP_1)
	v_lshlrev_b64 v[2:3], 1, v[1:2]
	v_add_co_u32 v6, vcc_lo, s4, v2
	s_delay_alu instid0(VALU_DEP_2) | instskip(SKIP_3) | instid1(VALU_DEP_1)
	v_add_co_ci_u32_e32 v7, vcc_lo, s5, v3, vcc_lo
	global_load_u16 v6, v[6:7], off
	s_waitcnt vmcnt(0)
	v_cvt_f32_f16_e32 v7, v6
	v_mul_f32_e32 v8, 0x3fb8aa3b, v7
	s_delay_alu instid0(VALU_DEP_1) | instskip(SKIP_2) | instid1(VALU_DEP_2)
	v_cmp_gt_f32_e32 vcc_lo, 0xc2fc0000, v8
	v_cndmask_b32_e64 v8, 0, 0x42800000, vcc_lo
	v_cndmask_b32_e64 v9, 1.0, 0x1f800000, vcc_lo
	v_fma_mix_f32 v8, v6, s20, v8 op_sel_hi:[1,0,0]
	s_delay_alu instid0(VALU_DEP_1) | instskip(SKIP_2) | instid1(VALU_DEP_1)
	v_exp_f32_e32 v8, v8
	s_waitcnt_depctr 0xfff
	v_fma_f32 v8, v8, v9, 1.0
	v_cmp_gt_f32_e32 vcc_lo, 0x800000, v8
	v_cndmask_b32_e64 v9, 1.0, 0x4f800000, vcc_lo
	s_delay_alu instid0(VALU_DEP_1) | instskip(SKIP_2) | instid1(VALU_DEP_3)
	v_mul_f32_e32 v8, v8, v9
	v_cndmask_b32_e64 v9, 0, 0x42000000, vcc_lo
	v_cmp_lt_f16_e32 vcc_lo, 0x4d00, v6
	v_log_f32_e32 v8, v8
	s_waitcnt_depctr 0xfff
	v_sub_f32_e32 v8, v8, v9
	s_delay_alu instid0(VALU_DEP_1) | instskip(NEXT) | instid1(VALU_DEP_1)
	v_mul_f32_e32 v8, 0x3f317218, v8
	v_cndmask_b32_e32 v6, v8, v7, vcc_lo
	s_delay_alu instid0(VALU_DEP_1) | instskip(SKIP_1) | instid1(VALU_DEP_2)
	v_mul_f32_e32 v7, 0x4f800000, v6
	v_cmp_gt_f32_e32 vcc_lo, 0xf800000, v6
	v_cndmask_b32_e32 v6, v6, v7, vcc_lo
	s_delay_alu instid0(VALU_DEP_1) | instskip(SKIP_3) | instid1(VALU_DEP_2)
	v_sqrt_f32_e32 v7, v6
	s_waitcnt_depctr 0xfff
	v_add_nc_u32_e32 v8, -1, v7
	v_add_nc_u32_e32 v9, 1, v7
	v_fma_f32 v10, -v8, v7, v6
	s_delay_alu instid0(VALU_DEP_2) | instskip(NEXT) | instid1(VALU_DEP_2)
	v_fma_f32 v11, -v9, v7, v6
	v_cmp_ge_f32_e64 s3, 0, v10
	s_delay_alu instid0(VALU_DEP_1) | instskip(NEXT) | instid1(VALU_DEP_3)
	v_cndmask_b32_e64 v7, v7, v8, s3
	v_cmp_lt_f32_e64 s3, 0, v11
	s_delay_alu instid0(VALU_DEP_1) | instskip(NEXT) | instid1(VALU_DEP_1)
	v_cndmask_b32_e64 v7, v7, v9, s3
	v_mul_f32_e32 v8, 0x37800000, v7
	s_delay_alu instid0(VALU_DEP_1) | instskip(SKIP_1) | instid1(VALU_DEP_2)
	v_cndmask_b32_e32 v7, v7, v8, vcc_lo
	v_cmp_class_f32_e64 vcc_lo, v6, 0x260
	v_cndmask_b32_e32 v6, v7, v6, vcc_lo
	s_and_not1_b32 vcc_lo, exec_lo, s16
	s_cbranch_vccnz .LBB170_2
; %bb.4:                                ;   in Loop: Header=BB170_3 Depth=1
	v_add_co_u32 v2, vcc_lo, s6, v2
	v_add_co_ci_u32_e32 v3, vcc_lo, s7, v3, vcc_lo
	global_load_u16 v2, v[2:3], off
	s_waitcnt vmcnt(0)
	v_cvt_f32_f16_e32 v2, v2
	s_delay_alu instid0(VALU_DEP_1)
	v_add_f32_e32 v6, v6, v2
	s_branch .LBB170_2
.LBB170_5:
	s_or_b32 exec_lo, exec_lo, s14
	v_add_nc_u32_e32 v1, s12, v0
	s_mov_b32 s14, exec_lo
	s_delay_alu instid0(VALU_DEP_1)
	v_cmpx_gt_i32_e64 s12, v1
	s_cbranch_execz .LBB170_10
; %bb.6:
	s_load_b32 s3, s[0:1], 0x44
	s_cmp_lg_u64 s[6:7], 0
	v_lshl_add_u32 v5, v1, 2, 0
	s_cselect_b32 s16, -1, 0
	s_mov_b32 s18, 0
	s_mov_b32 s20, 0x3fb8aa3b
	s_waitcnt lgkmcnt(0)
	s_and_b32 s17, s3, 0xffff
	s_delay_alu instid0(SALU_CYCLE_1)
	s_lshl_b32 s19, s17, 2
	s_branch .LBB170_8
.LBB170_7:                              ;   in Loop: Header=BB170_8 Depth=1
	v_add_nc_u32_e32 v1, s17, v1
	v_add_nc_u32_e32 v5, s19, v5
	s_delay_alu instid0(VALU_DEP_2) | instskip(SKIP_1) | instid1(SALU_CYCLE_1)
	v_cmp_le_i32_e32 vcc_lo, s12, v1
	s_or_b32 s18, vcc_lo, s18
	s_and_not1_b32 exec_lo, exec_lo, s18
	s_cbranch_execz .LBB170_10
.LBB170_8:                              ; =>This Inner Loop Header: Depth=1
	v_ashrrev_i32_e32 v2, 31, v1
	s_delay_alu instid0(VALU_DEP_1) | instskip(NEXT) | instid1(VALU_DEP_1)
	v_lshlrev_b64 v[2:3], 1, v[1:2]
	v_add_co_u32 v6, vcc_lo, s4, v2
	s_delay_alu instid0(VALU_DEP_2) | instskip(SKIP_3) | instid1(VALU_DEP_1)
	v_add_co_ci_u32_e32 v7, vcc_lo, s5, v3, vcc_lo
	global_load_u16 v6, v[6:7], off
	s_waitcnt vmcnt(0)
	v_cvt_f32_f16_e32 v7, v6
	v_mul_f32_e32 v8, 0x3fb8aa3b, v7
	s_delay_alu instid0(VALU_DEP_1) | instskip(SKIP_2) | instid1(VALU_DEP_2)
	v_cmp_gt_f32_e32 vcc_lo, 0xc2fc0000, v8
	v_cndmask_b32_e64 v8, 0, 0x42800000, vcc_lo
	v_cndmask_b32_e64 v9, 1.0, 0x1f800000, vcc_lo
	v_fma_mix_f32 v8, v6, s20, v8 op_sel_hi:[1,0,0]
	s_delay_alu instid0(VALU_DEP_1) | instskip(SKIP_2) | instid1(VALU_DEP_1)
	v_exp_f32_e32 v8, v8
	s_waitcnt_depctr 0xfff
	v_fma_f32 v8, v8, v9, 1.0
	v_cmp_gt_f32_e32 vcc_lo, 0x800000, v8
	v_cndmask_b32_e64 v9, 1.0, 0x4f800000, vcc_lo
	s_delay_alu instid0(VALU_DEP_1) | instskip(SKIP_2) | instid1(VALU_DEP_3)
	v_mul_f32_e32 v8, v8, v9
	v_cndmask_b32_e64 v9, 0, 0x42000000, vcc_lo
	v_cmp_lt_f16_e32 vcc_lo, 0x4d00, v6
	v_log_f32_e32 v8, v8
	s_waitcnt_depctr 0xfff
	v_sub_f32_e32 v8, v8, v9
	s_delay_alu instid0(VALU_DEP_1) | instskip(NEXT) | instid1(VALU_DEP_1)
	v_mul_f32_e32 v8, 0x3f317218, v8
	v_cndmask_b32_e32 v6, v8, v7, vcc_lo
	s_delay_alu instid0(VALU_DEP_1) | instskip(SKIP_1) | instid1(VALU_DEP_2)
	v_mul_f32_e32 v7, 0x4f800000, v6
	v_cmp_gt_f32_e32 vcc_lo, 0xf800000, v6
	v_cndmask_b32_e32 v6, v6, v7, vcc_lo
	s_delay_alu instid0(VALU_DEP_1) | instskip(SKIP_3) | instid1(VALU_DEP_2)
	v_sqrt_f32_e32 v7, v6
	s_waitcnt_depctr 0xfff
	v_add_nc_u32_e32 v8, -1, v7
	v_add_nc_u32_e32 v9, 1, v7
	v_fma_f32 v10, -v8, v7, v6
	s_delay_alu instid0(VALU_DEP_2) | instskip(NEXT) | instid1(VALU_DEP_2)
	v_fma_f32 v11, -v9, v7, v6
	v_cmp_ge_f32_e64 s3, 0, v10
	s_delay_alu instid0(VALU_DEP_1) | instskip(NEXT) | instid1(VALU_DEP_3)
	v_cndmask_b32_e64 v7, v7, v8, s3
	v_cmp_lt_f32_e64 s3, 0, v11
	s_delay_alu instid0(VALU_DEP_1) | instskip(NEXT) | instid1(VALU_DEP_1)
	v_cndmask_b32_e64 v7, v7, v9, s3
	v_mul_f32_e32 v8, 0x37800000, v7
	s_delay_alu instid0(VALU_DEP_1) | instskip(SKIP_1) | instid1(VALU_DEP_2)
	v_cndmask_b32_e32 v7, v7, v8, vcc_lo
	v_cmp_class_f32_e64 vcc_lo, v6, 0x260
	v_cndmask_b32_e32 v6, v7, v6, vcc_lo
	s_and_not1_b32 vcc_lo, exec_lo, s16
	ds_store_b32 v5, v6
	s_cbranch_vccnz .LBB170_7
; %bb.9:                                ;   in Loop: Header=BB170_8 Depth=1
	v_add_co_u32 v2, vcc_lo, s6, v2
	v_add_co_ci_u32_e32 v3, vcc_lo, s7, v3, vcc_lo
	global_load_u16 v2, v[2:3], off
	s_waitcnt vmcnt(0)
	v_cvt_f32_f16_e32 v2, v2
	s_delay_alu instid0(VALU_DEP_1)
	v_add_f32_e32 v2, v6, v2
	ds_store_b32 v5, v2
	s_branch .LBB170_7
.LBB170_10:
	s_or_b32 exec_lo, exec_lo, s14
	s_cmp_lt_i32 s13, 1
	s_waitcnt lgkmcnt(0)
	s_barrier
	buffer_gl0_inv
	s_cbranch_scc1 .LBB170_19
; %bb.11:
	s_add_u32 s4, s0, 56
	s_addc_u32 s5, s1, 0
	v_dual_mov_b32 v3, 0 :: v_dual_mov_b32 v2, 0
	v_mov_b32_e32 v1, 0
	v_mov_b32_e32 v5, 0xff800000
	s_cmp_lg_u64 s[6:7], 0
	s_mov_b32 s14, 0
	s_cselect_b32 s3, -1, 0
	s_mov_b32 s18, 0x76543210
	s_branch .LBB170_13
.LBB170_12:                             ;   in Loop: Header=BB170_13 Depth=1
	v_cmp_eq_u32_e32 vcc_lo, s14, v0
	s_delay_alu instid0(VALU_DEP_2)
	s_lshl_b32 s17, s16, 2
	s_add_i32 s14, s14, 1
	s_add_i32 s17, s17, 0
	s_cmp_eq_u32 s14, s13
	v_cndmask_b32_e64 v1, v1, s16, vcc_lo
	v_mov_b32_e32 v6, s17
	v_cndmask_b32_e32 v2, v2, v8, vcc_lo
	ds_store_b32 v6, v5
	s_cbranch_scc1 .LBB170_20
.LBB170_13:                             ; =>This Loop Header: Depth=1
                                        ;     Child Loop BB170_15 Depth 2
	v_dual_mov_b32 v6, s14 :: v_dual_mov_b32 v7, 0xff800000
	s_and_saveexec_b32 s16, s2
	s_cbranch_execz .LBB170_17
; %bb.14:                               ;   in Loop: Header=BB170_13 Depth=1
	s_load_b32 s17, s[4:5], 0xc
	v_dual_mov_b32 v6, s14 :: v_dual_mov_b32 v7, 0xff800000
	v_mov_b32_e32 v8, v4
	v_mov_b32_e32 v9, v0
	s_mov_b32 s19, 0
	s_waitcnt lgkmcnt(0)
	s_and_b32 s17, s17, 0xffff
	s_delay_alu instid0(SALU_CYCLE_1)
	s_lshl_b32 s20, s17, 2
.LBB170_15:                             ;   Parent Loop BB170_13 Depth=1
                                        ; =>  This Inner Loop Header: Depth=2
	ds_load_b32 v10, v8
	v_add_nc_u32_e32 v8, s20, v8
	s_waitcnt lgkmcnt(0)
	v_cmp_gt_f32_e32 vcc_lo, v10, v7
	v_dual_cndmask_b32 v7, v7, v10 :: v_dual_cndmask_b32 v6, v6, v9
	v_add_nc_u32_e32 v9, s17, v9
	s_delay_alu instid0(VALU_DEP_1) | instskip(SKIP_1) | instid1(SALU_CYCLE_1)
	v_cmp_le_i32_e32 vcc_lo, s12, v9
	s_or_b32 s19, vcc_lo, s19
	s_and_not1_b32 exec_lo, exec_lo, s19
	s_cbranch_execnz .LBB170_15
; %bb.16:                               ;   in Loop: Header=BB170_13 Depth=1
	s_or_b32 exec_lo, exec_lo, s19
.LBB170_17:                             ;   in Loop: Header=BB170_13 Depth=1
	s_delay_alu instid0(SALU_CYCLE_1)
	s_or_b32 exec_lo, exec_lo, s16
	;;#ASMSTART
	v_max_f32 v8, v7, v7 quad_perm:[1,0,3,2] row_mask:0xf bank_mask:0xf bound_ctrl:1
	;;#ASMEND
	;;#ASMSTART
	v_max_f32 v9, v8, v8 quad_perm:[2,3,0,1] row_mask:0xf bank_mask:0xf bound_ctrl:1
	;;#ASMEND
	;;#ASMSTART
	v_max_f32 v8, v9, v9 row_half_mirror row_mask:0xf bank_mask:0xf bound_ctrl:1
	;;#ASMEND
	;;#ASMSTART
	v_max_f32 v9, v8, v8 row_mirror row_mask:0xf bank_mask:0xf bound_ctrl:1
	;;#ASMEND
	v_permlanex16_b32 v8, v9, s18, 0xfedcba98 op_sel:[1,1]
	s_delay_alu instid0(VALU_DEP_1) | instskip(NEXT) | instid1(VALU_DEP_1)
	v_dual_max_f32 v9, v9, v9 :: v_dual_max_f32 v8, v8, v8
	v_max_f32_e32 v8, v9, v8
	s_delay_alu instid0(VALU_DEP_1)
	v_cmp_eq_f32_e32 vcc_lo, v7, v8
	s_ctz_i32_b32 s16, vcc_lo
	s_cmp_lg_u32 vcc_lo, 0
	s_cselect_b32 s16, s16, 0
	s_and_b32 vcc_lo, exec_lo, s3
	v_readlane_b32 s16, v6, s16
	s_cbranch_vccz .LBB170_12
; %bb.18:                               ;   in Loop: Header=BB170_13 Depth=1
	s_delay_alu instid0(VALU_DEP_1) | instskip(NEXT) | instid1(SALU_CYCLE_1)
	s_ashr_i32 s17, s16, 31
	s_lshl_b64 s[20:21], s[16:17], 1
	s_delay_alu instid0(SALU_CYCLE_1) | instskip(SKIP_4) | instid1(VALU_DEP_1)
	s_add_u32 s20, s6, s20
	s_addc_u32 s21, s7, s21
	global_load_u16 v6, v3, s[20:21]
	s_waitcnt vmcnt(0)
	v_cvt_f32_f16_e32 v6, v6
	v_sub_f32_e32 v8, v8, v6
	s_branch .LBB170_12
.LBB170_19:
	v_dual_mov_b32 v2, 0 :: v_dual_mov_b32 v1, 0
.LBB170_20:
	s_mov_b32 s2, exec_lo
	v_cmpx_gt_i32_e64 s13, v0
	s_cbranch_execz .LBB170_23
; %bb.21:
	s_clause 0x2
	s_load_b32 s4, s[0:1], 0x34
	s_load_b64 s[2:3], s[0:1], 0x20
	s_load_b32 s0, s[0:1], 0x44
	s_ashr_i32 s1, s15, 31
	s_waitcnt lgkmcnt(0)
	v_mul_f32_e32 v2, s4, v2
	s_mul_i32 s3, s15, s3
	s_mul_hi_u32 s4, s15, s2
	s_mul_i32 s5, s1, s2
	s_add_i32 s3, s4, s3
	s_mul_i32 s1, s15, s2
	s_and_b32 s2, s0, 0xffff
	s_add_i32 s3, s3, s5
	s_mov_b32 s4, 0
	.p2align	6
.LBB170_22:                             ; =>This Inner Loop Header: Depth=1
	v_ashrrev_i32_e32 v4, 31, v0
	v_add_co_u32 v3, vcc_lo, s1, v0
	v_add_nc_u32_e32 v0, s2, v0
	s_delay_alu instid0(VALU_DEP_3) | instskip(NEXT) | instid1(VALU_DEP_2)
	v_add_co_ci_u32_e32 v4, vcc_lo, s3, v4, vcc_lo
	v_cmp_le_i32_e32 vcc_lo, s13, v0
	s_delay_alu instid0(VALU_DEP_2) | instskip(SKIP_1) | instid1(VALU_DEP_1)
	v_lshlrev_b64 v[3:4], 2, v[3:4]
	s_or_b32 s4, vcc_lo, s4
	v_add_co_u32 v5, s0, s8, v3
	s_delay_alu instid0(VALU_DEP_1) | instskip(SKIP_1) | instid1(VALU_DEP_1)
	v_add_co_ci_u32_e64 v6, s0, s9, v4, s0
	v_add_co_u32 v3, s0, s10, v3
	v_add_co_ci_u32_e64 v4, s0, s11, v4, s0
	global_store_b32 v[5:6], v2, off
	global_store_b32 v[3:4], v1, off
	s_and_not1_b32 exec_lo, exec_lo, s4
	s_cbranch_execnz .LBB170_22
.LBB170_23:
	s_nop 0
	s_sendmsg sendmsg(MSG_DEALLOC_VGPRS)
	s_endpgm
	.section	.rodata,"a",@progbits
	.p2align	6, 0x0
	.amdhsa_kernel _ZN5aiter20topk_softplus_kernelI6__halfS1_Dv1_fLb0ELi0EEEvPKT_PKT0_PfPimiiif
		.amdhsa_group_segment_fixed_size 0
		.amdhsa_private_segment_fixed_size 0
		.amdhsa_kernarg_size 312
		.amdhsa_user_sgpr_count 15
		.amdhsa_user_sgpr_dispatch_ptr 0
		.amdhsa_user_sgpr_queue_ptr 0
		.amdhsa_user_sgpr_kernarg_segment_ptr 1
		.amdhsa_user_sgpr_dispatch_id 0
		.amdhsa_user_sgpr_private_segment_size 0
		.amdhsa_wavefront_size32 1
		.amdhsa_uses_dynamic_stack 0
		.amdhsa_enable_private_segment 0
		.amdhsa_system_sgpr_workgroup_id_x 1
		.amdhsa_system_sgpr_workgroup_id_y 0
		.amdhsa_system_sgpr_workgroup_id_z 0
		.amdhsa_system_sgpr_workgroup_info 0
		.amdhsa_system_vgpr_workitem_id 0
		.amdhsa_next_free_vgpr 12
		.amdhsa_next_free_sgpr 22
		.amdhsa_reserve_vcc 1
		.amdhsa_float_round_mode_32 0
		.amdhsa_float_round_mode_16_64 0
		.amdhsa_float_denorm_mode_32 3
		.amdhsa_float_denorm_mode_16_64 3
		.amdhsa_dx10_clamp 1
		.amdhsa_ieee_mode 1
		.amdhsa_fp16_overflow 0
		.amdhsa_workgroup_processor_mode 1
		.amdhsa_memory_ordered 1
		.amdhsa_forward_progress 0
		.amdhsa_shared_vgpr_count 0
		.amdhsa_exception_fp_ieee_invalid_op 0
		.amdhsa_exception_fp_denorm_src 0
		.amdhsa_exception_fp_ieee_div_zero 0
		.amdhsa_exception_fp_ieee_overflow 0
		.amdhsa_exception_fp_ieee_underflow 0
		.amdhsa_exception_fp_ieee_inexact 0
		.amdhsa_exception_int_div_zero 0
	.end_amdhsa_kernel
	.section	.text._ZN5aiter20topk_softplus_kernelI6__halfS1_Dv1_fLb0ELi0EEEvPKT_PKT0_PfPimiiif,"axG",@progbits,_ZN5aiter20topk_softplus_kernelI6__halfS1_Dv1_fLb0ELi0EEEvPKT_PKT0_PfPimiiif,comdat
.Lfunc_end170:
	.size	_ZN5aiter20topk_softplus_kernelI6__halfS1_Dv1_fLb0ELi0EEEvPKT_PKT0_PfPimiiif, .Lfunc_end170-_ZN5aiter20topk_softplus_kernelI6__halfS1_Dv1_fLb0ELi0EEEvPKT_PKT0_PfPimiiif
                                        ; -- End function
	.section	.AMDGPU.csdata,"",@progbits
; Kernel info:
; codeLenInByte = 1740
; NumSgprs: 24
; NumVgprs: 12
; ScratchSize: 0
; MemoryBound: 0
; FloatMode: 240
; IeeeMode: 1
; LDSByteSize: 0 bytes/workgroup (compile time only)
; SGPRBlocks: 2
; VGPRBlocks: 1
; NumSGPRsForWavesPerEU: 24
; NumVGPRsForWavesPerEU: 12
; Occupancy: 16
; WaveLimiterHint : 0
; COMPUTE_PGM_RSRC2:SCRATCH_EN: 0
; COMPUTE_PGM_RSRC2:USER_SGPR: 15
; COMPUTE_PGM_RSRC2:TRAP_HANDLER: 0
; COMPUTE_PGM_RSRC2:TGID_X_EN: 1
; COMPUTE_PGM_RSRC2:TGID_Y_EN: 0
; COMPUTE_PGM_RSRC2:TGID_Z_EN: 0
; COMPUTE_PGM_RSRC2:TIDIG_COMP_CNT: 0
	.section	.text._ZN5aiter24topk_softplus_kernel_optI6__half12hip_bfloat16Li64ELb1ELi1EEEvPKT_PKT0_PfPimiif,"axG",@progbits,_ZN5aiter24topk_softplus_kernel_optI6__half12hip_bfloat16Li64ELb1ELi1EEEvPKT_PKT0_PfPimiif,comdat
	.protected	_ZN5aiter24topk_softplus_kernel_optI6__half12hip_bfloat16Li64ELb1ELi1EEEvPKT_PKT0_PfPimiif ; -- Begin function _ZN5aiter24topk_softplus_kernel_optI6__half12hip_bfloat16Li64ELb1ELi1EEEvPKT_PKT0_PfPimiif
	.globl	_ZN5aiter24topk_softplus_kernel_optI6__half12hip_bfloat16Li64ELb1ELi1EEEvPKT_PKT0_PfPimiif
	.p2align	8
	.type	_ZN5aiter24topk_softplus_kernel_optI6__half12hip_bfloat16Li64ELb1ELi1EEEvPKT_PKT0_PfPimiif,@function
_ZN5aiter24topk_softplus_kernel_optI6__half12hip_bfloat16Li64ELb1ELi1EEEvPKT_PKT0_PfPimiif: ; @_ZN5aiter24topk_softplus_kernel_optI6__half12hip_bfloat16Li64ELb1ELi1EEEvPKT_PKT0_PfPimiif
; %bb.0:
	s_load_b128 s[4:7], s[0:1], 0x0
	s_lshl_b32 s2, s15, 6
	v_lshlrev_b32_e32 v3, 1, v0
	s_ashr_i32 s3, s2, 31
	s_delay_alu instid0(SALU_CYCLE_1)
	s_lshl_b64 s[2:3], s[2:3], 1
	s_waitcnt lgkmcnt(0)
	s_add_u32 s4, s4, s2
	s_addc_u32 s5, s5, s3
	s_mov_b32 s3, 0xbfb8aa3b
	global_load_u16 v1, v3, s[4:5]
	s_cmp_lg_u64 s[6:7], 0
	s_cselect_b32 s2, -1, 0
	s_waitcnt vmcnt(0)
	v_cvt_f32_f16_e32 v2, v1
	s_delay_alu instid0(VALU_DEP_1) | instskip(NEXT) | instid1(VALU_DEP_1)
	v_mul_f32_e32 v2, 0xbfb8aa3b, v2
	v_cmp_gt_f32_e32 vcc_lo, 0xc2fc0000, v2
	v_cndmask_b32_e64 v2, 0, 0x42800000, vcc_lo
	s_delay_alu instid0(VALU_DEP_1) | instskip(SKIP_2) | instid1(VALU_DEP_2)
	v_fma_mix_f32 v1, v1, s3, v2 op_sel_hi:[1,0,0]
	v_cndmask_b32_e64 v2, 1.0, 0x1f800000, vcc_lo
	s_and_b32 vcc_lo, exec_lo, s2
	v_exp_f32_e32 v1, v1
	s_waitcnt_depctr 0xfff
	v_fma_f32 v1, v1, v2, 1.0
	s_delay_alu instid0(VALU_DEP_1) | instskip(SKIP_1) | instid1(VALU_DEP_1)
	v_rcp_f32_e32 v9, v1
	v_add_co_u32 v1, s4, s4, v3
	v_add_co_ci_u32_e64 v2, null, s5, 0, s4
	s_waitcnt_depctr 0xfff
	v_mov_b32_e32 v7, v9
	s_cbranch_vccz .LBB171_2
; %bb.1:
	global_load_u16 v4, v3, s[6:7]
	s_waitcnt vmcnt(0)
	v_lshlrev_b32_e32 v4, 16, v4
	s_delay_alu instid0(VALU_DEP_1)
	v_add_f32_e32 v7, v9, v4
.LBB171_2:
	global_load_u16 v1, v[1:2], off offset:64
	s_waitcnt vmcnt(0)
	v_cvt_f32_f16_e32 v2, v1
	s_delay_alu instid0(VALU_DEP_1) | instskip(NEXT) | instid1(VALU_DEP_1)
	v_mul_f32_e32 v2, 0xbfb8aa3b, v2
	v_cmp_gt_f32_e32 vcc_lo, 0xc2fc0000, v2
	v_cndmask_b32_e64 v4, 0, 0x42800000, vcc_lo
	v_cndmask_b32_e64 v2, 1.0, 0x1f800000, vcc_lo
	s_and_not1_b32 vcc_lo, exec_lo, s2
	s_delay_alu instid0(VALU_DEP_2) | instskip(NEXT) | instid1(VALU_DEP_1)
	v_fma_mix_f32 v1, v1, s3, v4 op_sel_hi:[1,0,0]
	v_exp_f32_e32 v1, v1
	s_waitcnt_depctr 0xfff
	v_fma_f32 v1, v1, v2, 1.0
	s_delay_alu instid0(VALU_DEP_1)
	v_rcp_f32_e32 v10, v1
	s_waitcnt_depctr 0xfff
	v_mov_b32_e32 v8, v10
	s_cbranch_vccnz .LBB171_4
; %bb.3:
	global_load_u16 v1, v3, s[6:7] offset:64
	s_waitcnt vmcnt(0)
	v_lshlrev_b32_e32 v1, 16, v1
	s_delay_alu instid0(VALU_DEP_1)
	v_add_f32_e32 v8, v10, v1
.LBB171_4:
	s_clause 0x1
	s_load_b32 s8, s[0:1], 0x28
	s_load_b128 s[4:7], s[0:1], 0x10
	v_dual_mov_b32 v3, 0 :: v_dual_mov_b32 v2, 0
	v_mov_b32_e32 v1, 0
	s_waitcnt lgkmcnt(0)
	s_cmp_gt_i32 s8, 0
	s_cbranch_scc0 .LBB171_7
; %bb.5:
	v_cmp_lt_f32_e32 vcc_lo, v7, v8
	v_add_nc_u32_e32 v1, 32, v0
	v_dual_mov_b32 v3, 0 :: v_dual_mov_b32 v2, 0
	v_mov_b32_e32 v11, v0
	v_cndmask_b32_e32 v6, v8, v7, vcc_lo
	s_delay_alu instid0(VALU_DEP_4)
	v_dual_cndmask_b32 v4, v1, v0 :: v_dual_cndmask_b32 v5, v0, v1
	v_dual_cndmask_b32 v7, v7, v8 :: v_dual_cndmask_b32 v8, v10, v9
	v_dual_cndmask_b32 v9, v9, v10 :: v_dual_mov_b32 v10, 0
	v_mov_b32_e32 v1, 0
	s_mov_b32 s9, 0x76543210
	s_mov_b32 s10, s8
.LBB171_6:                              ; =>This Inner Loop Header: Depth=1
	s_delay_alu instid0(VALU_DEP_2) | instskip(SKIP_2) | instid1(VALU_DEP_1)
	v_cmp_eq_u32_e32 vcc_lo, 1, v10
	v_cmp_gt_u32_e64 s2, 2, v10
	v_dual_cndmask_b32 v12, v7, v6 :: v_dual_cndmask_b32 v13, v5, v4
	v_cndmask_b32_e64 v12, 0xff800000, v12, s2
	;;#ASMSTART
	v_max_f32 v15, v12, v12 quad_perm:[1,0,3,2] row_mask:0xf bank_mask:0xf bound_ctrl:1
	;;#ASMEND
	;;#ASMSTART
	v_max_f32 v16, v15, v15 quad_perm:[2,3,0,1] row_mask:0xf bank_mask:0xf bound_ctrl:1
	;;#ASMEND
	;;#ASMSTART
	v_max_f32 v15, v16, v16 row_half_mirror row_mask:0xf bank_mask:0xf bound_ctrl:1
	;;#ASMEND
	;;#ASMSTART
	v_max_f32 v16, v15, v15 row_mirror row_mask:0xf bank_mask:0xf bound_ctrl:1
	;;#ASMEND
	v_permlanex16_b32 v15, v16, s9, 0xfedcba98 op_sel:[1,1]
	v_max_f32_e32 v16, v16, v16
	v_cndmask_b32_e64 v14, 0, v13, s2
	s_delay_alu instid0(VALU_DEP_3) | instskip(NEXT) | instid1(VALU_DEP_1)
	v_max_f32_e32 v15, v15, v15
	v_max_f32_e32 v15, v16, v15
	s_delay_alu instid0(VALU_DEP_1) | instskip(SKIP_1) | instid1(VALU_DEP_2)
	v_cmp_eq_f32_e64 s3, v12, v15
	v_cndmask_b32_e32 v12, v9, v8, vcc_lo
	s_ctz_i32_b32 s11, s3
	s_cmp_lg_u32 s3, 0
	s_cselect_b32 s3, s11, 0
	s_add_i32 s10, s10, -1
	v_readlane_b32 s3, v14, s3
	s_delay_alu instid0(VALU_DEP_1)
	v_cmp_eq_u32_e32 vcc_lo, s3, v13
	s_and_b32 vcc_lo, s2, vcc_lo
	s_and_b32 s2, s3, 31
	v_cndmask_b32_e32 v12, 0, v12, vcc_lo
	v_add_co_ci_u32_e32 v10, vcc_lo, 0, v10, vcc_lo
	s_cmp_eq_u32 s10, 0
	s_delay_alu instid0(VALU_DEP_2) | instskip(SKIP_2) | instid1(VALU_DEP_3)
	v_readlane_b32 s11, v12, s2
	v_cmp_eq_u32_e64 s2, 0, v11
	v_add_nc_u32_e32 v11, -1, v11
	v_add_f32_e32 v3, s11, v3
	s_delay_alu instid0(VALU_DEP_3)
	v_cndmask_b32_e64 v2, v2, s11, s2
	v_cndmask_b32_e64 v1, v1, s3, s2
	s_cbranch_scc0 .LBB171_6
.LBB171_7:
	s_mov_b32 s2, exec_lo
	v_cmpx_gt_i32_e64 s8, v0
	s_cbranch_execz .LBB171_9
; %bb.8:
	s_load_b32 s2, s[0:1], 0x30
	v_max_f32_e32 v3, v3, v3
	s_load_b64 s[0:1], s[0:1], 0x20
	s_ashr_i32 s3, s15, 31
	s_delay_alu instid0(VALU_DEP_1) | instskip(SKIP_1) | instid1(VALU_DEP_1)
	v_dual_max_f32 v3, 0x1e3ce508, v3 :: v_dual_lshlrev_b32 v0, 2, v0
	s_waitcnt lgkmcnt(0)
	v_div_scale_f32 v4, null, v3, v3, s2
	v_div_scale_f32 v7, vcc_lo, s2, v3, s2
	s_mul_i32 s1, s15, s1
	s_delay_alu instid0(VALU_DEP_2)
	v_rcp_f32_e32 v5, v4
	s_mul_hi_u32 s8, s15, s0
	s_mul_i32 s3, s3, s0
	s_add_i32 s1, s8, s1
	s_mul_i32 s0, s15, s0
	s_add_i32 s1, s1, s3
	s_delay_alu instid0(SALU_CYCLE_1) | instskip(SKIP_2) | instid1(VALU_DEP_1)
	s_lshl_b64 s[0:1], s[0:1], 2
	s_waitcnt_depctr 0xfff
	v_fma_f32 v6, -v4, v5, 1.0
	v_fmac_f32_e32 v5, v6, v5
	s_delay_alu instid0(VALU_DEP_1) | instskip(NEXT) | instid1(VALU_DEP_1)
	v_mul_f32_e32 v6, v7, v5
	v_fma_f32 v8, -v4, v6, v7
	s_delay_alu instid0(VALU_DEP_1) | instskip(NEXT) | instid1(VALU_DEP_1)
	v_fmac_f32_e32 v6, v8, v5
	v_fma_f32 v4, -v4, v6, v7
	s_delay_alu instid0(VALU_DEP_1) | instskip(NEXT) | instid1(VALU_DEP_1)
	v_div_fmas_f32 v4, v4, v5, v6
	v_div_fixup_f32 v3, v4, v3, s2
	s_add_u32 s2, s4, s0
	s_addc_u32 s3, s5, s1
	s_add_u32 s0, s6, s0
	s_addc_u32 s1, s7, s1
	v_mul_f32_e32 v2, v2, v3
	s_clause 0x1
	global_store_b32 v0, v2, s[2:3]
	global_store_b32 v0, v1, s[0:1]
.LBB171_9:
	s_nop 0
	s_sendmsg sendmsg(MSG_DEALLOC_VGPRS)
	s_endpgm
	.section	.rodata,"a",@progbits
	.p2align	6, 0x0
	.amdhsa_kernel _ZN5aiter24topk_softplus_kernel_optI6__half12hip_bfloat16Li64ELb1ELi1EEEvPKT_PKT0_PfPimiif
		.amdhsa_group_segment_fixed_size 0
		.amdhsa_private_segment_fixed_size 0
		.amdhsa_kernarg_size 52
		.amdhsa_user_sgpr_count 15
		.amdhsa_user_sgpr_dispatch_ptr 0
		.amdhsa_user_sgpr_queue_ptr 0
		.amdhsa_user_sgpr_kernarg_segment_ptr 1
		.amdhsa_user_sgpr_dispatch_id 0
		.amdhsa_user_sgpr_private_segment_size 0
		.amdhsa_wavefront_size32 1
		.amdhsa_uses_dynamic_stack 0
		.amdhsa_enable_private_segment 0
		.amdhsa_system_sgpr_workgroup_id_x 1
		.amdhsa_system_sgpr_workgroup_id_y 0
		.amdhsa_system_sgpr_workgroup_id_z 0
		.amdhsa_system_sgpr_workgroup_info 0
		.amdhsa_system_vgpr_workitem_id 0
		.amdhsa_next_free_vgpr 17
		.amdhsa_next_free_sgpr 16
		.amdhsa_reserve_vcc 1
		.amdhsa_float_round_mode_32 0
		.amdhsa_float_round_mode_16_64 0
		.amdhsa_float_denorm_mode_32 3
		.amdhsa_float_denorm_mode_16_64 3
		.amdhsa_dx10_clamp 1
		.amdhsa_ieee_mode 1
		.amdhsa_fp16_overflow 0
		.amdhsa_workgroup_processor_mode 1
		.amdhsa_memory_ordered 1
		.amdhsa_forward_progress 0
		.amdhsa_shared_vgpr_count 0
		.amdhsa_exception_fp_ieee_invalid_op 0
		.amdhsa_exception_fp_denorm_src 0
		.amdhsa_exception_fp_ieee_div_zero 0
		.amdhsa_exception_fp_ieee_overflow 0
		.amdhsa_exception_fp_ieee_underflow 0
		.amdhsa_exception_fp_ieee_inexact 0
		.amdhsa_exception_int_div_zero 0
	.end_amdhsa_kernel
	.section	.text._ZN5aiter24topk_softplus_kernel_optI6__half12hip_bfloat16Li64ELb1ELi1EEEvPKT_PKT0_PfPimiif,"axG",@progbits,_ZN5aiter24topk_softplus_kernel_optI6__half12hip_bfloat16Li64ELb1ELi1EEEvPKT_PKT0_PfPimiif,comdat
.Lfunc_end171:
	.size	_ZN5aiter24topk_softplus_kernel_optI6__half12hip_bfloat16Li64ELb1ELi1EEEvPKT_PKT0_PfPimiif, .Lfunc_end171-_ZN5aiter24topk_softplus_kernel_optI6__half12hip_bfloat16Li64ELb1ELi1EEEvPKT_PKT0_PfPimiif
                                        ; -- End function
	.section	.AMDGPU.csdata,"",@progbits
; Kernel info:
; codeLenInByte = 964
; NumSgprs: 18
; NumVgprs: 17
; ScratchSize: 0
; MemoryBound: 0
; FloatMode: 240
; IeeeMode: 1
; LDSByteSize: 0 bytes/workgroup (compile time only)
; SGPRBlocks: 2
; VGPRBlocks: 2
; NumSGPRsForWavesPerEU: 18
; NumVGPRsForWavesPerEU: 17
; Occupancy: 16
; WaveLimiterHint : 0
; COMPUTE_PGM_RSRC2:SCRATCH_EN: 0
; COMPUTE_PGM_RSRC2:USER_SGPR: 15
; COMPUTE_PGM_RSRC2:TRAP_HANDLER: 0
; COMPUTE_PGM_RSRC2:TGID_X_EN: 1
; COMPUTE_PGM_RSRC2:TGID_Y_EN: 0
; COMPUTE_PGM_RSRC2:TGID_Z_EN: 0
; COMPUTE_PGM_RSRC2:TIDIG_COMP_CNT: 0
	.section	.text._ZN5aiter24topk_softplus_kernel_optI6__half12hip_bfloat16Li64ELb0ELi1EEEvPKT_PKT0_PfPimiif,"axG",@progbits,_ZN5aiter24topk_softplus_kernel_optI6__half12hip_bfloat16Li64ELb0ELi1EEEvPKT_PKT0_PfPimiif,comdat
	.protected	_ZN5aiter24topk_softplus_kernel_optI6__half12hip_bfloat16Li64ELb0ELi1EEEvPKT_PKT0_PfPimiif ; -- Begin function _ZN5aiter24topk_softplus_kernel_optI6__half12hip_bfloat16Li64ELb0ELi1EEEvPKT_PKT0_PfPimiif
	.globl	_ZN5aiter24topk_softplus_kernel_optI6__half12hip_bfloat16Li64ELb0ELi1EEEvPKT_PKT0_PfPimiif
	.p2align	8
	.type	_ZN5aiter24topk_softplus_kernel_optI6__half12hip_bfloat16Li64ELb0ELi1EEEvPKT_PKT0_PfPimiif,@function
_ZN5aiter24topk_softplus_kernel_optI6__half12hip_bfloat16Li64ELb0ELi1EEEvPKT_PKT0_PfPimiif: ; @_ZN5aiter24topk_softplus_kernel_optI6__half12hip_bfloat16Li64ELb0ELi1EEEvPKT_PKT0_PfPimiif
; %bb.0:
	s_load_b128 s[4:7], s[0:1], 0x0
	s_lshl_b32 s2, s15, 6
	v_lshlrev_b32_e32 v3, 1, v0
	s_ashr_i32 s3, s2, 31
	s_delay_alu instid0(SALU_CYCLE_1)
	s_lshl_b64 s[2:3], s[2:3], 1
	s_waitcnt lgkmcnt(0)
	s_add_u32 s4, s4, s2
	s_addc_u32 s5, s5, s3
	s_mov_b32 s3, 0xbfb8aa3b
	global_load_u16 v1, v3, s[4:5]
	s_cmp_lg_u64 s[6:7], 0
	s_cselect_b32 s2, -1, 0
	s_waitcnt vmcnt(0)
	v_cvt_f32_f16_e32 v2, v1
	s_delay_alu instid0(VALU_DEP_1) | instskip(NEXT) | instid1(VALU_DEP_1)
	v_mul_f32_e32 v2, 0xbfb8aa3b, v2
	v_cmp_gt_f32_e32 vcc_lo, 0xc2fc0000, v2
	v_cndmask_b32_e64 v2, 0, 0x42800000, vcc_lo
	s_delay_alu instid0(VALU_DEP_1) | instskip(SKIP_2) | instid1(VALU_DEP_2)
	v_fma_mix_f32 v1, v1, s3, v2 op_sel_hi:[1,0,0]
	v_cndmask_b32_e64 v2, 1.0, 0x1f800000, vcc_lo
	s_and_b32 vcc_lo, exec_lo, s2
	v_exp_f32_e32 v1, v1
	s_waitcnt_depctr 0xfff
	v_fma_f32 v1, v1, v2, 1.0
	s_delay_alu instid0(VALU_DEP_1) | instskip(SKIP_1) | instid1(VALU_DEP_1)
	v_rcp_f32_e32 v8, v1
	v_add_co_u32 v1, s4, s4, v3
	v_add_co_ci_u32_e64 v2, null, s5, 0, s4
	s_waitcnt_depctr 0xfff
	v_mov_b32_e32 v6, v8
	s_cbranch_vccz .LBB172_2
; %bb.1:
	global_load_u16 v4, v3, s[6:7]
	s_waitcnt vmcnt(0)
	v_lshlrev_b32_e32 v4, 16, v4
	s_delay_alu instid0(VALU_DEP_1)
	v_add_f32_e32 v6, v8, v4
.LBB172_2:
	global_load_u16 v1, v[1:2], off offset:64
	s_waitcnt vmcnt(0)
	v_cvt_f32_f16_e32 v2, v1
	s_delay_alu instid0(VALU_DEP_1) | instskip(NEXT) | instid1(VALU_DEP_1)
	v_mul_f32_e32 v2, 0xbfb8aa3b, v2
	v_cmp_gt_f32_e32 vcc_lo, 0xc2fc0000, v2
	v_cndmask_b32_e64 v4, 0, 0x42800000, vcc_lo
	v_cndmask_b32_e64 v2, 1.0, 0x1f800000, vcc_lo
	s_and_not1_b32 vcc_lo, exec_lo, s2
	s_delay_alu instid0(VALU_DEP_2) | instskip(NEXT) | instid1(VALU_DEP_1)
	v_fma_mix_f32 v1, v1, s3, v4 op_sel_hi:[1,0,0]
	v_exp_f32_e32 v1, v1
	s_waitcnt_depctr 0xfff
	v_fma_f32 v1, v1, v2, 1.0
	s_delay_alu instid0(VALU_DEP_1)
	v_rcp_f32_e32 v2, v1
	s_waitcnt_depctr 0xfff
	v_mov_b32_e32 v7, v2
	s_cbranch_vccnz .LBB172_4
; %bb.3:
	global_load_u16 v1, v3, s[6:7] offset:64
	s_waitcnt vmcnt(0)
	v_lshlrev_b32_e32 v1, 16, v1
	s_delay_alu instid0(VALU_DEP_1)
	v_add_f32_e32 v7, v2, v1
.LBB172_4:
	s_clause 0x1
	s_load_b32 s8, s[0:1], 0x28
	s_load_b128 s[4:7], s[0:1], 0x10
	v_mov_b32_e32 v1, 0
	s_waitcnt lgkmcnt(0)
	s_cmp_gt_i32 s8, 0
	s_cbranch_scc0 .LBB172_10
; %bb.5:
	v_cmp_lt_f32_e32 vcc_lo, v6, v7
	v_add_nc_u32_e32 v1, 32, v0
	v_dual_mov_b32 v9, 0 :: v_dual_mov_b32 v10, v0
	s_mov_b32 s9, 0x76543210
	v_dual_cndmask_b32 v5, v7, v6 :: v_dual_cndmask_b32 v6, v6, v7
	s_delay_alu instid0(VALU_DEP_3)
	v_dual_cndmask_b32 v3, v1, v0 :: v_dual_cndmask_b32 v4, v0, v1
	v_dual_cndmask_b32 v7, v2, v8 :: v_dual_cndmask_b32 v8, v8, v2
	v_dual_mov_b32 v2, 0 :: v_dual_mov_b32 v1, 0
	s_mov_b32 s10, s8
.LBB172_6:                              ; =>This Inner Loop Header: Depth=1
	v_cmp_eq_u32_e32 vcc_lo, 1, v9
	v_cmp_gt_u32_e64 s2, 2, v9
	v_cndmask_b32_e32 v11, v6, v5, vcc_lo
	s_delay_alu instid0(VALU_DEP_1)
	v_cndmask_b32_e64 v11, 0xff800000, v11, s2
	;;#ASMSTART
	v_max_f32 v12, v11, v11 quad_perm:[1,0,3,2] row_mask:0xf bank_mask:0xf bound_ctrl:1
	;;#ASMEND
	;;#ASMSTART
	v_max_f32 v13, v12, v12 quad_perm:[2,3,0,1] row_mask:0xf bank_mask:0xf bound_ctrl:1
	;;#ASMEND
	;;#ASMSTART
	v_max_f32 v12, v13, v13 row_half_mirror row_mask:0xf bank_mask:0xf bound_ctrl:1
	;;#ASMEND
	;;#ASMSTART
	v_max_f32 v13, v12, v12 row_mirror row_mask:0xf bank_mask:0xf bound_ctrl:1
	;;#ASMEND
	v_permlanex16_b32 v12, v13, s9, 0xfedcba98 op_sel:[1,1]
	s_delay_alu instid0(VALU_DEP_1) | instskip(NEXT) | instid1(VALU_DEP_1)
	v_dual_max_f32 v13, v13, v13 :: v_dual_max_f32 v12, v12, v12
	v_dual_max_f32 v12, v13, v12 :: v_dual_cndmask_b32 v13, v4, v3
	s_delay_alu instid0(VALU_DEP_1) | instskip(NEXT) | instid1(VALU_DEP_2)
	v_cmp_eq_f32_e64 s3, v11, v12
	v_cndmask_b32_e64 v11, 0, v13, s2
	s_delay_alu instid0(VALU_DEP_2)
	s_ctz_i32_b32 s11, s3
	s_cmp_lg_u32 s3, 0
	s_cselect_b32 s3, s11, 0
	s_add_i32 s10, s10, -1
	v_readlane_b32 s3, v11, s3
	v_cndmask_b32_e32 v11, v8, v7, vcc_lo
	s_delay_alu instid0(VALU_DEP_2) | instskip(SKIP_2) | instid1(VALU_DEP_2)
	v_cmp_eq_u32_e32 vcc_lo, s3, v13
	s_and_b32 vcc_lo, s2, vcc_lo
	s_and_b32 s2, s3, 31
	v_cndmask_b32_e32 v11, 0, v11, vcc_lo
	v_add_co_ci_u32_e32 v9, vcc_lo, 0, v9, vcc_lo
	s_cmp_eq_u32 s10, 0
	s_delay_alu instid0(VALU_DEP_2) | instskip(SKIP_2) | instid1(VALU_DEP_2)
	v_readlane_b32 s11, v11, s2
	v_cmp_eq_u32_e64 s2, 0, v10
	v_add_nc_u32_e32 v10, -1, v10
	v_cndmask_b32_e64 v2, v2, s11, s2
	v_cndmask_b32_e64 v1, v1, s3, s2
	s_cbranch_scc0 .LBB172_6
; %bb.7:
	s_mov_b32 s2, exec_lo
	v_cmpx_gt_i32_e64 s8, v0
	s_cbranch_execz .LBB172_9
.LBB172_8:
	s_clause 0x1
	s_load_b64 s[2:3], s[0:1], 0x20
	s_load_b32 s8, s[0:1], 0x30
	s_ashr_i32 s0, s15, 31
	v_lshlrev_b32_e32 v0, 2, v0
	s_waitcnt lgkmcnt(0)
	s_mul_i32 s1, s15, s3
	s_mul_hi_u32 s3, s15, s2
	s_mul_i32 s0, s0, s2
	s_add_i32 s1, s3, s1
	v_mul_f32_e32 v2, s8, v2
	s_add_i32 s1, s1, s0
	s_mul_i32 s0, s15, s2
	s_delay_alu instid0(SALU_CYCLE_1) | instskip(NEXT) | instid1(SALU_CYCLE_1)
	s_lshl_b64 s[0:1], s[0:1], 2
	s_add_u32 s2, s4, s0
	s_addc_u32 s3, s5, s1
	s_add_u32 s0, s6, s0
	s_addc_u32 s1, s7, s1
	s_clause 0x1
	global_store_b32 v0, v2, s[2:3]
	global_store_b32 v0, v1, s[0:1]
.LBB172_9:
	s_nop 0
	s_sendmsg sendmsg(MSG_DEALLOC_VGPRS)
	s_endpgm
.LBB172_10:
	v_mov_b32_e32 v2, 0
	s_mov_b32 s2, exec_lo
	v_cmpx_gt_i32_e64 s8, v0
	s_cbranch_execnz .LBB172_8
	s_branch .LBB172_9
	.section	.rodata,"a",@progbits
	.p2align	6, 0x0
	.amdhsa_kernel _ZN5aiter24topk_softplus_kernel_optI6__half12hip_bfloat16Li64ELb0ELi1EEEvPKT_PKT0_PfPimiif
		.amdhsa_group_segment_fixed_size 0
		.amdhsa_private_segment_fixed_size 0
		.amdhsa_kernarg_size 52
		.amdhsa_user_sgpr_count 15
		.amdhsa_user_sgpr_dispatch_ptr 0
		.amdhsa_user_sgpr_queue_ptr 0
		.amdhsa_user_sgpr_kernarg_segment_ptr 1
		.amdhsa_user_sgpr_dispatch_id 0
		.amdhsa_user_sgpr_private_segment_size 0
		.amdhsa_wavefront_size32 1
		.amdhsa_uses_dynamic_stack 0
		.amdhsa_enable_private_segment 0
		.amdhsa_system_sgpr_workgroup_id_x 1
		.amdhsa_system_sgpr_workgroup_id_y 0
		.amdhsa_system_sgpr_workgroup_id_z 0
		.amdhsa_system_sgpr_workgroup_info 0
		.amdhsa_system_vgpr_workitem_id 0
		.amdhsa_next_free_vgpr 14
		.amdhsa_next_free_sgpr 16
		.amdhsa_reserve_vcc 1
		.amdhsa_float_round_mode_32 0
		.amdhsa_float_round_mode_16_64 0
		.amdhsa_float_denorm_mode_32 3
		.amdhsa_float_denorm_mode_16_64 3
		.amdhsa_dx10_clamp 1
		.amdhsa_ieee_mode 1
		.amdhsa_fp16_overflow 0
		.amdhsa_workgroup_processor_mode 1
		.amdhsa_memory_ordered 1
		.amdhsa_forward_progress 0
		.amdhsa_shared_vgpr_count 0
		.amdhsa_exception_fp_ieee_invalid_op 0
		.amdhsa_exception_fp_denorm_src 0
		.amdhsa_exception_fp_ieee_div_zero 0
		.amdhsa_exception_fp_ieee_overflow 0
		.amdhsa_exception_fp_ieee_underflow 0
		.amdhsa_exception_fp_ieee_inexact 0
		.amdhsa_exception_int_div_zero 0
	.end_amdhsa_kernel
	.section	.text._ZN5aiter24topk_softplus_kernel_optI6__half12hip_bfloat16Li64ELb0ELi1EEEvPKT_PKT0_PfPimiif,"axG",@progbits,_ZN5aiter24topk_softplus_kernel_optI6__half12hip_bfloat16Li64ELb0ELi1EEEvPKT_PKT0_PfPimiif,comdat
.Lfunc_end172:
	.size	_ZN5aiter24topk_softplus_kernel_optI6__half12hip_bfloat16Li64ELb0ELi1EEEvPKT_PKT0_PfPimiif, .Lfunc_end172-_ZN5aiter24topk_softplus_kernel_optI6__half12hip_bfloat16Li64ELb0ELi1EEEvPKT_PKT0_PfPimiif
                                        ; -- End function
	.section	.AMDGPU.csdata,"",@progbits
; Kernel info:
; codeLenInByte = 868
; NumSgprs: 18
; NumVgprs: 14
; ScratchSize: 0
; MemoryBound: 0
; FloatMode: 240
; IeeeMode: 1
; LDSByteSize: 0 bytes/workgroup (compile time only)
; SGPRBlocks: 2
; VGPRBlocks: 1
; NumSGPRsForWavesPerEU: 18
; NumVGPRsForWavesPerEU: 14
; Occupancy: 16
; WaveLimiterHint : 0
; COMPUTE_PGM_RSRC2:SCRATCH_EN: 0
; COMPUTE_PGM_RSRC2:USER_SGPR: 15
; COMPUTE_PGM_RSRC2:TRAP_HANDLER: 0
; COMPUTE_PGM_RSRC2:TGID_X_EN: 1
; COMPUTE_PGM_RSRC2:TGID_Y_EN: 0
; COMPUTE_PGM_RSRC2:TGID_Z_EN: 0
; COMPUTE_PGM_RSRC2:TIDIG_COMP_CNT: 0
	.section	.text._ZN5aiter24topk_softplus_kernel_optI6__half12hip_bfloat16Li128ELb1ELi1EEEvPKT_PKT0_PfPimiif,"axG",@progbits,_ZN5aiter24topk_softplus_kernel_optI6__half12hip_bfloat16Li128ELb1ELi1EEEvPKT_PKT0_PfPimiif,comdat
	.protected	_ZN5aiter24topk_softplus_kernel_optI6__half12hip_bfloat16Li128ELb1ELi1EEEvPKT_PKT0_PfPimiif ; -- Begin function _ZN5aiter24topk_softplus_kernel_optI6__half12hip_bfloat16Li128ELb1ELi1EEEvPKT_PKT0_PfPimiif
	.globl	_ZN5aiter24topk_softplus_kernel_optI6__half12hip_bfloat16Li128ELb1ELi1EEEvPKT_PKT0_PfPimiif
	.p2align	8
	.type	_ZN5aiter24topk_softplus_kernel_optI6__half12hip_bfloat16Li128ELb1ELi1EEEvPKT_PKT0_PfPimiif,@function
_ZN5aiter24topk_softplus_kernel_optI6__half12hip_bfloat16Li128ELb1ELi1EEEvPKT_PKT0_PfPimiif: ; @_ZN5aiter24topk_softplus_kernel_optI6__half12hip_bfloat16Li128ELb1ELi1EEEvPKT_PKT0_PfPimiif
; %bb.0:
	s_load_b128 s[4:7], s[0:1], 0x0
	s_lshl_b32 s2, s15, 7
	v_lshlrev_b32_e32 v3, 1, v0
	s_ashr_i32 s3, s2, 31
	s_delay_alu instid0(SALU_CYCLE_1)
	s_lshl_b64 s[2:3], s[2:3], 1
	s_waitcnt lgkmcnt(0)
	s_add_u32 s4, s4, s2
	s_addc_u32 s5, s5, s3
	s_mov_b32 s3, 0xbfb8aa3b
	global_load_u16 v1, v3, s[4:5]
	s_cmp_lg_u64 s[6:7], 0
	s_cselect_b32 s2, -1, 0
	s_waitcnt vmcnt(0)
	v_cvt_f32_f16_e32 v2, v1
	s_delay_alu instid0(VALU_DEP_1) | instskip(NEXT) | instid1(VALU_DEP_1)
	v_mul_f32_e32 v2, 0xbfb8aa3b, v2
	v_cmp_gt_f32_e32 vcc_lo, 0xc2fc0000, v2
	v_cndmask_b32_e64 v2, 0, 0x42800000, vcc_lo
	s_delay_alu instid0(VALU_DEP_1) | instskip(SKIP_2) | instid1(VALU_DEP_2)
	v_fma_mix_f32 v1, v1, s3, v2 op_sel_hi:[1,0,0]
	v_cndmask_b32_e64 v2, 1.0, 0x1f800000, vcc_lo
	s_and_b32 vcc_lo, exec_lo, s2
	v_exp_f32_e32 v1, v1
	s_waitcnt_depctr 0xfff
	v_fma_f32 v1, v1, v2, 1.0
	s_delay_alu instid0(VALU_DEP_1) | instskip(SKIP_1) | instid1(VALU_DEP_1)
	v_rcp_f32_e32 v5, v1
	v_add_co_u32 v1, s4, s4, v3
	v_add_co_ci_u32_e64 v2, null, s5, 0, s4
	s_waitcnt_depctr 0xfff
	v_mov_b32_e32 v10, v5
	s_cbranch_vccz .LBB173_2
; %bb.1:
	global_load_u16 v4, v3, s[6:7]
	s_waitcnt vmcnt(0)
	v_lshlrev_b32_e32 v4, 16, v4
	s_delay_alu instid0(VALU_DEP_1)
	v_add_f32_e32 v10, v5, v4
.LBB173_2:
	global_load_u16 v4, v[1:2], off offset:64
	s_waitcnt vmcnt(0)
	v_cvt_f32_f16_e32 v6, v4
	s_delay_alu instid0(VALU_DEP_1) | instskip(NEXT) | instid1(VALU_DEP_1)
	v_mul_f32_e32 v6, 0xbfb8aa3b, v6
	v_cmp_gt_f32_e32 vcc_lo, 0xc2fc0000, v6
	v_cndmask_b32_e64 v7, 0, 0x42800000, vcc_lo
	v_cndmask_b32_e64 v6, 1.0, 0x1f800000, vcc_lo
	s_and_not1_b32 vcc_lo, exec_lo, s2
	s_delay_alu instid0(VALU_DEP_2) | instskip(SKIP_1) | instid1(VALU_DEP_2)
	v_fma_mix_f32 v4, v4, s3, v7 op_sel_hi:[1,0,0]
	v_cndmask_b32_e64 v7, 0, 1, s2
	v_exp_f32_e32 v4, v4
	s_waitcnt_depctr 0xfff
	v_fma_f32 v4, v4, v6, 1.0
	s_delay_alu instid0(VALU_DEP_1)
	v_rcp_f32_e32 v8, v4
	s_waitcnt_depctr 0xfff
	v_mov_b32_e32 v11, v8
	s_cbranch_vccnz .LBB173_4
; %bb.3:
	global_load_u16 v4, v3, s[6:7] offset:64
	s_waitcnt vmcnt(0)
	v_lshlrev_b32_e32 v4, 16, v4
	s_delay_alu instid0(VALU_DEP_1)
	v_add_f32_e32 v11, v8, v4
.LBB173_4:
	global_load_u16 v4, v[1:2], off offset:128
	s_mov_b32 s2, 0xbfb8aa3b
	s_waitcnt vmcnt(0)
	v_cvt_f32_f16_e32 v6, v4
	s_delay_alu instid0(VALU_DEP_1) | instskip(NEXT) | instid1(VALU_DEP_1)
	v_mul_f32_e32 v6, 0xbfb8aa3b, v6
	v_cmp_gt_f32_e32 vcc_lo, 0xc2fc0000, v6
	v_cndmask_b32_e64 v9, 0, 0x42800000, vcc_lo
	v_cndmask_b32_e64 v6, 1.0, 0x1f800000, vcc_lo
	v_cmp_ne_u32_e32 vcc_lo, 1, v7
	s_delay_alu instid0(VALU_DEP_3) | instskip(SKIP_1) | instid1(VALU_DEP_1)
	v_fma_mix_f32 v4, v4, s2, v9 op_sel_hi:[1,0,0]
	s_and_b32 vcc_lo, exec_lo, vcc_lo
	v_exp_f32_e32 v4, v4
	s_waitcnt_depctr 0xfff
	v_fma_f32 v4, v4, v6, 1.0
	s_delay_alu instid0(VALU_DEP_1)
	v_rcp_f32_e32 v4, v4
	s_waitcnt_depctr 0xfff
	v_mov_b32_e32 v6, v4
	s_cbranch_vccnz .LBB173_6
; %bb.5:
	global_load_u16 v6, v3, s[6:7] offset:128
	s_waitcnt vmcnt(0)
	v_lshlrev_b32_e32 v6, 16, v6
	s_delay_alu instid0(VALU_DEP_1)
	v_add_f32_e32 v6, v4, v6
.LBB173_6:
	global_load_u16 v1, v[1:2], off offset:192
	s_waitcnt vmcnt(0)
	v_cvt_f32_f16_e32 v2, v1
	s_delay_alu instid0(VALU_DEP_1) | instskip(NEXT) | instid1(VALU_DEP_1)
	v_mul_f32_e32 v2, 0xbfb8aa3b, v2
	v_cmp_gt_f32_e32 vcc_lo, 0xc2fc0000, v2
	v_cndmask_b32_e64 v9, 0, 0x42800000, vcc_lo
	v_cndmask_b32_e64 v2, 1.0, 0x1f800000, vcc_lo
	v_cmp_ne_u32_e32 vcc_lo, 1, v7
	s_delay_alu instid0(VALU_DEP_3) | instskip(SKIP_1) | instid1(VALU_DEP_1)
	v_fma_mix_f32 v1, v1, s2, v9 op_sel_hi:[1,0,0]
	s_and_b32 vcc_lo, exec_lo, vcc_lo
	v_exp_f32_e32 v1, v1
	s_waitcnt_depctr 0xfff
	v_fma_f32 v1, v1, v2, 1.0
	s_delay_alu instid0(VALU_DEP_1)
	v_rcp_f32_e32 v1, v1
	s_waitcnt_depctr 0xfff
	v_mov_b32_e32 v2, v1
	s_cbranch_vccnz .LBB173_8
; %bb.7:
	global_load_u16 v2, v3, s[6:7] offset:192
	s_waitcnt vmcnt(0)
	v_lshlrev_b32_e32 v2, 16, v2
	s_delay_alu instid0(VALU_DEP_1)
	v_add_f32_e32 v2, v1, v2
.LBB173_8:
	v_cmp_lt_f32_e32 vcc_lo, v10, v11
	v_add_nc_u32_e32 v12, 32, v0
	v_add_nc_u32_e32 v14, 64, v0
	;; [unrolled: 1-line block ×3, first 2 shown]
	s_mov_b32 s2, exec_lo
	v_cndmask_b32_e32 v7, v8, v5, vcc_lo
	v_cndmask_b32_e32 v5, v5, v8, vcc_lo
	;; [unrolled: 1-line block ×3, first 2 shown]
	v_dual_cndmask_b32 v13, v0, v12 :: v_dual_cndmask_b32 v8, v11, v10
	v_cndmask_b32_e32 v10, v10, v11, vcc_lo
	v_mov_b32_e32 v11, v6
	v_cmpx_lt_f32_e32 v6, v2
	s_xor_b32 s2, exec_lo, s2
; %bb.9:
	v_mov_b32_e32 v15, v6
	v_dual_mov_b32 v11, v4 :: v_dual_mov_b32 v12, v14
	v_swap_b32 v4, v1
	v_swap_b32 v14, v3
	v_mov_b32_e32 v6, v2
	v_dual_mov_b32 v11, v2 :: v_dual_mov_b32 v2, v15
; %bb.10:
	s_or_b32 exec_lo, exec_lo, s2
	s_delay_alu instid0(VALU_DEP_2)
	v_cmp_lt_f32_e32 vcc_lo, v10, v6
	s_mov_b32 s2, exec_lo
	v_dual_cndmask_b32 v15, v4, v5 :: v_dual_cndmask_b32 v4, v5, v4
	v_dual_cndmask_b32 v12, v14, v13 :: v_dual_cndmask_b32 v5, v13, v14
	v_dual_cndmask_b32 v13, v11, v10 :: v_dual_mov_b32 v14, v8
	v_cndmask_b32_e32 v6, v10, v6, vcc_lo
	v_cmpx_lt_f32_e32 v8, v2
; %bb.11:
	v_mov_b32_e32 v16, v8
	v_dual_mov_b32 v10, v7 :: v_dual_mov_b32 v11, v9
	v_swap_b32 v7, v1
	v_swap_b32 v9, v3
	v_mov_b32_e32 v8, v2
	v_mov_b32_e32 v14, v2
	;; [unrolled: 1-line block ×3, first 2 shown]
; %bb.12:
	s_or_b32 exec_lo, exec_lo, s2
	s_clause 0x1
	s_load_b32 s8, s[0:1], 0x28
	s_load_b128 s[4:7], s[0:1], 0x10
	v_mov_b32_e32 v10, 0
	s_waitcnt lgkmcnt(0)
	s_cmp_lt_i32 s8, 1
	s_cbranch_scc1 .LBB173_18
; %bb.13:
	v_cmp_lt_f32_e32 vcc_lo, v8, v13
	v_mov_b32_e32 v17, v0
	s_mov_b32 s9, 0x76543210
	s_mov_b32 s10, s8
	v_dual_mov_b32 v10, 0 :: v_dual_cndmask_b32 v11, v12, v9
	v_cndmask_b32_e32 v9, v9, v12, vcc_lo
	v_dual_cndmask_b32 v12, v13, v8 :: v_dual_cndmask_b32 v13, v14, v13
	v_cndmask_b32_e32 v14, v15, v7, vcc_lo
	v_dual_cndmask_b32 v15, v7, v15 :: v_dual_mov_b32 v16, 0
	v_dual_mov_b32 v7, 0 :: v_dual_mov_b32 v8, 0
.LBB173_14:                             ; =>This Inner Loop Header: Depth=1
	s_delay_alu instid0(VALU_DEP_2) | instskip(SKIP_1) | instid1(VALU_DEP_4)
	v_cmp_eq_u32_e32 vcc_lo, 1, v16
	v_cmp_eq_u32_e64 s2, 2, v16
	v_dual_cndmask_b32 v19, v5, v9 :: v_dual_cndmask_b32 v20, v4, v15
	s_delay_alu instid0(VALU_DEP_1) | instskip(SKIP_2) | instid1(VALU_DEP_4)
	v_cndmask_b32_e64 v19, v19, v11, s2
	v_cndmask_b32_e32 v18, v6, v13, vcc_lo
	v_cmp_eq_u32_e32 vcc_lo, 3, v16
	v_cndmask_b32_e64 v20, v20, v14, s2
	s_delay_alu instid0(VALU_DEP_4) | instskip(NEXT) | instid1(VALU_DEP_4)
	v_cndmask_b32_e32 v19, v19, v3, vcc_lo
	v_cndmask_b32_e64 v18, v18, v12, s2
	v_cmp_gt_u32_e64 s2, 4, v16
	s_delay_alu instid0(VALU_DEP_2) | instskip(NEXT) | instid1(VALU_DEP_2)
	v_cndmask_b32_e32 v18, v18, v2, vcc_lo
	v_cndmask_b32_e64 v21, 0, v19, s2
	s_delay_alu instid0(VALU_DEP_2)
	v_cndmask_b32_e64 v18, 0xff800000, v18, s2
	;;#ASMSTART
	v_max_f32 v22, v18, v18 quad_perm:[1,0,3,2] row_mask:0xf bank_mask:0xf bound_ctrl:1
	;;#ASMEND
	;;#ASMSTART
	v_max_f32 v23, v22, v22 quad_perm:[2,3,0,1] row_mask:0xf bank_mask:0xf bound_ctrl:1
	;;#ASMEND
	;;#ASMSTART
	v_max_f32 v22, v23, v23 row_half_mirror row_mask:0xf bank_mask:0xf bound_ctrl:1
	;;#ASMEND
	;;#ASMSTART
	v_max_f32 v23, v22, v22 row_mirror row_mask:0xf bank_mask:0xf bound_ctrl:1
	;;#ASMEND
	v_permlanex16_b32 v22, v23, s9, 0xfedcba98 op_sel:[1,1]
	s_delay_alu instid0(VALU_DEP_1) | instskip(NEXT) | instid1(VALU_DEP_1)
	v_dual_max_f32 v23, v23, v23 :: v_dual_max_f32 v22, v22, v22
	v_max_f32_e32 v22, v23, v22
	s_delay_alu instid0(VALU_DEP_1) | instskip(SKIP_1) | instid1(VALU_DEP_2)
	v_cmp_eq_f32_e64 s3, v18, v22
	v_cndmask_b32_e32 v18, v20, v1, vcc_lo
	s_ctz_i32_b32 s11, s3
	s_cmp_lg_u32 s3, 0
	s_cselect_b32 s3, s11, 0
	s_add_i32 s10, s10, -1
	v_readlane_b32 s3, v21, s3
	s_delay_alu instid0(VALU_DEP_1)
	v_cmp_eq_u32_e32 vcc_lo, s3, v19
	s_and_b32 vcc_lo, s2, vcc_lo
	s_and_b32 s2, s3, 31
	v_cndmask_b32_e32 v18, 0, v18, vcc_lo
	v_add_co_ci_u32_e32 v16, vcc_lo, 0, v16, vcc_lo
	s_cmp_eq_u32 s10, 0
	s_delay_alu instid0(VALU_DEP_2) | instskip(SKIP_1) | instid1(VALU_DEP_2)
	v_readlane_b32 s11, v18, s2
	v_cmp_eq_u32_e64 s2, 0, v17
	v_dual_add_f32 v10, s11, v10 :: v_dual_add_nc_u32 v17, -1, v17
	s_delay_alu instid0(VALU_DEP_2)
	v_cndmask_b32_e64 v8, v8, s11, s2
	v_cndmask_b32_e64 v7, v7, s3, s2
	s_cbranch_scc0 .LBB173_14
; %bb.15:
	s_mov_b32 s2, exec_lo
	v_cmpx_gt_i32_e64 s8, v0
	s_cbranch_execz .LBB173_17
.LBB173_16:
	s_load_b32 s2, s[0:1], 0x30
	v_max_f32_e32 v1, v10, v10
	s_load_b64 s[0:1], s[0:1], 0x20
	s_ashr_i32 s3, s15, 31
	s_delay_alu instid0(VALU_DEP_1) | instskip(SKIP_1) | instid1(VALU_DEP_1)
	v_dual_max_f32 v1, 0x1e3ce508, v1 :: v_dual_lshlrev_b32 v0, 2, v0
	s_waitcnt lgkmcnt(0)
	v_div_scale_f32 v2, null, v1, v1, s2
	v_div_scale_f32 v5, vcc_lo, s2, v1, s2
	s_mul_i32 s1, s15, s1
	s_delay_alu instid0(VALU_DEP_2)
	v_rcp_f32_e32 v3, v2
	s_mul_hi_u32 s8, s15, s0
	s_mul_i32 s3, s3, s0
	s_add_i32 s1, s8, s1
	s_mul_i32 s0, s15, s0
	s_add_i32 s1, s1, s3
	s_delay_alu instid0(SALU_CYCLE_1) | instskip(SKIP_2) | instid1(VALU_DEP_1)
	s_lshl_b64 s[0:1], s[0:1], 2
	s_waitcnt_depctr 0xfff
	v_fma_f32 v4, -v2, v3, 1.0
	v_fmac_f32_e32 v3, v4, v3
	s_delay_alu instid0(VALU_DEP_1) | instskip(NEXT) | instid1(VALU_DEP_1)
	v_mul_f32_e32 v4, v5, v3
	v_fma_f32 v6, -v2, v4, v5
	s_delay_alu instid0(VALU_DEP_1) | instskip(NEXT) | instid1(VALU_DEP_1)
	v_fmac_f32_e32 v4, v6, v3
	v_fma_f32 v2, -v2, v4, v5
	s_delay_alu instid0(VALU_DEP_1) | instskip(NEXT) | instid1(VALU_DEP_1)
	v_div_fmas_f32 v2, v2, v3, v4
	v_div_fixup_f32 v1, v2, v1, s2
	s_add_u32 s2, s4, s0
	s_addc_u32 s3, s5, s1
	s_add_u32 s0, s6, s0
	s_addc_u32 s1, s7, s1
	v_mul_f32_e32 v1, v8, v1
	s_clause 0x1
	global_store_b32 v0, v1, s[2:3]
	global_store_b32 v0, v7, s[0:1]
.LBB173_17:
	s_nop 0
	s_sendmsg sendmsg(MSG_DEALLOC_VGPRS)
	s_endpgm
.LBB173_18:
	v_dual_mov_b32 v7, 0 :: v_dual_mov_b32 v8, 0
	s_mov_b32 s2, exec_lo
	v_cmpx_gt_i32_e64 s8, v0
	s_cbranch_execnz .LBB173_16
	s_branch .LBB173_17
	.section	.rodata,"a",@progbits
	.p2align	6, 0x0
	.amdhsa_kernel _ZN5aiter24topk_softplus_kernel_optI6__half12hip_bfloat16Li128ELb1ELi1EEEvPKT_PKT0_PfPimiif
		.amdhsa_group_segment_fixed_size 0
		.amdhsa_private_segment_fixed_size 0
		.amdhsa_kernarg_size 52
		.amdhsa_user_sgpr_count 15
		.amdhsa_user_sgpr_dispatch_ptr 0
		.amdhsa_user_sgpr_queue_ptr 0
		.amdhsa_user_sgpr_kernarg_segment_ptr 1
		.amdhsa_user_sgpr_dispatch_id 0
		.amdhsa_user_sgpr_private_segment_size 0
		.amdhsa_wavefront_size32 1
		.amdhsa_uses_dynamic_stack 0
		.amdhsa_enable_private_segment 0
		.amdhsa_system_sgpr_workgroup_id_x 1
		.amdhsa_system_sgpr_workgroup_id_y 0
		.amdhsa_system_sgpr_workgroup_id_z 0
		.amdhsa_system_sgpr_workgroup_info 0
		.amdhsa_system_vgpr_workitem_id 0
		.amdhsa_next_free_vgpr 24
		.amdhsa_next_free_sgpr 16
		.amdhsa_reserve_vcc 1
		.amdhsa_float_round_mode_32 0
		.amdhsa_float_round_mode_16_64 0
		.amdhsa_float_denorm_mode_32 3
		.amdhsa_float_denorm_mode_16_64 3
		.amdhsa_dx10_clamp 1
		.amdhsa_ieee_mode 1
		.amdhsa_fp16_overflow 0
		.amdhsa_workgroup_processor_mode 1
		.amdhsa_memory_ordered 1
		.amdhsa_forward_progress 0
		.amdhsa_shared_vgpr_count 0
		.amdhsa_exception_fp_ieee_invalid_op 0
		.amdhsa_exception_fp_denorm_src 0
		.amdhsa_exception_fp_ieee_div_zero 0
		.amdhsa_exception_fp_ieee_overflow 0
		.amdhsa_exception_fp_ieee_underflow 0
		.amdhsa_exception_fp_ieee_inexact 0
		.amdhsa_exception_int_div_zero 0
	.end_amdhsa_kernel
	.section	.text._ZN5aiter24topk_softplus_kernel_optI6__half12hip_bfloat16Li128ELb1ELi1EEEvPKT_PKT0_PfPimiif,"axG",@progbits,_ZN5aiter24topk_softplus_kernel_optI6__half12hip_bfloat16Li128ELb1ELi1EEEvPKT_PKT0_PfPimiif,comdat
.Lfunc_end173:
	.size	_ZN5aiter24topk_softplus_kernel_optI6__half12hip_bfloat16Li128ELb1ELi1EEEvPKT_PKT0_PfPimiif, .Lfunc_end173-_ZN5aiter24topk_softplus_kernel_optI6__half12hip_bfloat16Li128ELb1ELi1EEEvPKT_PKT0_PfPimiif
                                        ; -- End function
	.section	.AMDGPU.csdata,"",@progbits
; Kernel info:
; codeLenInByte = 1512
; NumSgprs: 18
; NumVgprs: 24
; ScratchSize: 0
; MemoryBound: 0
; FloatMode: 240
; IeeeMode: 1
; LDSByteSize: 0 bytes/workgroup (compile time only)
; SGPRBlocks: 2
; VGPRBlocks: 2
; NumSGPRsForWavesPerEU: 18
; NumVGPRsForWavesPerEU: 24
; Occupancy: 16
; WaveLimiterHint : 0
; COMPUTE_PGM_RSRC2:SCRATCH_EN: 0
; COMPUTE_PGM_RSRC2:USER_SGPR: 15
; COMPUTE_PGM_RSRC2:TRAP_HANDLER: 0
; COMPUTE_PGM_RSRC2:TGID_X_EN: 1
; COMPUTE_PGM_RSRC2:TGID_Y_EN: 0
; COMPUTE_PGM_RSRC2:TGID_Z_EN: 0
; COMPUTE_PGM_RSRC2:TIDIG_COMP_CNT: 0
	.section	.text._ZN5aiter24topk_softplus_kernel_optI6__half12hip_bfloat16Li128ELb0ELi1EEEvPKT_PKT0_PfPimiif,"axG",@progbits,_ZN5aiter24topk_softplus_kernel_optI6__half12hip_bfloat16Li128ELb0ELi1EEEvPKT_PKT0_PfPimiif,comdat
	.protected	_ZN5aiter24topk_softplus_kernel_optI6__half12hip_bfloat16Li128ELb0ELi1EEEvPKT_PKT0_PfPimiif ; -- Begin function _ZN5aiter24topk_softplus_kernel_optI6__half12hip_bfloat16Li128ELb0ELi1EEEvPKT_PKT0_PfPimiif
	.globl	_ZN5aiter24topk_softplus_kernel_optI6__half12hip_bfloat16Li128ELb0ELi1EEEvPKT_PKT0_PfPimiif
	.p2align	8
	.type	_ZN5aiter24topk_softplus_kernel_optI6__half12hip_bfloat16Li128ELb0ELi1EEEvPKT_PKT0_PfPimiif,@function
_ZN5aiter24topk_softplus_kernel_optI6__half12hip_bfloat16Li128ELb0ELi1EEEvPKT_PKT0_PfPimiif: ; @_ZN5aiter24topk_softplus_kernel_optI6__half12hip_bfloat16Li128ELb0ELi1EEEvPKT_PKT0_PfPimiif
; %bb.0:
	s_load_b128 s[4:7], s[0:1], 0x0
	s_lshl_b32 s2, s15, 7
	v_lshlrev_b32_e32 v3, 1, v0
	s_ashr_i32 s3, s2, 31
	s_delay_alu instid0(SALU_CYCLE_1)
	s_lshl_b64 s[2:3], s[2:3], 1
	s_waitcnt lgkmcnt(0)
	s_add_u32 s4, s4, s2
	s_addc_u32 s5, s5, s3
	s_mov_b32 s3, 0xbfb8aa3b
	global_load_u16 v1, v3, s[4:5]
	s_cmp_lg_u64 s[6:7], 0
	s_cselect_b32 s2, -1, 0
	s_waitcnt vmcnt(0)
	v_cvt_f32_f16_e32 v2, v1
	s_delay_alu instid0(VALU_DEP_1) | instskip(NEXT) | instid1(VALU_DEP_1)
	v_mul_f32_e32 v2, 0xbfb8aa3b, v2
	v_cmp_gt_f32_e32 vcc_lo, 0xc2fc0000, v2
	v_cndmask_b32_e64 v2, 0, 0x42800000, vcc_lo
	s_delay_alu instid0(VALU_DEP_1) | instskip(SKIP_2) | instid1(VALU_DEP_2)
	v_fma_mix_f32 v1, v1, s3, v2 op_sel_hi:[1,0,0]
	v_cndmask_b32_e64 v2, 1.0, 0x1f800000, vcc_lo
	s_and_b32 vcc_lo, exec_lo, s2
	v_exp_f32_e32 v1, v1
	s_waitcnt_depctr 0xfff
	v_fma_f32 v1, v1, v2, 1.0
	s_delay_alu instid0(VALU_DEP_1) | instskip(SKIP_1) | instid1(VALU_DEP_1)
	v_rcp_f32_e32 v5, v1
	v_add_co_u32 v1, s4, s4, v3
	v_add_co_ci_u32_e64 v2, null, s5, 0, s4
	s_waitcnt_depctr 0xfff
	v_mov_b32_e32 v10, v5
	s_cbranch_vccz .LBB174_2
; %bb.1:
	global_load_u16 v4, v3, s[6:7]
	s_waitcnt vmcnt(0)
	v_lshlrev_b32_e32 v4, 16, v4
	s_delay_alu instid0(VALU_DEP_1)
	v_add_f32_e32 v10, v5, v4
.LBB174_2:
	global_load_u16 v4, v[1:2], off offset:64
	s_waitcnt vmcnt(0)
	v_cvt_f32_f16_e32 v6, v4
	s_delay_alu instid0(VALU_DEP_1) | instskip(NEXT) | instid1(VALU_DEP_1)
	v_mul_f32_e32 v6, 0xbfb8aa3b, v6
	v_cmp_gt_f32_e32 vcc_lo, 0xc2fc0000, v6
	v_cndmask_b32_e64 v7, 0, 0x42800000, vcc_lo
	v_cndmask_b32_e64 v6, 1.0, 0x1f800000, vcc_lo
	s_and_not1_b32 vcc_lo, exec_lo, s2
	s_delay_alu instid0(VALU_DEP_2) | instskip(SKIP_1) | instid1(VALU_DEP_2)
	v_fma_mix_f32 v4, v4, s3, v7 op_sel_hi:[1,0,0]
	v_cndmask_b32_e64 v7, 0, 1, s2
	v_exp_f32_e32 v4, v4
	s_waitcnt_depctr 0xfff
	v_fma_f32 v4, v4, v6, 1.0
	s_delay_alu instid0(VALU_DEP_1)
	v_rcp_f32_e32 v8, v4
	s_waitcnt_depctr 0xfff
	v_mov_b32_e32 v11, v8
	s_cbranch_vccnz .LBB174_4
; %bb.3:
	global_load_u16 v4, v3, s[6:7] offset:64
	s_waitcnt vmcnt(0)
	v_lshlrev_b32_e32 v4, 16, v4
	s_delay_alu instid0(VALU_DEP_1)
	v_add_f32_e32 v11, v8, v4
.LBB174_4:
	global_load_u16 v4, v[1:2], off offset:128
	s_mov_b32 s2, 0xbfb8aa3b
	s_waitcnt vmcnt(0)
	v_cvt_f32_f16_e32 v6, v4
	s_delay_alu instid0(VALU_DEP_1) | instskip(NEXT) | instid1(VALU_DEP_1)
	v_mul_f32_e32 v6, 0xbfb8aa3b, v6
	v_cmp_gt_f32_e32 vcc_lo, 0xc2fc0000, v6
	v_cndmask_b32_e64 v9, 0, 0x42800000, vcc_lo
	v_cndmask_b32_e64 v6, 1.0, 0x1f800000, vcc_lo
	v_cmp_ne_u32_e32 vcc_lo, 1, v7
	s_delay_alu instid0(VALU_DEP_3) | instskip(SKIP_1) | instid1(VALU_DEP_1)
	v_fma_mix_f32 v4, v4, s2, v9 op_sel_hi:[1,0,0]
	s_and_b32 vcc_lo, exec_lo, vcc_lo
	v_exp_f32_e32 v4, v4
	s_waitcnt_depctr 0xfff
	v_fma_f32 v4, v4, v6, 1.0
	s_delay_alu instid0(VALU_DEP_1)
	v_rcp_f32_e32 v4, v4
	s_waitcnt_depctr 0xfff
	v_mov_b32_e32 v6, v4
	s_cbranch_vccnz .LBB174_6
; %bb.5:
	global_load_u16 v6, v3, s[6:7] offset:128
	s_waitcnt vmcnt(0)
	v_lshlrev_b32_e32 v6, 16, v6
	s_delay_alu instid0(VALU_DEP_1)
	v_add_f32_e32 v6, v4, v6
.LBB174_6:
	global_load_u16 v1, v[1:2], off offset:192
	s_waitcnt vmcnt(0)
	v_cvt_f32_f16_e32 v2, v1
	s_delay_alu instid0(VALU_DEP_1) | instskip(NEXT) | instid1(VALU_DEP_1)
	v_mul_f32_e32 v2, 0xbfb8aa3b, v2
	v_cmp_gt_f32_e32 vcc_lo, 0xc2fc0000, v2
	v_cndmask_b32_e64 v9, 0, 0x42800000, vcc_lo
	v_cndmask_b32_e64 v2, 1.0, 0x1f800000, vcc_lo
	v_cmp_ne_u32_e32 vcc_lo, 1, v7
	s_delay_alu instid0(VALU_DEP_3) | instskip(SKIP_1) | instid1(VALU_DEP_1)
	v_fma_mix_f32 v1, v1, s2, v9 op_sel_hi:[1,0,0]
	s_and_b32 vcc_lo, exec_lo, vcc_lo
	v_exp_f32_e32 v1, v1
	s_waitcnt_depctr 0xfff
	v_fma_f32 v1, v1, v2, 1.0
	s_delay_alu instid0(VALU_DEP_1)
	v_rcp_f32_e32 v1, v1
	s_waitcnt_depctr 0xfff
	v_mov_b32_e32 v2, v1
	s_cbranch_vccnz .LBB174_8
; %bb.7:
	global_load_u16 v2, v3, s[6:7] offset:192
	s_waitcnt vmcnt(0)
	v_lshlrev_b32_e32 v2, 16, v2
	s_delay_alu instid0(VALU_DEP_1)
	v_add_f32_e32 v2, v1, v2
.LBB174_8:
	v_cmp_lt_f32_e32 vcc_lo, v10, v11
	v_add_nc_u32_e32 v12, 32, v0
	v_add_nc_u32_e32 v13, 64, v0
	;; [unrolled: 1-line block ×3, first 2 shown]
	s_mov_b32 s2, exec_lo
	v_cndmask_b32_e32 v7, v8, v5, vcc_lo
	v_cndmask_b32_e32 v5, v5, v8, vcc_lo
	;; [unrolled: 1-line block ×3, first 2 shown]
	v_dual_cndmask_b32 v12, v0, v12 :: v_dual_mov_b32 v15, v6
	v_cndmask_b32_e32 v8, v11, v10, vcc_lo
	v_cndmask_b32_e32 v10, v10, v11, vcc_lo
	v_cmpx_lt_f32_e32 v6, v2
	s_xor_b32 s2, exec_lo, s2
; %bb.9:
	v_dual_mov_b32 v16, v6 :: v_dual_mov_b32 v11, v4
	v_mov_b32_e32 v14, v13
	v_swap_b32 v4, v1
	v_swap_b32 v13, v3
	v_mov_b32_e32 v6, v2
	v_dual_mov_b32 v15, v2 :: v_dual_mov_b32 v2, v16
; %bb.10:
	s_or_b32 exec_lo, exec_lo, s2
	s_delay_alu instid0(VALU_DEP_2)
	v_cmp_lt_f32_e32 vcc_lo, v10, v6
	s_mov_b32 s2, exec_lo
	v_dual_cndmask_b32 v14, v4, v5 :: v_dual_cndmask_b32 v11, v13, v12
	v_dual_cndmask_b32 v4, v5, v4 :: v_dual_cndmask_b32 v5, v12, v13
	v_dual_cndmask_b32 v12, v15, v10 :: v_dual_mov_b32 v13, v8
	v_cndmask_b32_e32 v6, v10, v6, vcc_lo
	v_cmpx_lt_f32_e32 v8, v2
; %bb.11:
	v_dual_mov_b32 v15, v8 :: v_dual_mov_b32 v8, v2
	v_dual_mov_b32 v10, v7 :: v_dual_mov_b32 v13, v9
	v_swap_b32 v7, v1
	v_swap_b32 v9, v3
	s_delay_alu instid0(VALU_DEP_4)
	v_dual_mov_b32 v13, v2 :: v_dual_mov_b32 v2, v15
; %bb.12:
	s_or_b32 exec_lo, exec_lo, s2
	s_clause 0x1
	s_load_b32 s8, s[0:1], 0x28
	s_load_b128 s[4:7], s[0:1], 0x10
	s_waitcnt lgkmcnt(0)
	s_cmp_lt_i32 s8, 1
	s_cbranch_scc1 .LBB174_18
; %bb.13:
	v_cmp_lt_f32_e32 vcc_lo, v8, v12
	v_dual_mov_b32 v15, 0 :: v_dual_mov_b32 v16, v0
	s_mov_b32 s9, 0x76543210
	s_mov_b32 s10, s8
	v_dual_cndmask_b32 v10, v11, v9 :: v_dual_cndmask_b32 v9, v9, v11
	v_cndmask_b32_e32 v11, v12, v8, vcc_lo
	v_dual_cndmask_b32 v12, v13, v12 :: v_dual_cndmask_b32 v13, v14, v7
	v_cndmask_b32_e32 v14, v7, v14, vcc_lo
	v_dual_mov_b32 v8, 0 :: v_dual_mov_b32 v7, 0
.LBB174_14:                             ; =>This Inner Loop Header: Depth=1
	v_cmp_eq_u32_e32 vcc_lo, 1, v15
	v_cmp_eq_u32_e64 s2, 2, v15
	v_cmp_gt_u32_e64 s3, 4, v15
	v_dual_cndmask_b32 v17, v6, v12 :: v_dual_cndmask_b32 v18, v5, v9
	v_cndmask_b32_e32 v19, v4, v14, vcc_lo
	v_cmp_eq_u32_e32 vcc_lo, 3, v15
	s_delay_alu instid0(VALU_DEP_3) | instskip(NEXT) | instid1(VALU_DEP_4)
	v_cndmask_b32_e64 v17, v17, v11, s2
	v_cndmask_b32_e64 v18, v18, v10, s2
	s_delay_alu instid0(VALU_DEP_1) | instskip(NEXT) | instid1(VALU_DEP_1)
	v_dual_cndmask_b32 v17, v17, v2 :: v_dual_cndmask_b32 v18, v18, v3
	v_cndmask_b32_e64 v17, 0xff800000, v17, s3
	;;#ASMSTART
	v_max_f32 v20, v17, v17 quad_perm:[1,0,3,2] row_mask:0xf bank_mask:0xf bound_ctrl:1
	;;#ASMEND
	;;#ASMSTART
	v_max_f32 v21, v20, v20 quad_perm:[2,3,0,1] row_mask:0xf bank_mask:0xf bound_ctrl:1
	;;#ASMEND
	;;#ASMSTART
	v_max_f32 v20, v21, v21 row_half_mirror row_mask:0xf bank_mask:0xf bound_ctrl:1
	;;#ASMEND
	;;#ASMSTART
	v_max_f32 v21, v20, v20 row_mirror row_mask:0xf bank_mask:0xf bound_ctrl:1
	;;#ASMEND
	v_permlanex16_b32 v20, v21, s9, 0xfedcba98 op_sel:[1,1]
	s_delay_alu instid0(VALU_DEP_1) | instskip(NEXT) | instid1(VALU_DEP_1)
	v_dual_max_f32 v21, v21, v21 :: v_dual_max_f32 v20, v20, v20
	v_max_f32_e32 v20, v21, v20
	v_cndmask_b32_e64 v19, v19, v13, s2
	s_delay_alu instid0(VALU_DEP_2) | instskip(SKIP_1) | instid1(VALU_DEP_2)
	v_cmp_eq_f32_e64 s2, v17, v20
	v_cndmask_b32_e64 v17, 0, v18, s3
	s_ctz_i32_b32 s11, s2
	s_cmp_lg_u32 s2, 0
	s_cselect_b32 s2, s11, 0
	s_add_i32 s10, s10, -1
	v_readlane_b32 s11, v17, s2
	v_cndmask_b32_e32 v17, v19, v1, vcc_lo
	s_delay_alu instid0(VALU_DEP_2)
	v_cmp_eq_u32_e32 vcc_lo, s11, v18
	s_and_b32 s2, s11, 31
	s_and_b32 vcc_lo, s3, vcc_lo
	s_cmp_eq_u32 s10, 0
	v_cndmask_b32_e32 v17, 0, v17, vcc_lo
	v_add_co_ci_u32_e32 v15, vcc_lo, 0, v15, vcc_lo
	s_delay_alu instid0(VALU_DEP_2) | instskip(SKIP_2) | instid1(VALU_DEP_2)
	v_readlane_b32 s3, v17, s2
	v_cmp_eq_u32_e64 s2, 0, v16
	v_add_nc_u32_e32 v16, -1, v16
	v_cndmask_b32_e64 v8, v8, s3, s2
	v_cndmask_b32_e64 v7, v7, s11, s2
	s_cbranch_scc0 .LBB174_14
; %bb.15:
	s_mov_b32 s2, exec_lo
	v_cmpx_gt_i32_e64 s8, v0
	s_cbranch_execz .LBB174_17
.LBB174_16:
	s_clause 0x1
	s_load_b64 s[2:3], s[0:1], 0x20
	s_load_b32 s8, s[0:1], 0x30
	s_ashr_i32 s0, s15, 31
	v_lshlrev_b32_e32 v0, 2, v0
	s_waitcnt lgkmcnt(0)
	s_mul_i32 s1, s15, s3
	s_mul_hi_u32 s3, s15, s2
	s_mul_i32 s0, s0, s2
	s_add_i32 s1, s3, s1
	v_mul_f32_e32 v1, s8, v8
	s_add_i32 s1, s1, s0
	s_mul_i32 s0, s15, s2
	s_delay_alu instid0(SALU_CYCLE_1) | instskip(NEXT) | instid1(SALU_CYCLE_1)
	s_lshl_b64 s[0:1], s[0:1], 2
	s_add_u32 s2, s4, s0
	s_addc_u32 s3, s5, s1
	s_add_u32 s0, s6, s0
	s_addc_u32 s1, s7, s1
	s_clause 0x1
	global_store_b32 v0, v1, s[2:3]
	global_store_b32 v0, v7, s[0:1]
.LBB174_17:
	s_nop 0
	s_sendmsg sendmsg(MSG_DEALLOC_VGPRS)
	s_endpgm
.LBB174_18:
	v_dual_mov_b32 v7, 0 :: v_dual_mov_b32 v8, 0
	s_mov_b32 s2, exec_lo
	v_cmpx_gt_i32_e64 s8, v0
	s_cbranch_execnz .LBB174_16
	s_branch .LBB174_17
	.section	.rodata,"a",@progbits
	.p2align	6, 0x0
	.amdhsa_kernel _ZN5aiter24topk_softplus_kernel_optI6__half12hip_bfloat16Li128ELb0ELi1EEEvPKT_PKT0_PfPimiif
		.amdhsa_group_segment_fixed_size 0
		.amdhsa_private_segment_fixed_size 0
		.amdhsa_kernarg_size 52
		.amdhsa_user_sgpr_count 15
		.amdhsa_user_sgpr_dispatch_ptr 0
		.amdhsa_user_sgpr_queue_ptr 0
		.amdhsa_user_sgpr_kernarg_segment_ptr 1
		.amdhsa_user_sgpr_dispatch_id 0
		.amdhsa_user_sgpr_private_segment_size 0
		.amdhsa_wavefront_size32 1
		.amdhsa_uses_dynamic_stack 0
		.amdhsa_enable_private_segment 0
		.amdhsa_system_sgpr_workgroup_id_x 1
		.amdhsa_system_sgpr_workgroup_id_y 0
		.amdhsa_system_sgpr_workgroup_id_z 0
		.amdhsa_system_sgpr_workgroup_info 0
		.amdhsa_system_vgpr_workitem_id 0
		.amdhsa_next_free_vgpr 22
		.amdhsa_next_free_sgpr 16
		.amdhsa_reserve_vcc 1
		.amdhsa_float_round_mode_32 0
		.amdhsa_float_round_mode_16_64 0
		.amdhsa_float_denorm_mode_32 3
		.amdhsa_float_denorm_mode_16_64 3
		.amdhsa_dx10_clamp 1
		.amdhsa_ieee_mode 1
		.amdhsa_fp16_overflow 0
		.amdhsa_workgroup_processor_mode 1
		.amdhsa_memory_ordered 1
		.amdhsa_forward_progress 0
		.amdhsa_shared_vgpr_count 0
		.amdhsa_exception_fp_ieee_invalid_op 0
		.amdhsa_exception_fp_denorm_src 0
		.amdhsa_exception_fp_ieee_div_zero 0
		.amdhsa_exception_fp_ieee_overflow 0
		.amdhsa_exception_fp_ieee_underflow 0
		.amdhsa_exception_fp_ieee_inexact 0
		.amdhsa_exception_int_div_zero 0
	.end_amdhsa_kernel
	.section	.text._ZN5aiter24topk_softplus_kernel_optI6__half12hip_bfloat16Li128ELb0ELi1EEEvPKT_PKT0_PfPimiif,"axG",@progbits,_ZN5aiter24topk_softplus_kernel_optI6__half12hip_bfloat16Li128ELb0ELi1EEEvPKT_PKT0_PfPimiif,comdat
.Lfunc_end174:
	.size	_ZN5aiter24topk_softplus_kernel_optI6__half12hip_bfloat16Li128ELb0ELi1EEEvPKT_PKT0_PfPimiif, .Lfunc_end174-_ZN5aiter24topk_softplus_kernel_optI6__half12hip_bfloat16Li128ELb0ELi1EEEvPKT_PKT0_PfPimiif
                                        ; -- End function
	.section	.AMDGPU.csdata,"",@progbits
; Kernel info:
; codeLenInByte = 1384
; NumSgprs: 18
; NumVgprs: 22
; ScratchSize: 0
; MemoryBound: 0
; FloatMode: 240
; IeeeMode: 1
; LDSByteSize: 0 bytes/workgroup (compile time only)
; SGPRBlocks: 2
; VGPRBlocks: 2
; NumSGPRsForWavesPerEU: 18
; NumVGPRsForWavesPerEU: 22
; Occupancy: 16
; WaveLimiterHint : 0
; COMPUTE_PGM_RSRC2:SCRATCH_EN: 0
; COMPUTE_PGM_RSRC2:USER_SGPR: 15
; COMPUTE_PGM_RSRC2:TRAP_HANDLER: 0
; COMPUTE_PGM_RSRC2:TGID_X_EN: 1
; COMPUTE_PGM_RSRC2:TGID_Y_EN: 0
; COMPUTE_PGM_RSRC2:TGID_Z_EN: 0
; COMPUTE_PGM_RSRC2:TIDIG_COMP_CNT: 0
	.section	.text._ZN5aiter24topk_softplus_kernel_optI6__half12hip_bfloat16Li256ELb1ELi1EEEvPKT_PKT0_PfPimiif,"axG",@progbits,_ZN5aiter24topk_softplus_kernel_optI6__half12hip_bfloat16Li256ELb1ELi1EEEvPKT_PKT0_PfPimiif,comdat
	.protected	_ZN5aiter24topk_softplus_kernel_optI6__half12hip_bfloat16Li256ELb1ELi1EEEvPKT_PKT0_PfPimiif ; -- Begin function _ZN5aiter24topk_softplus_kernel_optI6__half12hip_bfloat16Li256ELb1ELi1EEEvPKT_PKT0_PfPimiif
	.globl	_ZN5aiter24topk_softplus_kernel_optI6__half12hip_bfloat16Li256ELb1ELi1EEEvPKT_PKT0_PfPimiif
	.p2align	8
	.type	_ZN5aiter24topk_softplus_kernel_optI6__half12hip_bfloat16Li256ELb1ELi1EEEvPKT_PKT0_PfPimiif,@function
_ZN5aiter24topk_softplus_kernel_optI6__half12hip_bfloat16Li256ELb1ELi1EEEvPKT_PKT0_PfPimiif: ; @_ZN5aiter24topk_softplus_kernel_optI6__half12hip_bfloat16Li256ELb1ELi1EEEvPKT_PKT0_PfPimiif
; %bb.0:
	s_load_b128 s[4:7], s[0:1], 0x0
	s_lshl_b32 s2, s15, 8
	v_lshlrev_b32_e32 v3, 1, v0
	s_ashr_i32 s3, s2, 31
	s_delay_alu instid0(SALU_CYCLE_1)
	s_lshl_b64 s[2:3], s[2:3], 1
	s_waitcnt lgkmcnt(0)
	s_add_u32 s4, s4, s2
	s_addc_u32 s5, s5, s3
	s_mov_b32 s3, 0xbfb8aa3b
	global_load_u16 v1, v3, s[4:5]
	s_cmp_lg_u64 s[6:7], 0
	s_cselect_b32 s2, -1, 0
	s_waitcnt vmcnt(0)
	v_cvt_f32_f16_e32 v2, v1
	s_delay_alu instid0(VALU_DEP_1) | instskip(NEXT) | instid1(VALU_DEP_1)
	v_mul_f32_e32 v2, 0xbfb8aa3b, v2
	v_cmp_gt_f32_e32 vcc_lo, 0xc2fc0000, v2
	v_cndmask_b32_e64 v2, 0, 0x42800000, vcc_lo
	s_delay_alu instid0(VALU_DEP_1) | instskip(SKIP_2) | instid1(VALU_DEP_2)
	v_fma_mix_f32 v1, v1, s3, v2 op_sel_hi:[1,0,0]
	v_cndmask_b32_e64 v2, 1.0, 0x1f800000, vcc_lo
	s_and_b32 vcc_lo, exec_lo, s2
	v_exp_f32_e32 v1, v1
	s_waitcnt_depctr 0xfff
	v_fma_f32 v1, v1, v2, 1.0
	s_delay_alu instid0(VALU_DEP_1) | instskip(SKIP_1) | instid1(VALU_DEP_1)
	v_rcp_f32_e32 v48, v1
	v_add_co_u32 v1, s4, s4, v3
	v_add_co_ci_u32_e64 v2, null, s5, 0, s4
	s_waitcnt_depctr 0xfff
	v_mov_b32_e32 v32, v48
	s_cbranch_vccz .LBB175_2
; %bb.1:
	global_load_u16 v4, v3, s[6:7]
	s_waitcnt vmcnt(0)
	v_lshlrev_b32_e32 v4, 16, v4
	s_delay_alu instid0(VALU_DEP_1)
	v_add_f32_e32 v32, v48, v4
.LBB175_2:
	global_load_u16 v4, v[1:2], off offset:64
	s_waitcnt vmcnt(0)
	v_cvt_f32_f16_e32 v5, v4
	s_delay_alu instid0(VALU_DEP_1) | instskip(NEXT) | instid1(VALU_DEP_1)
	v_mul_f32_e32 v5, 0xbfb8aa3b, v5
	v_cmp_gt_f32_e32 vcc_lo, 0xc2fc0000, v5
	v_cndmask_b32_e64 v6, 0, 0x42800000, vcc_lo
	v_cndmask_b32_e64 v5, 1.0, 0x1f800000, vcc_lo
	s_and_not1_b32 vcc_lo, exec_lo, s2
	s_delay_alu instid0(VALU_DEP_2) | instskip(NEXT) | instid1(VALU_DEP_1)
	v_fma_mix_f32 v4, v4, s3, v6 op_sel_hi:[1,0,0]
	v_exp_f32_e32 v4, v4
	s_waitcnt_depctr 0xfff
	v_fma_f32 v4, v4, v5, 1.0
	s_delay_alu instid0(VALU_DEP_1)
	v_rcp_f32_e32 v17, v4
	v_cndmask_b32_e64 v4, 0, 1, s2
	s_waitcnt_depctr 0xfff
	v_mov_b32_e32 v33, v17
	s_cbranch_vccnz .LBB175_4
; %bb.3:
	global_load_u16 v5, v3, s[6:7] offset:64
	s_waitcnt vmcnt(0)
	v_lshlrev_b32_e32 v5, 16, v5
	s_delay_alu instid0(VALU_DEP_1)
	v_add_f32_e32 v33, v17, v5
.LBB175_4:
	global_load_u16 v5, v[1:2], off offset:128
	s_mov_b32 s2, 0xbfb8aa3b
	s_waitcnt vmcnt(0)
	v_cvt_f32_f16_e32 v6, v5
	s_delay_alu instid0(VALU_DEP_1) | instskip(NEXT) | instid1(VALU_DEP_1)
	v_mul_f32_e32 v6, 0xbfb8aa3b, v6
	v_cmp_gt_f32_e32 vcc_lo, 0xc2fc0000, v6
	v_cndmask_b32_e64 v7, 0, 0x42800000, vcc_lo
	v_cndmask_b32_e64 v6, 1.0, 0x1f800000, vcc_lo
	v_cmp_ne_u32_e32 vcc_lo, 1, v4
	s_delay_alu instid0(VALU_DEP_3) | instskip(SKIP_1) | instid1(VALU_DEP_1)
	v_fma_mix_f32 v5, v5, s2, v7 op_sel_hi:[1,0,0]
	s_and_b32 vcc_lo, exec_lo, vcc_lo
	v_exp_f32_e32 v5, v5
	s_waitcnt_depctr 0xfff
	v_fma_f32 v5, v5, v6, 1.0
	s_delay_alu instid0(VALU_DEP_1)
	v_rcp_f32_e32 v18, v5
	s_waitcnt_depctr 0xfff
	v_mov_b32_e32 v34, v18
	s_cbranch_vccnz .LBB175_6
; %bb.5:
	global_load_u16 v5, v3, s[6:7] offset:128
	s_waitcnt vmcnt(0)
	v_lshlrev_b32_e32 v5, 16, v5
	s_delay_alu instid0(VALU_DEP_1)
	v_add_f32_e32 v34, v18, v5
.LBB175_6:
	global_load_u16 v5, v[1:2], off offset:192
	s_waitcnt vmcnt(0)
	v_cvt_f32_f16_e32 v6, v5
	s_delay_alu instid0(VALU_DEP_1) | instskip(NEXT) | instid1(VALU_DEP_1)
	v_mul_f32_e32 v6, 0xbfb8aa3b, v6
	v_cmp_gt_f32_e32 vcc_lo, 0xc2fc0000, v6
	v_cndmask_b32_e64 v7, 0, 0x42800000, vcc_lo
	v_cndmask_b32_e64 v6, 1.0, 0x1f800000, vcc_lo
	v_cmp_ne_u32_e32 vcc_lo, 1, v4
	s_delay_alu instid0(VALU_DEP_3) | instskip(SKIP_1) | instid1(VALU_DEP_1)
	v_fma_mix_f32 v5, v5, s2, v7 op_sel_hi:[1,0,0]
	s_and_b32 vcc_lo, exec_lo, vcc_lo
	v_exp_f32_e32 v5, v5
	s_waitcnt_depctr 0xfff
	v_fma_f32 v5, v5, v6, 1.0
	s_delay_alu instid0(VALU_DEP_1)
	v_rcp_f32_e32 v19, v5
	s_waitcnt_depctr 0xfff
	v_mov_b32_e32 v35, v19
	s_cbranch_vccnz .LBB175_8
; %bb.7:
	global_load_u16 v5, v3, s[6:7] offset:192
	s_waitcnt vmcnt(0)
	v_lshlrev_b32_e32 v5, 16, v5
	s_delay_alu instid0(VALU_DEP_1)
	v_add_f32_e32 v35, v19, v5
.LBB175_8:
	global_load_u16 v5, v[1:2], off offset:256
	;; [unrolled: 27-line block ×5, first 2 shown]
	s_waitcnt vmcnt(0)
	v_cvt_f32_f16_e32 v2, v1
	s_delay_alu instid0(VALU_DEP_1) | instskip(NEXT) | instid1(VALU_DEP_1)
	v_mul_f32_e32 v2, 0xbfb8aa3b, v2
	v_cmp_gt_f32_e32 vcc_lo, 0xc2fc0000, v2
	v_cndmask_b32_e64 v5, 0, 0x42800000, vcc_lo
	v_cndmask_b32_e64 v2, 1.0, 0x1f800000, vcc_lo
	v_cmp_ne_u32_e32 vcc_lo, 1, v4
	s_delay_alu instid0(VALU_DEP_3) | instskip(NEXT) | instid1(VALU_DEP_1)
	v_fma_mix_f32 v1, v1, s2, v5 op_sel_hi:[1,0,0]
	v_exp_f32_e32 v1, v1
	s_waitcnt_depctr 0xfff
	v_fma_f32 v1, v1, v2, 1.0
	s_delay_alu instid0(VALU_DEP_1)
	v_rcp_f32_e32 v23, v1
	s_cbranch_vccnz .LBB175_16
; %bb.15:
	global_load_u16 v1, v3, s[6:7] offset:448
	s_waitcnt vmcnt(0)
	v_lshlrev_b32_e32 v1, 16, v1
	s_delay_alu instid0(VALU_DEP_1)
	v_add_f32_e32 v39, v23, v1
	s_branch .LBB175_17
.LBB175_16:
	s_waitcnt_depctr 0xfff
	v_mov_b32_e32 v39, v23
.LBB175_17:
	v_add_nc_u32_e32 v7, 0xe0, v0
	v_dual_mov_b32 v8, v32 :: v_dual_add_nc_u32 v1, 32, v0
	v_dual_mov_b32 v9, v33 :: v_dual_add_nc_u32 v2, 64, v0
	;; [unrolled: 1-line block ×6, first 2 shown]
	v_dual_mov_b32 v14, v38 :: v_dual_mov_b32 v31, v7
	s_delay_alu instid0(VALU_DEP_2)
	v_dual_mov_b32 v47, v7 :: v_dual_mov_b32 v46, v6
	v_dual_mov_b32 v78, v7 :: v_dual_mov_b32 v77, v6
	;; [unrolled: 1-line block ×9, first 2 shown]
	v_mov_b32_e32 v40, v0
	v_dual_mov_b32 v76, v5 :: v_dual_mov_b32 v75, v4
	v_dual_mov_b32 v74, v3 :: v_dual_mov_b32 v73, v2
	;; [unrolled: 1-line block ×7, first 2 shown]
	s_mov_b32 s2, exec_lo
	v_cmpx_lt_f32_e32 v32, v33
	s_xor_b32 s2, exec_lo, s2
	s_cbranch_execz .LBB175_19
; %bb.18:
	v_dual_mov_b32 v30, v6 :: v_dual_mov_b32 v31, v7
	v_dual_mov_b32 v24, v1 :: v_dual_mov_b32 v25, v0
	;; [unrolled: 1-line block ×4, first 2 shown]
	s_delay_alu instid0(VALU_DEP_4)
	v_dual_mov_b32 v47, v31 :: v_dual_mov_b32 v46, v30
	v_dual_mov_b32 v78, v31 :: v_dual_mov_b32 v77, v30
	;; [unrolled: 1-line block ×17, first 2 shown]
	v_mov_b32_e32 v17, v48
	v_mov_b32_e32 v1, v0
.LBB175_19:
	s_or_b32 exec_lo, exec_lo, s2
	v_dual_mov_b32 v62, v23 :: v_dual_mov_b32 v61, v22
	v_dual_mov_b32 v86, v23 :: v_dual_mov_b32 v85, v22
	;; [unrolled: 1-line block ×16, first 2 shown]
	v_mov_b32_e32 v32, v10
	s_mov_b32 s2, exec_lo
	v_cmpx_lt_f32_e32 v33, v10
	s_cbranch_execz .LBB175_21
; %bb.20:
	v_dual_mov_b32 v70, v31 :: v_dual_mov_b32 v69, v30
	v_dual_mov_b32 v64, v25 :: v_dual_mov_b32 v63, v24
	v_dual_mov_b32 v66, v27 :: v_dual_mov_b32 v65, v26
	v_dual_mov_b32 v64, v2 :: v_dual_mov_b32 v65, v1
	v_dual_mov_b32 v102, v23 :: v_dual_mov_b32 v101, v22
	v_dual_mov_b32 v96, v17 :: v_dual_mov_b32 v95, v16
	v_dual_mov_b32 v68, v29 :: v_dual_mov_b32 v67, v28
	v_dual_mov_b32 v98, v19 :: v_dual_mov_b32 v97, v18
	v_dual_mov_b32 v100, v21 :: v_dual_mov_b32 v99, v20
	v_dual_mov_b32 v96, v18 :: v_dual_mov_b32 v97, v17
	v_dual_mov_b32 v78, v70 :: v_dual_mov_b32 v77, v69
	v_dual_mov_b32 v74, v66 :: v_dual_mov_b32 v73, v65
	v_dual_mov_b32 v72, v64 :: v_dual_mov_b32 v71, v63
	v_mov_b32_e32 v74, v3
	v_dual_mov_b32 v87, v95 :: v_dual_mov_b32 v88, v96
	v_dual_mov_b32 v76, v68 :: v_dual_mov_b32 v75, v67
	v_dual_mov_b32 v90, v98 :: v_dual_mov_b32 v91, v99
	v_dual_mov_b32 v89, v97 :: v_dual_mov_b32 v92, v100
	v_dual_mov_b32 v93, v101 :: v_dual_mov_b32 v94, v102
	v_mov_b32_e32 v90, v19
	v_dual_mov_b32 v40, v71 :: v_dual_mov_b32 v45, v76
	v_mov_b32_e32 v41, v72
	v_dual_mov_b32 v43, v74 :: v_dual_mov_b32 v46, v77
	;; [unrolled: 2-line block ×3, first 2 shown]
	v_dual_mov_b32 v42, v73 :: v_dual_mov_b32 v47, v78
	v_dual_mov_b32 v44, v4 :: v_dual_mov_b32 v81, v89
	;; [unrolled: 1-line block ×5, first 2 shown]
	v_mov_b32_e32 v84, v92
	v_mov_b32_e32 v86, v94
	v_dual_mov_b32 v24, v40 :: v_dual_mov_b32 v29, v45
	v_dual_mov_b32 v30, v46 :: v_dual_mov_b32 v25, v41
	;; [unrolled: 1-line block ×6, first 2 shown]
	v_mov_b32_e32 v61, v22
	v_mov_b32_e32 v62, v86
	v_dual_mov_b32 v28, v44 :: v_dual_mov_b32 v29, v5
	v_dual_mov_b32 v31, v7 :: v_dual_mov_b32 v32, v33
	;; [unrolled: 1-line block ×3, first 2 shown]
	v_mov_b32_e32 v57, v81
	v_mov_b32_e32 v60, v21
	;; [unrolled: 1-line block ×5, first 2 shown]
.LBB175_21:
	s_or_b32 exec_lo, exec_lo, s2
	v_mov_b32_e32 v1, v11
	s_mov_b32 s2, exec_lo
	v_cmpx_lt_f32_e32 v32, v11
	s_cbranch_execz .LBB175_23
; %bb.22:
	v_mov_b32_e32 v97, v19
	v_mov_b32_e32 v65, v3
	v_dual_mov_b32 v87, v95 :: v_dual_mov_b32 v88, v96
	v_mov_b32_e32 v78, v70
	v_dual_mov_b32 v92, v100 :: v_dual_mov_b32 v71, v63
	v_dual_mov_b32 v90, v98 :: v_dual_mov_b32 v91, v99
	;; [unrolled: 1-line block ×8, first 2 shown]
	v_mov_b32_e32 v80, v88
	s_delay_alu instid0(VALU_DEP_3)
	v_dual_mov_b32 v40, v71 :: v_dual_mov_b32 v41, v72
	v_dual_mov_b32 v83, v91 :: v_dual_mov_b32 v84, v92
	;; [unrolled: 1-line block ×20, first 2 shown]
	v_mov_b32_e32 v1, v32
	v_mov_b32_e32 v19, v18
	v_mov_b32_e32 v3, v2
.LBB175_23:
	s_or_b32 exec_lo, exec_lo, s2
	v_mov_b32_e32 v2, v12
	s_mov_b32 s2, exec_lo
	v_cmpx_lt_f32_e32 v1, v12
	s_cbranch_execz .LBB175_25
; %bb.24:
	v_mov_b32_e32 v98, v20
	v_dual_mov_b32 v66, v4 :: v_dual_mov_b32 v79, v95
	v_dual_mov_b32 v40, v63 :: v_dual_mov_b32 v41, v64
	;; [unrolled: 1-line block ×3, first 2 shown]
	s_delay_alu instid0(VALU_DEP_3)
	v_dual_mov_b32 v43, v66 :: v_dual_mov_b32 v80, v96
	v_mov_b32_e32 v81, v97
	v_dual_mov_b32 v46, v69 :: v_dual_mov_b32 v83, v99
	v_dual_mov_b32 v42, v65 :: v_dual_mov_b32 v45, v68
	;; [unrolled: 1-line block ×5, first 2 shown]
	v_mov_b32_e32 v44, v3
	v_dual_mov_b32 v55, v79 :: v_dual_mov_b32 v56, v80
	v_dual_mov_b32 v57, v81 :: v_dual_mov_b32 v24, v40
	v_dual_mov_b32 v25, v41 :: v_dual_mov_b32 v30, v46
	v_dual_mov_b32 v59, v83 :: v_dual_mov_b32 v26, v42
	v_dual_mov_b32 v29, v45 :: v_dual_mov_b32 v28, v44
	v_dual_mov_b32 v31, v47 :: v_dual_mov_b32 v58, v82
	v_dual_mov_b32 v61, v85 :: v_dual_mov_b32 v60, v84
	v_dual_mov_b32 v29, v5 :: v_dual_mov_b32 v62, v86
	v_dual_mov_b32 v31, v7 :: v_dual_mov_b32 v30, v6
	v_dual_mov_b32 v87, v95 :: v_dual_mov_b32 v78, v70
	v_mov_b32_e32 v73, v65
	v_dual_mov_b32 v12, v1 :: v_dual_mov_b32 v27, v43
	v_dual_mov_b32 v60, v21 :: v_dual_mov_b32 v61, v22
	;; [unrolled: 1-line block ×8, first 2 shown]
	v_mov_b32_e32 v74, v66
	v_mov_b32_e32 v72, v64
	;; [unrolled: 1-line block ×5, first 2 shown]
.LBB175_25:
	s_or_b32 exec_lo, exec_lo, s2
	v_mov_b32_e32 v1, v13
	s_mov_b32 s2, exec_lo
	v_cmpx_lt_f32_e32 v2, v13
	s_cbranch_execz .LBB175_27
; %bb.26:
	v_mov_b32_e32 v75, v5
	v_dual_mov_b32 v91, v21 :: v_dual_mov_b32 v24, v71
	v_mov_b32_e32 v30, v77
	v_mov_b32_e32 v30, v6
	v_mov_b32_e32 v31, v78
	v_mov_b32_e32 v29, v76
	v_dual_mov_b32 v55, v87 :: v_dual_mov_b32 v60, v92
	v_dual_mov_b32 v79, v87 :: v_dual_mov_b32 v82, v90
	;; [unrolled: 1-line block ×17, first 2 shown]
	v_mov_b32_e32 v21, v20
	v_mov_b32_e32 v5, v4
	;; [unrolled: 1-line block ×4, first 2 shown]
.LBB175_27:
	s_or_b32 exec_lo, exec_lo, s2
	v_mov_b32_e32 v2, v14
	s_mov_b32 s2, exec_lo
	v_cmpx_lt_f32_e32 v1, v14
	s_cbranch_execz .LBB175_29
; %bb.28:
	v_dual_mov_b32 v45, v6 :: v_dual_mov_b32 v46, v5
	v_dual_mov_b32 v84, v22 :: v_dual_mov_b32 v85, v21
	;; [unrolled: 1-line block ×12, first 2 shown]
	v_mov_b32_e32 v2, v1
.LBB175_29:
	s_or_b32 exec_lo, exec_lo, s2
	s_delay_alu instid0(VALU_DEP_1)
	v_cmp_lt_f32_e32 vcc_lo, v2, v15
	v_dual_mov_b32 v40, v56 :: v_dual_mov_b32 v43, v59
	v_cmp_lt_f32_e64 s2, v8, v9
	v_dual_mov_b32 v41, v57 :: v_dual_mov_b32 v42, v58
	v_dual_cndmask_b32 v23, v15, v2 :: v_dual_cndmask_b32 v14, v14, v15
	v_dual_cndmask_b32 v46, v62, v61 :: v_dual_mov_b32 v39, v55
	s_delay_alu instid0(VALU_DEP_2) | instskip(SKIP_3) | instid1(VALU_DEP_4)
	v_dual_mov_b32 v44, v60 :: v_dual_mov_b32 v15, v23
	v_cndmask_b32_e32 v45, v61, v62, vcc_lo
	v_dual_cndmask_b32 v54, v31, v30 :: v_dual_cndmask_b32 v53, v30, v31
	v_dual_mov_b32 v47, v24 :: v_dual_mov_b32 v50, v27
	v_mov_b32_e32 v22, v15
	v_dual_mov_b32 v21, v14 :: v_dual_mov_b32 v20, v13
	v_dual_mov_b32 v19, v12 :: v_dual_mov_b32 v18, v11
	;; [unrolled: 1-line block ×5, first 2 shown]
	v_mov_b32_e32 v51, v28
	s_and_saveexec_b32 s3, s2
	s_delay_alu instid0(SALU_CYCLE_1)
	s_xor_b32 s2, exec_lo, s3
	s_cbranch_execz .LBB175_31
; %bb.30:
	v_dual_mov_b32 v16, v9 :: v_dual_mov_b32 v17, v8
	v_dual_mov_b32 v18, v10 :: v_dual_mov_b32 v19, v11
	;; [unrolled: 1-line block ×4, first 2 shown]
	s_delay_alu instid0(VALU_DEP_4)
	v_dual_mov_b32 v15, v16 :: v_dual_mov_b32 v40, v55
	v_dual_mov_b32 v16, v17 :: v_dual_mov_b32 v39, v56
	v_dual_mov_b32 v17, v18 :: v_dual_mov_b32 v44, v60
	v_dual_mov_b32 v18, v19 :: v_dual_mov_b32 v41, v57
	v_dual_mov_b32 v19, v20 :: v_dual_mov_b32 v42, v58
	v_dual_mov_b32 v20, v21 :: v_dual_mov_b32 v43, v59
	v_dual_mov_b32 v21, v22 :: v_dual_mov_b32 v48, v24
	v_dual_mov_b32 v22, v23 :: v_dual_mov_b32 v47, v25
	v_dual_mov_b32 v49, v26 :: v_dual_mov_b32 v50, v27
	v_dual_mov_b32 v51, v28 :: v_dual_mov_b32 v52, v29
.LBB175_31:
	s_or_b32 exec_lo, exec_lo, s2
	v_dual_mov_b32 v31, v39 :: v_dual_mov_b32 v32, v40
	v_dual_mov_b32 v78, v46 :: v_dual_mov_b32 v77, v45
	;; [unrolled: 1-line block ×22, first 2 shown]
	v_mov_b32_e32 v10, v17
	s_mov_b32 s2, exec_lo
	v_dual_mov_b32 v76, v44 :: v_dual_mov_b32 v75, v43
	v_dual_mov_b32 v68, v52 :: v_dual_mov_b32 v67, v51
	v_cmpx_lt_f32_e32 v9, v17
	s_cbranch_execz .LBB175_33
; %bb.32:
	v_dual_mov_b32 v1, v47 :: v_dual_mov_b32 v2, v48
	v_dual_mov_b32 v7, v53 :: v_dual_mov_b32 v8, v54
	v_mov_b32_e32 v2, v49
	v_dual_mov_b32 v3, v49 :: v_dual_mov_b32 v4, v50
	v_dual_mov_b32 v5, v51 :: v_dual_mov_b32 v6, v52
	;; [unrolled: 1-line block ×7, first 2 shown]
	v_mov_b32_e32 v57, v40
	v_dual_mov_b32 v70, v8 :: v_dual_mov_b32 v69, v7
	v_dual_mov_b32 v64, v2 :: v_dual_mov_b32 v63, v1
	;; [unrolled: 1-line block ×6, first 2 shown]
	v_mov_b32_e32 v66, v50
	v_dual_mov_b32 v16, v17 :: v_dual_mov_b32 v75, v59
	v_dual_mov_b32 v17, v9 :: v_dual_mov_b32 v76, v60
	;; [unrolled: 1-line block ×17, first 2 shown]
.LBB175_33:
	s_or_b32 exec_lo, exec_lo, s2
	v_mov_b32_e32 v9, v18
	s_mov_b32 s2, exec_lo
	s_delay_alu instid0(VALU_DEP_2)
	v_cmpx_lt_f32_e32 v10, v18
	s_cbranch_execz .LBB175_35
; %bb.34:
	v_mov_b32_e32 v3, v50
	v_dual_mov_b32 v57, v42 :: v_dual_mov_b32 v70, v8
	v_mov_b32_e32 v66, v4
	v_dual_mov_b32 v78, v62 :: v_dual_mov_b32 v77, v61
	v_mov_b32_e32 v66, v49
	v_mov_b32_e32 v63, v1
	;; [unrolled: 1-line block ×3, first 2 shown]
	v_dual_mov_b32 v69, v7 :: v_dual_mov_b32 v68, v6
	v_dual_mov_b32 v67, v5 :: v_dual_mov_b32 v64, v2
	v_dual_mov_b32 v17, v18 :: v_dual_mov_b32 v76, v60
	v_dual_mov_b32 v75, v59 :: v_dual_mov_b32 v74, v58
	v_mov_b32_e32 v65, v3
	v_dual_mov_b32 v73, v57 :: v_dual_mov_b32 v72, v56
	v_mov_b32_e32 v74, v41
	v_dual_mov_b32 v18, v10 :: v_dual_mov_b32 v23, v63
	v_dual_mov_b32 v24, v64 :: v_dual_mov_b32 v31, v71
	s_delay_alu instid0(VALU_DEP_4)
	v_dual_mov_b32 v32, v72 :: v_dual_mov_b32 v27, v67
	v_dual_mov_b32 v28, v68 :: v_dual_mov_b32 v29, v69
	;; [unrolled: 1-line block ×10, first 2 shown]
	v_mov_b32_e32 v38, v46
	v_dual_mov_b32 v9, v10 :: v_dual_mov_b32 v42, v41
	v_mov_b32_e32 v50, v49
.LBB175_35:
	s_or_b32 exec_lo, exec_lo, s2
	v_mov_b32_e32 v4, v19
	s_mov_b32 s2, exec_lo
	v_cmpx_lt_f32_e32 v9, v19
	s_cbranch_execz .LBB175_37
; %bb.36:
	v_mov_b32_e32 v4, v51
	v_dual_mov_b32 v18, v19 :: v_dual_mov_b32 v19, v9
	v_mov_b32_e32 v58, v43
	v_dual_mov_b32 v30, v8 :: v_dual_mov_b32 v29, v7
	v_dual_mov_b32 v28, v6 :: v_dual_mov_b32 v25, v3
	v_dual_mov_b32 v23, v1 :: v_dual_mov_b32 v28, v52
	v_mov_b32_e32 v31, v55
	v_dual_mov_b32 v27, v5 :: v_dual_mov_b32 v32, v56
	v_dual_mov_b32 v35, v59 :: v_dual_mov_b32 v34, v58
	;; [unrolled: 4-line block ×3, first 2 shown]
	v_dual_mov_b32 v70, v8 :: v_dual_mov_b32 v65, v3
	v_dual_mov_b32 v26, v4 :: v_dual_mov_b32 v27, v50
	;; [unrolled: 1-line block ×11, first 2 shown]
	v_mov_b32_e32 v64, v2
	v_dual_mov_b32 v4, v9 :: v_dual_mov_b32 v51, v50
.LBB175_37:
	s_or_b32 exec_lo, exec_lo, s2
	v_mov_b32_e32 v1, v20
	s_mov_b32 s2, exec_lo
	s_delay_alu instid0(VALU_DEP_2)
	v_cmpx_lt_f32_e32 v4, v20
	s_cbranch_execz .LBB175_39
; %bb.38:
	v_dual_mov_b32 v67, v52 :: v_dual_mov_b32 v68, v51
	v_dual_mov_b32 v69, v53 :: v_dual_mov_b32 v76, v43
	v_dual_mov_b32 v75, v44 :: v_dual_mov_b32 v78, v46
	v_dual_mov_b32 v77, v45 :: v_dual_mov_b32 v70, v54
	v_mov_b32_e32 v19, v20
	v_dual_mov_b32 v20, v4 :: v_dual_mov_b32 v31, v71
	v_dual_mov_b32 v23, v63 :: v_dual_mov_b32 v24, v64
	;; [unrolled: 1-line block ×9, first 2 shown]
.LBB175_39:
	s_or_b32 exec_lo, exec_lo, s2
	s_delay_alu instid0(VALU_DEP_1)
	v_cmp_lt_f32_e32 vcc_lo, v1, v21
	v_mov_b32_e32 v4, v18
	v_mov_b32_e32 v8, v22
	s_mov_b32 s2, exec_lo
	v_dual_mov_b32 v2, v16 :: v_dual_cndmask_b32 v9, v37, v36
	v_cndmask_b32_e32 v36, v36, v37, vcc_lo
	v_cndmask_b32_e32 v10, v29, v28, vcc_lo
	v_dual_cndmask_b32 v28, v28, v29 :: v_dual_mov_b32 v3, v17
	v_cndmask_b32_e32 v7, v21, v1, vcc_lo
	v_dual_cndmask_b32 v6, v20, v21 :: v_dual_mov_b32 v5, v19
	v_mov_b32_e32 v1, v15
	v_cmpx_lt_f32_e32 v15, v16
	s_cbranch_execz .LBB175_41
; %bb.40:
	s_delay_alu instid0(VALU_DEP_2)
	v_dual_mov_b32 v39, v2 :: v_dual_mov_b32 v40, v1
	v_dual_mov_b32 v41, v3 :: v_dual_mov_b32 v42, v4
	;; [unrolled: 1-line block ×4, first 2 shown]
	v_mov_b32_e32 v11, v31
	v_mov_b32_e32 v12, v23
	v_dual_mov_b32 v1, v39 :: v_dual_mov_b32 v4, v42
	v_swap_b32 v31, v32
	v_swap_b32 v23, v24
	v_dual_mov_b32 v2, v40 :: v_dual_mov_b32 v3, v41
	v_dual_mov_b32 v5, v43 :: v_dual_mov_b32 v6, v44
	;; [unrolled: 1-line block ×3, first 2 shown]
	v_mov_b32_e32 v16, v15
.LBB175_41:
	s_or_b32 exec_lo, exec_lo, s2
	v_mov_b32_e32 v29, v10
	v_dual_mov_b32 v37, v9 :: v_dual_mov_b32 v54, v30
	v_mov_b32_e32 v46, v38
	v_dual_mov_b32 v44, v36 :: v_dual_mov_b32 v39, v31
	v_dual_mov_b32 v70, v38 :: v_dual_mov_b32 v49, v25
	s_delay_alu instid0(VALU_DEP_4)
	v_dual_mov_b32 v62, v30 :: v_dual_mov_b32 v45, v37
	v_dual_mov_b32 v43, v35 :: v_dual_mov_b32 v42, v34
	;; [unrolled: 1-line block ×12, first 2 shown]
	v_mov_b32_e32 v57, v25
	v_mov_b32_e32 v55, v23
	;; [unrolled: 1-line block ×3, first 2 shown]
	s_mov_b32 s2, exec_lo
	v_cmpx_lt_f32_e32 v16, v3
	s_cbranch_execz .LBB175_43
; %bb.42:
	v_dual_mov_b32 v62, v30 :: v_dual_mov_b32 v61, v29
	v_dual_mov_b32 v58, v26 :: v_dual_mov_b32 v57, v25
	;; [unrolled: 1-line block ×7, first 2 shown]
	s_delay_alu instid0(VALU_DEP_4)
	v_dual_mov_b32 v47, v55 :: v_dual_mov_b32 v48, v56
	v_dual_mov_b32 v68, v36 :: v_dual_mov_b32 v67, v35
	;; [unrolled: 1-line block ×16, first 2 shown]
	v_mov_b32_e32 v44, v36
	v_dual_mov_b32 v46, v38 :: v_dual_mov_b32 v11, v16
	v_mov_b32_e32 v33, v32
	v_mov_b32_e32 v25, v24
.LBB175_43:
	s_or_b32 exec_lo, exec_lo, s2
	v_mov_b32_e32 v12, v4
	s_mov_b32 s2, exec_lo
	v_cmpx_lt_f32_e32 v11, v4
	s_cbranch_execz .LBB175_45
; %bb.44:
	v_mov_b32_e32 v57, v26
	v_dual_mov_b32 v3, v4 :: v_dual_mov_b32 v4, v11
	v_mov_b32_e32 v65, v34
	v_dual_mov_b32 v47, v55 :: v_dual_mov_b32 v52, v60
	v_dual_mov_b32 v48, v56 :: v_dual_mov_b32 v39, v63
	;; [unrolled: 1-line block ×3, first 2 shown]
	v_mov_b32_e32 v54, v62
	v_dual_mov_b32 v50, v58 :: v_dual_mov_b32 v51, v59
	v_mov_b32_e32 v50, v25
	v_dual_mov_b32 v53, v61 :: v_dual_mov_b32 v52, v28
	v_dual_mov_b32 v41, v65 :: v_dual_mov_b32 v44, v68
	;; [unrolled: 1-line block ×8, first 2 shown]
	v_mov_b32_e32 v12, v11
	v_mov_b32_e32 v34, v33
	;; [unrolled: 1-line block ×3, first 2 shown]
.LBB175_45:
	s_or_b32 exec_lo, exec_lo, s2
	v_mov_b32_e32 v11, v5
	s_mov_b32 s2, exec_lo
	v_cmpx_lt_f32_e32 v12, v5
	s_cbranch_execz .LBB175_47
; %bb.46:
	v_dual_mov_b32 v68, v36 :: v_dual_mov_b32 v69, v9
	v_dual_mov_b32 v58, v27 :: v_dual_mov_b32 v59, v26
	;; [unrolled: 1-line block ×4, first 2 shown]
	v_mov_b32_e32 v70, v38
	v_dual_mov_b32 v4, v5 :: v_dual_mov_b32 v5, v12
	v_dual_mov_b32 v62, v30 :: v_dual_mov_b32 v39, v63
	;; [unrolled: 1-line block ×10, first 2 shown]
.LBB175_47:
	s_or_b32 exec_lo, exec_lo, s2
	s_delay_alu instid0(VALU_DEP_1)
	v_cmp_lt_f32_e32 vcc_lo, v11, v6
	v_dual_mov_b32 v19, v1 :: v_dual_mov_b32 v26, v8
	v_mov_b32_e32 v21, v3
	v_mov_b32_e32 v25, v7
	v_dual_cndmask_b32 v27, v44, v43 :: v_dual_mov_b32 v20, v2
	v_dual_cndmask_b32 v43, v43, v44 :: v_dual_cndmask_b32 v28, v52, v51
	v_dual_cndmask_b32 v51, v51, v52 :: v_dual_cndmask_b32 v24, v6, v11
	v_dual_cndmask_b32 v23, v5, v6 :: v_dual_mov_b32 v22, v4
	s_mov_b32 s2, exec_lo
	v_cmpx_lt_f32_e32 v1, v2
	s_cbranch_execz .LBB175_49
; %bb.48:
	v_dual_mov_b32 v8, v25 :: v_dual_mov_b32 v9, v26
	v_dual_mov_b32 v2, v20 :: v_dual_mov_b32 v3, v19
	;; [unrolled: 1-line block ×4, first 2 shown]
	v_mov_b32_e32 v10, v39
	v_dual_mov_b32 v11, v47 :: v_dual_mov_b32 v26, v9
	v_swap_b32 v39, v40
	v_swap_b32 v47, v48
	v_dual_mov_b32 v25, v8 :: v_dual_mov_b32 v24, v7
	v_dual_mov_b32 v23, v6 :: v_dual_mov_b32 v22, v5
	;; [unrolled: 1-line block ×4, first 2 shown]
.LBB175_49:
	s_or_b32 exec_lo, exec_lo, s2
	v_mov_b32_e32 v52, v28
	v_mov_b32_e32 v44, v27
	;; [unrolled: 1-line block ×4, first 2 shown]
	v_dual_mov_b32 v11, v39 :: v_dual_mov_b32 v4, v48
	v_dual_mov_b32 v12, v40 :: v_dual_mov_b32 v13, v41
	;; [unrolled: 1-line block ×7, first 2 shown]
	v_mov_b32_e32 v10, v54
	s_mov_b32 s2, exec_lo
	v_cmpx_lt_f32_e32 v2, v21
	s_cbranch_execz .LBB175_51
; %bb.50:
	v_dual_mov_b32 v3, v47 :: v_dual_mov_b32 v4, v48
	v_dual_mov_b32 v9, v53 :: v_dual_mov_b32 v10, v54
	;; [unrolled: 1-line block ×17, first 2 shown]
	v_mov_b32_e32 v49, v48
.LBB175_51:
	s_or_b32 exec_lo, exec_lo, s2
	v_mov_b32_e32 v29, v22
	s_mov_b32 s2, exec_lo
	v_cmpx_lt_f32_e32 v1, v22
; %bb.52:
	v_dual_mov_b32 v21, v22 :: v_dual_mov_b32 v22, v1
	v_dual_mov_b32 v5, v50 :: v_dual_mov_b32 v6, v49
	;; [unrolled: 1-line block ×7, first 2 shown]
	v_mov_b32_e32 v29, v1
; %bb.53:
	s_or_b32 exec_lo, exec_lo, s2
	s_delay_alu instid0(VALU_DEP_1)
	v_cmp_lt_f32_e32 vcc_lo, v29, v23
	v_dual_mov_b32 v28, v20 :: v_dual_mov_b32 v33, v25
	v_mov_b32_e32 v32, v24
	v_dual_mov_b32 v34, v26 :: v_dual_cndmask_b32 v1, v15, v14
	v_cndmask_b32_e32 v14, v14, v15, vcc_lo
	v_cndmask_b32_e32 v2, v7, v6, vcc_lo
	v_dual_cndmask_b32 v6, v6, v7 :: v_dual_cndmask_b32 v31, v23, v29
	v_dual_cndmask_b32 v30, v22, v23 :: v_dual_mov_b32 v27, v19
	v_mov_b32_e32 v29, v21
	s_mov_b32 s2, exec_lo
	v_cmpx_lt_f32_e32 v19, v20
	s_cbranch_execz .LBB175_55
; %bb.54:
	v_dual_mov_b32 v20, v28 :: v_dual_mov_b32 v21, v27
	v_dual_mov_b32 v26, v33 :: v_dual_mov_b32 v27, v34
	;; [unrolled: 1-line block ×4, first 2 shown]
	s_delay_alu instid0(VALU_DEP_3)
	v_mov_b32_e32 v34, v27
	v_mov_b32_e32 v7, v11
	v_dual_mov_b32 v15, v3 :: v_dual_mov_b32 v28, v21
	v_swap_b32 v11, v12
	v_swap_b32 v3, v4
	v_dual_mov_b32 v33, v26 :: v_dual_mov_b32 v30, v23
	v_dual_mov_b32 v32, v25 :: v_dual_mov_b32 v31, v24
	v_mov_b32_e32 v29, v22
	v_dual_mov_b32 v27, v20 :: v_dual_mov_b32 v20, v19
.LBB175_55:
	s_or_b32 exec_lo, exec_lo, s2
	v_mov_b32_e32 v7, v2
	v_mov_b32_e32 v15, v1
	;; [unrolled: 1-line block ×3, first 2 shown]
	s_mov_b32 s2, exec_lo
	v_cmpx_lt_f32_e32 v20, v29
	s_cbranch_execz .LBB175_57
; %bb.56:
	v_dual_mov_b32 v42, v10 :: v_dual_mov_b32 v41, v9
	v_dual_mov_b32 v40, v8 :: v_dual_mov_b32 v39, v7
	;; [unrolled: 1-line block ×16, first 2 shown]
	v_mov_b32_e32 v18, v9
	s_delay_alu instid0(VALU_DEP_3) | instskip(NEXT) | instid1(VALU_DEP_4)
	v_dual_mov_b32 v16, v7 :: v_dual_mov_b32 v15, v6
	v_dual_mov_b32 v17, v8 :: v_dual_mov_b32 v14, v5
	v_dual_mov_b32 v13, v4 :: v_dual_mov_b32 v12, v3
	v_mov_b32_e32 v11, v2
	v_dual_mov_b32 v3, v35 :: v_dual_mov_b32 v4, v36
	v_dual_mov_b32 v5, v37 :: v_dual_mov_b32 v6, v38
	;; [unrolled: 1-line block ×4, first 2 shown]
	v_mov_b32_e32 v19, v20
.LBB175_57:
	s_or_b32 exec_lo, exec_lo, s2
	s_delay_alu instid0(VALU_DEP_1)
	v_cmp_lt_f32_e32 vcc_lo, v19, v30
	v_dual_mov_b32 v20, v7 :: v_dual_mov_b32 v21, v8
	v_dual_mov_b32 v22, v9 :: v_dual_mov_b32 v23, v10
	v_dual_cndmask_b32 v1, v14, v13 :: v_dual_cndmask_b32 v36, v5, v6
	v_dual_cndmask_b32 v35, v13, v14 :: v_dual_cndmask_b32 v2, v6, v5
	;; [unrolled: 1-line block ×3, first 2 shown]
	v_dual_mov_b32 v6, v15 :: v_dual_mov_b32 v13, v16
	v_dual_mov_b32 v14, v17 :: v_dual_mov_b32 v19, v18
	;; [unrolled: 1-line block ×4, first 2 shown]
	v_mov_b32_e32 v29, v34
	s_mov_b32 s2, exec_lo
	v_cmpx_lt_f32_e32 v27, v28
	s_cbranch_execz .LBB175_59
; %bb.58:
	v_dual_mov_b32 v24, v28 :: v_dual_mov_b32 v37, v27
	v_dual_mov_b32 v6, v11 :: v_dual_mov_b32 v13, v16
	v_dual_mov_b32 v20, v3 :: v_dual_mov_b32 v19, v18
	v_swap_b32 v11, v12
	v_swap_b32 v3, v4
	v_dual_mov_b32 v28, v27 :: v_dual_mov_b32 v21, v8
	v_dual_mov_b32 v6, v15 :: v_dual_mov_b32 v23, v10
	;; [unrolled: 1-line block ×5, first 2 shown]
	v_mov_b32_e32 v24, v31
	v_mov_b32_e32 v26, v33
.LBB175_59:
	s_or_b32 exec_lo, exec_lo, s2
	s_clause 0x1
	s_load_b32 s8, s[0:1], 0x28
	s_load_b128 s[4:7], s[0:1], 0x10
	v_mov_b32_e32 v8, 0
	s_waitcnt lgkmcnt(0)
	s_cmp_lt_i32 s8, 1
	s_cbranch_scc1 .LBB175_65
; %bb.60:
	v_cmp_lt_f32_e32 vcc_lo, v28, v30
	v_dual_mov_b32 v8, 0 :: v_dual_mov_b32 v9, 0
	s_mov_b32 s9, 0x76543210
	s_mov_b32 s10, s8
	v_dual_cndmask_b32 v7, v36, v4 :: v_dual_cndmask_b32 v18, v37, v30
	v_cndmask_b32_e32 v4, v4, v36, vcc_lo
	v_cndmask_b32_e32 v10, v30, v28, vcc_lo
	v_dual_cndmask_b32 v15, v35, v12 :: v_dual_cndmask_b32 v28, v12, v35
	s_delay_alu instid0(VALU_DEP_4) | instskip(NEXT) | instid1(VALU_DEP_1)
	v_cmp_lt_f32_e64 s2, v27, v18
	v_cndmask_b32_e64 v12, v4, v3, s2
	v_cndmask_b32_e64 v16, v3, v4, s2
	;; [unrolled: 1-line block ×6, first 2 shown]
	v_dual_mov_b32 v28, v0 :: v_dual_mov_b32 v3, 0
	v_mov_b32_e32 v4, 0
.LBB175_61:                             ; =>This Inner Loop Header: Depth=1
	v_cmp_eq_u32_e32 vcc_lo, 1, v9
	v_cmp_eq_u32_e64 s2, 2, v9
	v_dual_cndmask_b32 v30, v18, v17 :: v_dual_cndmask_b32 v31, v16, v12
	v_cndmask_b32_e32 v32, v11, v27, vcc_lo
	v_cmp_eq_u32_e32 vcc_lo, 3, v9
	s_delay_alu instid0(VALU_DEP_3) | instskip(NEXT) | instid1(VALU_DEP_4)
	v_cndmask_b32_e64 v30, v30, v10, s2
	v_cndmask_b32_e64 v31, v31, v7, s2
	s_delay_alu instid0(VALU_DEP_4) | instskip(SKIP_1) | instid1(VALU_DEP_3)
	v_cndmask_b32_e64 v32, v32, v15, s2
	v_cmp_eq_u32_e64 s2, 4, v9
	v_dual_cndmask_b32 v30, v30, v5 :: v_dual_cndmask_b32 v31, v31, v2
	s_delay_alu instid0(VALU_DEP_3) | instskip(SKIP_1) | instid1(VALU_DEP_3)
	v_cndmask_b32_e32 v32, v32, v1, vcc_lo
	v_cmp_eq_u32_e32 vcc_lo, 5, v9
	v_cndmask_b32_e64 v30, v30, v24, s2
	s_delay_alu instid0(VALU_DEP_4) | instskip(NEXT) | instid1(VALU_DEP_4)
	v_cndmask_b32_e64 v31, v31, v20, s2
	v_cndmask_b32_e64 v32, v32, v6, s2
	v_cmp_eq_u32_e64 s2, 6, v9
	s_delay_alu instid0(VALU_DEP_4) | instskip(NEXT) | instid1(VALU_DEP_4)
	v_cndmask_b32_e32 v30, v30, v25, vcc_lo
	v_cndmask_b32_e32 v31, v31, v21, vcc_lo
	s_delay_alu instid0(VALU_DEP_4) | instskip(SKIP_1) | instid1(VALU_DEP_4)
	v_cndmask_b32_e32 v32, v32, v13, vcc_lo
	v_cmp_eq_u32_e32 vcc_lo, 7, v9
	v_cndmask_b32_e64 v30, v30, v26, s2
	s_delay_alu instid0(VALU_DEP_4) | instskip(NEXT) | instid1(VALU_DEP_4)
	v_cndmask_b32_e64 v31, v31, v22, s2
	v_cndmask_b32_e64 v32, v32, v14, s2
	v_cmp_gt_u32_e64 s2, 8, v9
	s_delay_alu instid0(VALU_DEP_3) | instskip(NEXT) | instid1(VALU_DEP_1)
	v_dual_cndmask_b32 v30, v30, v29 :: v_dual_cndmask_b32 v31, v31, v23
	v_cndmask_b32_e64 v30, 0xff800000, v30, s2
	;;#ASMSTART
	v_max_f32 v34, v30, v30 quad_perm:[1,0,3,2] row_mask:0xf bank_mask:0xf bound_ctrl:1
	;;#ASMEND
	;;#ASMSTART
	v_max_f32 v35, v34, v34 quad_perm:[2,3,0,1] row_mask:0xf bank_mask:0xf bound_ctrl:1
	;;#ASMEND
	;;#ASMSTART
	v_max_f32 v34, v35, v35 row_half_mirror row_mask:0xf bank_mask:0xf bound_ctrl:1
	;;#ASMEND
	;;#ASMSTART
	v_max_f32 v35, v34, v34 row_mirror row_mask:0xf bank_mask:0xf bound_ctrl:1
	;;#ASMEND
	v_permlanex16_b32 v34, v35, s9, 0xfedcba98 op_sel:[1,1]
	v_max_f32_e32 v35, v35, v35
	v_cndmask_b32_e64 v33, 0, v31, s2
	s_delay_alu instid0(VALU_DEP_3) | instskip(NEXT) | instid1(VALU_DEP_1)
	v_max_f32_e32 v34, v34, v34
	v_max_f32_e32 v34, v35, v34
	s_delay_alu instid0(VALU_DEP_1) | instskip(SKIP_1) | instid1(VALU_DEP_2)
	v_cmp_eq_f32_e64 s3, v30, v34
	v_cndmask_b32_e32 v30, v32, v19, vcc_lo
	s_ctz_i32_b32 s11, s3
	s_cmp_lg_u32 s3, 0
	s_cselect_b32 s3, s11, 0
	s_add_i32 s10, s10, -1
	v_readlane_b32 s3, v33, s3
	s_delay_alu instid0(VALU_DEP_1)
	v_cmp_eq_u32_e32 vcc_lo, s3, v31
	s_and_b32 vcc_lo, s2, vcc_lo
	s_and_b32 s2, s3, 31
	v_cndmask_b32_e32 v30, 0, v30, vcc_lo
	v_add_co_ci_u32_e32 v9, vcc_lo, 0, v9, vcc_lo
	s_cmp_eq_u32 s10, 0
	s_delay_alu instid0(VALU_DEP_2) | instskip(SKIP_2) | instid1(VALU_DEP_3)
	v_readlane_b32 s11, v30, s2
	v_cmp_eq_u32_e64 s2, 0, v28
	v_add_nc_u32_e32 v28, -1, v28
	v_add_f32_e32 v8, s11, v8
	s_delay_alu instid0(VALU_DEP_3)
	v_cndmask_b32_e64 v4, v4, s11, s2
	v_cndmask_b32_e64 v3, v3, s3, s2
	s_cbranch_scc0 .LBB175_61
; %bb.62:
	s_mov_b32 s2, exec_lo
	v_cmpx_gt_i32_e64 s8, v0
	s_cbranch_execz .LBB175_64
.LBB175_63:
	s_load_b32 s2, s[0:1], 0x30
	v_max_f32_e32 v1, v8, v8
	s_load_b64 s[0:1], s[0:1], 0x20
	s_ashr_i32 s3, s15, 31
	s_delay_alu instid0(VALU_DEP_1) | instskip(SKIP_1) | instid1(VALU_DEP_1)
	v_dual_max_f32 v1, 0x1e3ce508, v1 :: v_dual_lshlrev_b32 v0, 2, v0
	s_waitcnt lgkmcnt(0)
	v_div_scale_f32 v2, null, v1, v1, s2
	v_div_scale_f32 v7, vcc_lo, s2, v1, s2
	s_mul_i32 s1, s15, s1
	s_delay_alu instid0(VALU_DEP_2)
	v_rcp_f32_e32 v5, v2
	s_mul_hi_u32 s8, s15, s0
	s_mul_i32 s3, s3, s0
	s_add_i32 s1, s8, s1
	s_mul_i32 s0, s15, s0
	s_add_i32 s1, s1, s3
	s_delay_alu instid0(SALU_CYCLE_1) | instskip(SKIP_2) | instid1(VALU_DEP_1)
	s_lshl_b64 s[0:1], s[0:1], 2
	s_waitcnt_depctr 0xfff
	v_fma_f32 v6, -v2, v5, 1.0
	v_fmac_f32_e32 v5, v6, v5
	s_delay_alu instid0(VALU_DEP_1) | instskip(NEXT) | instid1(VALU_DEP_1)
	v_mul_f32_e32 v6, v7, v5
	v_fma_f32 v8, -v2, v6, v7
	s_delay_alu instid0(VALU_DEP_1) | instskip(NEXT) | instid1(VALU_DEP_1)
	v_fmac_f32_e32 v6, v8, v5
	v_fma_f32 v2, -v2, v6, v7
	s_delay_alu instid0(VALU_DEP_1) | instskip(NEXT) | instid1(VALU_DEP_1)
	v_div_fmas_f32 v2, v2, v5, v6
	v_div_fixup_f32 v1, v2, v1, s2
	s_add_u32 s2, s4, s0
	s_addc_u32 s3, s5, s1
	s_add_u32 s0, s6, s0
	s_addc_u32 s1, s7, s1
	v_mul_f32_e32 v1, v4, v1
	s_clause 0x1
	global_store_b32 v0, v1, s[2:3]
	global_store_b32 v0, v3, s[0:1]
.LBB175_64:
	s_nop 0
	s_sendmsg sendmsg(MSG_DEALLOC_VGPRS)
	s_endpgm
.LBB175_65:
	v_dual_mov_b32 v3, 0 :: v_dual_mov_b32 v4, 0
	s_mov_b32 s2, exec_lo
	v_cmpx_gt_i32_e64 s8, v0
	s_cbranch_execnz .LBB175_63
	s_branch .LBB175_64
	.section	.rodata,"a",@progbits
	.p2align	6, 0x0
	.amdhsa_kernel _ZN5aiter24topk_softplus_kernel_optI6__half12hip_bfloat16Li256ELb1ELi1EEEvPKT_PKT0_PfPimiif
		.amdhsa_group_segment_fixed_size 0
		.amdhsa_private_segment_fixed_size 0
		.amdhsa_kernarg_size 52
		.amdhsa_user_sgpr_count 15
		.amdhsa_user_sgpr_dispatch_ptr 0
		.amdhsa_user_sgpr_queue_ptr 0
		.amdhsa_user_sgpr_kernarg_segment_ptr 1
		.amdhsa_user_sgpr_dispatch_id 0
		.amdhsa_user_sgpr_private_segment_size 0
		.amdhsa_wavefront_size32 1
		.amdhsa_uses_dynamic_stack 0
		.amdhsa_enable_private_segment 0
		.amdhsa_system_sgpr_workgroup_id_x 1
		.amdhsa_system_sgpr_workgroup_id_y 0
		.amdhsa_system_sgpr_workgroup_id_z 0
		.amdhsa_system_sgpr_workgroup_info 0
		.amdhsa_system_vgpr_workitem_id 0
		.amdhsa_next_free_vgpr 103
		.amdhsa_next_free_sgpr 16
		.amdhsa_reserve_vcc 1
		.amdhsa_float_round_mode_32 0
		.amdhsa_float_round_mode_16_64 0
		.amdhsa_float_denorm_mode_32 3
		.amdhsa_float_denorm_mode_16_64 3
		.amdhsa_dx10_clamp 1
		.amdhsa_ieee_mode 1
		.amdhsa_fp16_overflow 0
		.amdhsa_workgroup_processor_mode 1
		.amdhsa_memory_ordered 1
		.amdhsa_forward_progress 0
		.amdhsa_shared_vgpr_count 0
		.amdhsa_exception_fp_ieee_invalid_op 0
		.amdhsa_exception_fp_denorm_src 0
		.amdhsa_exception_fp_ieee_div_zero 0
		.amdhsa_exception_fp_ieee_overflow 0
		.amdhsa_exception_fp_ieee_underflow 0
		.amdhsa_exception_fp_ieee_inexact 0
		.amdhsa_exception_int_div_zero 0
	.end_amdhsa_kernel
	.section	.text._ZN5aiter24topk_softplus_kernel_optI6__half12hip_bfloat16Li256ELb1ELi1EEEvPKT_PKT0_PfPimiif,"axG",@progbits,_ZN5aiter24topk_softplus_kernel_optI6__half12hip_bfloat16Li256ELb1ELi1EEEvPKT_PKT0_PfPimiif,comdat
.Lfunc_end175:
	.size	_ZN5aiter24topk_softplus_kernel_optI6__half12hip_bfloat16Li256ELb1ELi1EEEvPKT_PKT0_PfPimiif, .Lfunc_end175-_ZN5aiter24topk_softplus_kernel_optI6__half12hip_bfloat16Li256ELb1ELi1EEEvPKT_PKT0_PfPimiif
                                        ; -- End function
	.section	.AMDGPU.csdata,"",@progbits
; Kernel info:
; codeLenInByte = 6996
; NumSgprs: 18
; NumVgprs: 103
; ScratchSize: 0
; MemoryBound: 0
; FloatMode: 240
; IeeeMode: 1
; LDSByteSize: 0 bytes/workgroup (compile time only)
; SGPRBlocks: 2
; VGPRBlocks: 12
; NumSGPRsForWavesPerEU: 18
; NumVGPRsForWavesPerEU: 103
; Occupancy: 12
; WaveLimiterHint : 0
; COMPUTE_PGM_RSRC2:SCRATCH_EN: 0
; COMPUTE_PGM_RSRC2:USER_SGPR: 15
; COMPUTE_PGM_RSRC2:TRAP_HANDLER: 0
; COMPUTE_PGM_RSRC2:TGID_X_EN: 1
; COMPUTE_PGM_RSRC2:TGID_Y_EN: 0
; COMPUTE_PGM_RSRC2:TGID_Z_EN: 0
; COMPUTE_PGM_RSRC2:TIDIG_COMP_CNT: 0
	.section	.text._ZN5aiter24topk_softplus_kernel_optI6__half12hip_bfloat16Li256ELb0ELi1EEEvPKT_PKT0_PfPimiif,"axG",@progbits,_ZN5aiter24topk_softplus_kernel_optI6__half12hip_bfloat16Li256ELb0ELi1EEEvPKT_PKT0_PfPimiif,comdat
	.protected	_ZN5aiter24topk_softplus_kernel_optI6__half12hip_bfloat16Li256ELb0ELi1EEEvPKT_PKT0_PfPimiif ; -- Begin function _ZN5aiter24topk_softplus_kernel_optI6__half12hip_bfloat16Li256ELb0ELi1EEEvPKT_PKT0_PfPimiif
	.globl	_ZN5aiter24topk_softplus_kernel_optI6__half12hip_bfloat16Li256ELb0ELi1EEEvPKT_PKT0_PfPimiif
	.p2align	8
	.type	_ZN5aiter24topk_softplus_kernel_optI6__half12hip_bfloat16Li256ELb0ELi1EEEvPKT_PKT0_PfPimiif,@function
_ZN5aiter24topk_softplus_kernel_optI6__half12hip_bfloat16Li256ELb0ELi1EEEvPKT_PKT0_PfPimiif: ; @_ZN5aiter24topk_softplus_kernel_optI6__half12hip_bfloat16Li256ELb0ELi1EEEvPKT_PKT0_PfPimiif
; %bb.0:
	s_load_b128 s[4:7], s[0:1], 0x0
	s_lshl_b32 s2, s15, 8
	v_lshlrev_b32_e32 v3, 1, v0
	s_ashr_i32 s3, s2, 31
	s_delay_alu instid0(SALU_CYCLE_1)
	s_lshl_b64 s[2:3], s[2:3], 1
	s_waitcnt lgkmcnt(0)
	s_add_u32 s4, s4, s2
	s_addc_u32 s5, s5, s3
	s_mov_b32 s3, 0xbfb8aa3b
	global_load_u16 v1, v3, s[4:5]
	s_cmp_lg_u64 s[6:7], 0
	s_cselect_b32 s2, -1, 0
	s_waitcnt vmcnt(0)
	v_cvt_f32_f16_e32 v2, v1
	s_delay_alu instid0(VALU_DEP_1) | instskip(NEXT) | instid1(VALU_DEP_1)
	v_mul_f32_e32 v2, 0xbfb8aa3b, v2
	v_cmp_gt_f32_e32 vcc_lo, 0xc2fc0000, v2
	v_cndmask_b32_e64 v2, 0, 0x42800000, vcc_lo
	s_delay_alu instid0(VALU_DEP_1) | instskip(SKIP_2) | instid1(VALU_DEP_2)
	v_fma_mix_f32 v1, v1, s3, v2 op_sel_hi:[1,0,0]
	v_cndmask_b32_e64 v2, 1.0, 0x1f800000, vcc_lo
	s_and_b32 vcc_lo, exec_lo, s2
	v_exp_f32_e32 v1, v1
	s_waitcnt_depctr 0xfff
	v_fma_f32 v1, v1, v2, 1.0
	s_delay_alu instid0(VALU_DEP_1) | instskip(SKIP_1) | instid1(VALU_DEP_1)
	v_rcp_f32_e32 v48, v1
	v_add_co_u32 v1, s4, s4, v3
	v_add_co_ci_u32_e64 v2, null, s5, 0, s4
	s_waitcnt_depctr 0xfff
	v_mov_b32_e32 v32, v48
	s_cbranch_vccz .LBB176_2
; %bb.1:
	global_load_u16 v4, v3, s[6:7]
	s_waitcnt vmcnt(0)
	v_lshlrev_b32_e32 v4, 16, v4
	s_delay_alu instid0(VALU_DEP_1)
	v_add_f32_e32 v32, v48, v4
.LBB176_2:
	global_load_u16 v4, v[1:2], off offset:64
	s_waitcnt vmcnt(0)
	v_cvt_f32_f16_e32 v5, v4
	s_delay_alu instid0(VALU_DEP_1) | instskip(NEXT) | instid1(VALU_DEP_1)
	v_mul_f32_e32 v5, 0xbfb8aa3b, v5
	v_cmp_gt_f32_e32 vcc_lo, 0xc2fc0000, v5
	v_cndmask_b32_e64 v6, 0, 0x42800000, vcc_lo
	v_cndmask_b32_e64 v5, 1.0, 0x1f800000, vcc_lo
	s_and_not1_b32 vcc_lo, exec_lo, s2
	s_delay_alu instid0(VALU_DEP_2) | instskip(NEXT) | instid1(VALU_DEP_1)
	v_fma_mix_f32 v4, v4, s3, v6 op_sel_hi:[1,0,0]
	v_exp_f32_e32 v4, v4
	s_waitcnt_depctr 0xfff
	v_fma_f32 v4, v4, v5, 1.0
	s_delay_alu instid0(VALU_DEP_1)
	v_rcp_f32_e32 v17, v4
	v_cndmask_b32_e64 v4, 0, 1, s2
	s_waitcnt_depctr 0xfff
	v_mov_b32_e32 v33, v17
	s_cbranch_vccnz .LBB176_4
; %bb.3:
	global_load_u16 v5, v3, s[6:7] offset:64
	s_waitcnt vmcnt(0)
	v_lshlrev_b32_e32 v5, 16, v5
	s_delay_alu instid0(VALU_DEP_1)
	v_add_f32_e32 v33, v17, v5
.LBB176_4:
	global_load_u16 v5, v[1:2], off offset:128
	s_mov_b32 s2, 0xbfb8aa3b
	s_waitcnt vmcnt(0)
	v_cvt_f32_f16_e32 v6, v5
	s_delay_alu instid0(VALU_DEP_1) | instskip(NEXT) | instid1(VALU_DEP_1)
	v_mul_f32_e32 v6, 0xbfb8aa3b, v6
	v_cmp_gt_f32_e32 vcc_lo, 0xc2fc0000, v6
	v_cndmask_b32_e64 v7, 0, 0x42800000, vcc_lo
	v_cndmask_b32_e64 v6, 1.0, 0x1f800000, vcc_lo
	v_cmp_ne_u32_e32 vcc_lo, 1, v4
	s_delay_alu instid0(VALU_DEP_3) | instskip(SKIP_1) | instid1(VALU_DEP_1)
	v_fma_mix_f32 v5, v5, s2, v7 op_sel_hi:[1,0,0]
	s_and_b32 vcc_lo, exec_lo, vcc_lo
	v_exp_f32_e32 v5, v5
	s_waitcnt_depctr 0xfff
	v_fma_f32 v5, v5, v6, 1.0
	s_delay_alu instid0(VALU_DEP_1)
	v_rcp_f32_e32 v18, v5
	s_waitcnt_depctr 0xfff
	v_mov_b32_e32 v34, v18
	s_cbranch_vccnz .LBB176_6
; %bb.5:
	global_load_u16 v5, v3, s[6:7] offset:128
	s_waitcnt vmcnt(0)
	v_lshlrev_b32_e32 v5, 16, v5
	s_delay_alu instid0(VALU_DEP_1)
	v_add_f32_e32 v34, v18, v5
.LBB176_6:
	global_load_u16 v5, v[1:2], off offset:192
	s_waitcnt vmcnt(0)
	v_cvt_f32_f16_e32 v6, v5
	s_delay_alu instid0(VALU_DEP_1) | instskip(NEXT) | instid1(VALU_DEP_1)
	v_mul_f32_e32 v6, 0xbfb8aa3b, v6
	v_cmp_gt_f32_e32 vcc_lo, 0xc2fc0000, v6
	v_cndmask_b32_e64 v7, 0, 0x42800000, vcc_lo
	v_cndmask_b32_e64 v6, 1.0, 0x1f800000, vcc_lo
	v_cmp_ne_u32_e32 vcc_lo, 1, v4
	s_delay_alu instid0(VALU_DEP_3) | instskip(SKIP_1) | instid1(VALU_DEP_1)
	v_fma_mix_f32 v5, v5, s2, v7 op_sel_hi:[1,0,0]
	s_and_b32 vcc_lo, exec_lo, vcc_lo
	v_exp_f32_e32 v5, v5
	s_waitcnt_depctr 0xfff
	v_fma_f32 v5, v5, v6, 1.0
	s_delay_alu instid0(VALU_DEP_1)
	v_rcp_f32_e32 v19, v5
	s_waitcnt_depctr 0xfff
	v_mov_b32_e32 v35, v19
	s_cbranch_vccnz .LBB176_8
; %bb.7:
	global_load_u16 v5, v3, s[6:7] offset:192
	s_waitcnt vmcnt(0)
	v_lshlrev_b32_e32 v5, 16, v5
	s_delay_alu instid0(VALU_DEP_1)
	v_add_f32_e32 v35, v19, v5
.LBB176_8:
	global_load_u16 v5, v[1:2], off offset:256
	;; [unrolled: 27-line block ×5, first 2 shown]
	s_waitcnt vmcnt(0)
	v_cvt_f32_f16_e32 v2, v1
	s_delay_alu instid0(VALU_DEP_1) | instskip(NEXT) | instid1(VALU_DEP_1)
	v_mul_f32_e32 v2, 0xbfb8aa3b, v2
	v_cmp_gt_f32_e32 vcc_lo, 0xc2fc0000, v2
	v_cndmask_b32_e64 v5, 0, 0x42800000, vcc_lo
	v_cndmask_b32_e64 v2, 1.0, 0x1f800000, vcc_lo
	v_cmp_ne_u32_e32 vcc_lo, 1, v4
	s_delay_alu instid0(VALU_DEP_3) | instskip(NEXT) | instid1(VALU_DEP_1)
	v_fma_mix_f32 v1, v1, s2, v5 op_sel_hi:[1,0,0]
	v_exp_f32_e32 v1, v1
	s_waitcnt_depctr 0xfff
	v_fma_f32 v1, v1, v2, 1.0
	s_delay_alu instid0(VALU_DEP_1)
	v_rcp_f32_e32 v23, v1
	s_cbranch_vccnz .LBB176_16
; %bb.15:
	global_load_u16 v1, v3, s[6:7] offset:448
	s_waitcnt vmcnt(0)
	v_lshlrev_b32_e32 v1, 16, v1
	s_delay_alu instid0(VALU_DEP_1)
	v_add_f32_e32 v39, v23, v1
	s_branch .LBB176_17
.LBB176_16:
	s_waitcnt_depctr 0xfff
	v_mov_b32_e32 v39, v23
.LBB176_17:
	v_add_nc_u32_e32 v7, 0xe0, v0
	v_dual_mov_b32 v8, v32 :: v_dual_add_nc_u32 v1, 32, v0
	v_dual_mov_b32 v9, v33 :: v_dual_add_nc_u32 v2, 64, v0
	;; [unrolled: 1-line block ×6, first 2 shown]
	v_dual_mov_b32 v14, v38 :: v_dual_mov_b32 v31, v7
	s_delay_alu instid0(VALU_DEP_2)
	v_dual_mov_b32 v47, v7 :: v_dual_mov_b32 v46, v6
	v_dual_mov_b32 v78, v7 :: v_dual_mov_b32 v77, v6
	;; [unrolled: 1-line block ×9, first 2 shown]
	v_mov_b32_e32 v40, v0
	v_dual_mov_b32 v76, v5 :: v_dual_mov_b32 v75, v4
	v_dual_mov_b32 v74, v3 :: v_dual_mov_b32 v73, v2
	;; [unrolled: 1-line block ×7, first 2 shown]
	s_mov_b32 s2, exec_lo
	v_cmpx_lt_f32_e32 v32, v33
	s_xor_b32 s2, exec_lo, s2
	s_cbranch_execz .LBB176_19
; %bb.18:
	v_dual_mov_b32 v30, v6 :: v_dual_mov_b32 v31, v7
	v_dual_mov_b32 v24, v1 :: v_dual_mov_b32 v25, v0
	;; [unrolled: 1-line block ×4, first 2 shown]
	s_delay_alu instid0(VALU_DEP_4)
	v_dual_mov_b32 v47, v31 :: v_dual_mov_b32 v46, v30
	v_dual_mov_b32 v78, v31 :: v_dual_mov_b32 v77, v30
	;; [unrolled: 1-line block ×17, first 2 shown]
	v_mov_b32_e32 v17, v48
	v_mov_b32_e32 v1, v0
.LBB176_19:
	s_or_b32 exec_lo, exec_lo, s2
	v_dual_mov_b32 v62, v23 :: v_dual_mov_b32 v61, v22
	v_dual_mov_b32 v86, v23 :: v_dual_mov_b32 v85, v22
	;; [unrolled: 1-line block ×16, first 2 shown]
	v_mov_b32_e32 v32, v10
	s_mov_b32 s2, exec_lo
	v_cmpx_lt_f32_e32 v33, v10
	s_cbranch_execz .LBB176_21
; %bb.20:
	v_dual_mov_b32 v70, v31 :: v_dual_mov_b32 v69, v30
	v_dual_mov_b32 v64, v25 :: v_dual_mov_b32 v63, v24
	;; [unrolled: 1-line block ×13, first 2 shown]
	v_mov_b32_e32 v74, v3
	v_dual_mov_b32 v87, v95 :: v_dual_mov_b32 v88, v96
	v_dual_mov_b32 v76, v68 :: v_dual_mov_b32 v75, v67
	;; [unrolled: 1-line block ×5, first 2 shown]
	v_mov_b32_e32 v90, v19
	v_dual_mov_b32 v40, v71 :: v_dual_mov_b32 v45, v76
	v_mov_b32_e32 v41, v72
	v_dual_mov_b32 v43, v74 :: v_dual_mov_b32 v46, v77
	v_mov_b32_e32 v79, v87
	v_dual_mov_b32 v44, v75 :: v_dual_mov_b32 v9, v10
	v_dual_mov_b32 v42, v73 :: v_dual_mov_b32 v47, v78
	v_dual_mov_b32 v44, v4 :: v_dual_mov_b32 v81, v89
	;; [unrolled: 1-line block ×5, first 2 shown]
	v_mov_b32_e32 v84, v92
	v_mov_b32_e32 v86, v94
	v_dual_mov_b32 v24, v40 :: v_dual_mov_b32 v29, v45
	v_dual_mov_b32 v30, v46 :: v_dual_mov_b32 v25, v41
	;; [unrolled: 1-line block ×6, first 2 shown]
	v_mov_b32_e32 v61, v22
	v_mov_b32_e32 v62, v86
	v_dual_mov_b32 v28, v44 :: v_dual_mov_b32 v29, v5
	v_dual_mov_b32 v31, v7 :: v_dual_mov_b32 v32, v33
	;; [unrolled: 1-line block ×3, first 2 shown]
	v_mov_b32_e32 v57, v81
	v_mov_b32_e32 v60, v21
	;; [unrolled: 1-line block ×5, first 2 shown]
.LBB176_21:
	s_or_b32 exec_lo, exec_lo, s2
	v_mov_b32_e32 v1, v11
	s_mov_b32 s2, exec_lo
	v_cmpx_lt_f32_e32 v32, v11
	s_cbranch_execz .LBB176_23
; %bb.22:
	v_mov_b32_e32 v97, v19
	v_mov_b32_e32 v65, v3
	v_dual_mov_b32 v87, v95 :: v_dual_mov_b32 v88, v96
	v_mov_b32_e32 v78, v70
	v_dual_mov_b32 v92, v100 :: v_dual_mov_b32 v71, v63
	v_dual_mov_b32 v90, v98 :: v_dual_mov_b32 v91, v99
	;; [unrolled: 1-line block ×8, first 2 shown]
	v_mov_b32_e32 v80, v88
	s_delay_alu instid0(VALU_DEP_3)
	v_dual_mov_b32 v40, v71 :: v_dual_mov_b32 v41, v72
	v_dual_mov_b32 v83, v91 :: v_dual_mov_b32 v84, v92
	;; [unrolled: 1-line block ×20, first 2 shown]
	v_mov_b32_e32 v1, v32
	v_mov_b32_e32 v19, v18
	;; [unrolled: 1-line block ×3, first 2 shown]
.LBB176_23:
	s_or_b32 exec_lo, exec_lo, s2
	v_mov_b32_e32 v2, v12
	s_mov_b32 s2, exec_lo
	v_cmpx_lt_f32_e32 v1, v12
	s_cbranch_execz .LBB176_25
; %bb.24:
	v_mov_b32_e32 v98, v20
	v_dual_mov_b32 v66, v4 :: v_dual_mov_b32 v79, v95
	v_dual_mov_b32 v40, v63 :: v_dual_mov_b32 v41, v64
	;; [unrolled: 1-line block ×3, first 2 shown]
	s_delay_alu instid0(VALU_DEP_3)
	v_dual_mov_b32 v43, v66 :: v_dual_mov_b32 v80, v96
	v_mov_b32_e32 v81, v97
	v_dual_mov_b32 v46, v69 :: v_dual_mov_b32 v83, v99
	v_dual_mov_b32 v42, v65 :: v_dual_mov_b32 v45, v68
	;; [unrolled: 1-line block ×5, first 2 shown]
	v_mov_b32_e32 v44, v3
	v_dual_mov_b32 v55, v79 :: v_dual_mov_b32 v56, v80
	v_dual_mov_b32 v57, v81 :: v_dual_mov_b32 v24, v40
	;; [unrolled: 1-line block ×10, first 2 shown]
	v_mov_b32_e32 v73, v65
	v_dual_mov_b32 v12, v1 :: v_dual_mov_b32 v27, v43
	v_dual_mov_b32 v60, v21 :: v_dual_mov_b32 v61, v22
	;; [unrolled: 1-line block ×8, first 2 shown]
	v_mov_b32_e32 v74, v66
	v_mov_b32_e32 v72, v64
	;; [unrolled: 1-line block ×5, first 2 shown]
.LBB176_25:
	s_or_b32 exec_lo, exec_lo, s2
	v_mov_b32_e32 v1, v13
	s_mov_b32 s2, exec_lo
	v_cmpx_lt_f32_e32 v2, v13
	s_cbranch_execz .LBB176_27
; %bb.26:
	v_mov_b32_e32 v75, v5
	v_dual_mov_b32 v91, v21 :: v_dual_mov_b32 v24, v71
	v_mov_b32_e32 v30, v77
	v_mov_b32_e32 v30, v6
	;; [unrolled: 1-line block ×4, first 2 shown]
	v_dual_mov_b32 v55, v87 :: v_dual_mov_b32 v60, v92
	v_dual_mov_b32 v79, v87 :: v_dual_mov_b32 v82, v90
	;; [unrolled: 1-line block ×17, first 2 shown]
	v_mov_b32_e32 v21, v20
	v_mov_b32_e32 v5, v4
	;; [unrolled: 1-line block ×4, first 2 shown]
.LBB176_27:
	s_or_b32 exec_lo, exec_lo, s2
	v_mov_b32_e32 v2, v14
	s_mov_b32 s2, exec_lo
	v_cmpx_lt_f32_e32 v1, v14
	s_cbranch_execz .LBB176_29
; %bb.28:
	v_dual_mov_b32 v45, v6 :: v_dual_mov_b32 v46, v5
	v_dual_mov_b32 v84, v22 :: v_dual_mov_b32 v85, v21
	;; [unrolled: 1-line block ×12, first 2 shown]
	v_mov_b32_e32 v2, v1
.LBB176_29:
	s_or_b32 exec_lo, exec_lo, s2
	s_delay_alu instid0(VALU_DEP_1)
	v_cmp_lt_f32_e32 vcc_lo, v2, v15
	v_dual_mov_b32 v40, v56 :: v_dual_mov_b32 v43, v59
	v_cmp_lt_f32_e64 s2, v8, v9
	v_dual_mov_b32 v41, v57 :: v_dual_mov_b32 v42, v58
	v_dual_cndmask_b32 v23, v15, v2 :: v_dual_cndmask_b32 v14, v14, v15
	v_dual_cndmask_b32 v46, v62, v61 :: v_dual_mov_b32 v39, v55
	s_delay_alu instid0(VALU_DEP_2) | instskip(SKIP_3) | instid1(VALU_DEP_4)
	v_dual_mov_b32 v44, v60 :: v_dual_mov_b32 v15, v23
	v_cndmask_b32_e32 v45, v61, v62, vcc_lo
	v_dual_cndmask_b32 v54, v31, v30 :: v_dual_cndmask_b32 v53, v30, v31
	v_dual_mov_b32 v47, v24 :: v_dual_mov_b32 v50, v27
	v_mov_b32_e32 v22, v15
	v_dual_mov_b32 v21, v14 :: v_dual_mov_b32 v20, v13
	v_dual_mov_b32 v19, v12 :: v_dual_mov_b32 v18, v11
	;; [unrolled: 1-line block ×5, first 2 shown]
	v_mov_b32_e32 v51, v28
	s_and_saveexec_b32 s3, s2
	s_delay_alu instid0(SALU_CYCLE_1)
	s_xor_b32 s2, exec_lo, s3
	s_cbranch_execz .LBB176_31
; %bb.30:
	v_dual_mov_b32 v16, v9 :: v_dual_mov_b32 v17, v8
	v_dual_mov_b32 v18, v10 :: v_dual_mov_b32 v19, v11
	;; [unrolled: 1-line block ×4, first 2 shown]
	s_delay_alu instid0(VALU_DEP_4)
	v_dual_mov_b32 v15, v16 :: v_dual_mov_b32 v40, v55
	v_dual_mov_b32 v16, v17 :: v_dual_mov_b32 v39, v56
	;; [unrolled: 1-line block ×10, first 2 shown]
.LBB176_31:
	s_or_b32 exec_lo, exec_lo, s2
	v_dual_mov_b32 v31, v39 :: v_dual_mov_b32 v32, v40
	v_dual_mov_b32 v78, v46 :: v_dual_mov_b32 v77, v45
	;; [unrolled: 1-line block ×22, first 2 shown]
	v_mov_b32_e32 v10, v17
	s_mov_b32 s2, exec_lo
	v_dual_mov_b32 v76, v44 :: v_dual_mov_b32 v75, v43
	v_dual_mov_b32 v68, v52 :: v_dual_mov_b32 v67, v51
	v_cmpx_lt_f32_e32 v9, v17
	s_cbranch_execz .LBB176_33
; %bb.32:
	v_dual_mov_b32 v1, v47 :: v_dual_mov_b32 v2, v48
	v_dual_mov_b32 v7, v53 :: v_dual_mov_b32 v8, v54
	v_mov_b32_e32 v2, v49
	v_dual_mov_b32 v3, v49 :: v_dual_mov_b32 v4, v50
	v_dual_mov_b32 v5, v51 :: v_dual_mov_b32 v6, v52
	;; [unrolled: 1-line block ×7, first 2 shown]
	v_mov_b32_e32 v57, v40
	v_dual_mov_b32 v70, v8 :: v_dual_mov_b32 v69, v7
	v_dual_mov_b32 v64, v2 :: v_dual_mov_b32 v63, v1
	;; [unrolled: 1-line block ×6, first 2 shown]
	v_mov_b32_e32 v66, v50
	v_dual_mov_b32 v16, v17 :: v_dual_mov_b32 v75, v59
	v_dual_mov_b32 v17, v9 :: v_dual_mov_b32 v76, v60
	;; [unrolled: 1-line block ×17, first 2 shown]
.LBB176_33:
	s_or_b32 exec_lo, exec_lo, s2
	v_mov_b32_e32 v9, v18
	s_mov_b32 s2, exec_lo
	s_delay_alu instid0(VALU_DEP_2)
	v_cmpx_lt_f32_e32 v10, v18
	s_cbranch_execz .LBB176_35
; %bb.34:
	v_mov_b32_e32 v3, v50
	v_dual_mov_b32 v57, v42 :: v_dual_mov_b32 v70, v8
	v_mov_b32_e32 v66, v4
	v_dual_mov_b32 v78, v62 :: v_dual_mov_b32 v77, v61
	v_mov_b32_e32 v66, v49
	v_mov_b32_e32 v63, v1
	;; [unrolled: 1-line block ×3, first 2 shown]
	v_dual_mov_b32 v69, v7 :: v_dual_mov_b32 v68, v6
	v_dual_mov_b32 v67, v5 :: v_dual_mov_b32 v64, v2
	;; [unrolled: 1-line block ×4, first 2 shown]
	v_mov_b32_e32 v65, v3
	v_dual_mov_b32 v73, v57 :: v_dual_mov_b32 v72, v56
	v_mov_b32_e32 v74, v41
	v_dual_mov_b32 v18, v10 :: v_dual_mov_b32 v23, v63
	v_dual_mov_b32 v24, v64 :: v_dual_mov_b32 v31, v71
	s_delay_alu instid0(VALU_DEP_4)
	v_dual_mov_b32 v32, v72 :: v_dual_mov_b32 v27, v67
	v_dual_mov_b32 v28, v68 :: v_dual_mov_b32 v29, v69
	;; [unrolled: 1-line block ×10, first 2 shown]
	v_mov_b32_e32 v38, v46
	v_dual_mov_b32 v9, v10 :: v_dual_mov_b32 v42, v41
	v_mov_b32_e32 v50, v49
.LBB176_35:
	s_or_b32 exec_lo, exec_lo, s2
	v_mov_b32_e32 v4, v19
	s_mov_b32 s2, exec_lo
	v_cmpx_lt_f32_e32 v9, v19
	s_cbranch_execz .LBB176_37
; %bb.36:
	v_mov_b32_e32 v4, v51
	v_dual_mov_b32 v18, v19 :: v_dual_mov_b32 v19, v9
	v_mov_b32_e32 v58, v43
	v_dual_mov_b32 v30, v8 :: v_dual_mov_b32 v29, v7
	v_dual_mov_b32 v28, v6 :: v_dual_mov_b32 v25, v3
	v_dual_mov_b32 v23, v1 :: v_dual_mov_b32 v28, v52
	v_mov_b32_e32 v31, v55
	v_dual_mov_b32 v27, v5 :: v_dual_mov_b32 v32, v56
	v_dual_mov_b32 v35, v59 :: v_dual_mov_b32 v34, v58
	;; [unrolled: 4-line block ×3, first 2 shown]
	v_dual_mov_b32 v70, v8 :: v_dual_mov_b32 v65, v3
	v_dual_mov_b32 v26, v4 :: v_dual_mov_b32 v27, v50
	;; [unrolled: 1-line block ×11, first 2 shown]
	v_mov_b32_e32 v64, v2
	v_dual_mov_b32 v4, v9 :: v_dual_mov_b32 v51, v50
.LBB176_37:
	s_or_b32 exec_lo, exec_lo, s2
	v_mov_b32_e32 v1, v20
	s_mov_b32 s2, exec_lo
	s_delay_alu instid0(VALU_DEP_2)
	v_cmpx_lt_f32_e32 v4, v20
	s_cbranch_execz .LBB176_39
; %bb.38:
	v_dual_mov_b32 v67, v52 :: v_dual_mov_b32 v68, v51
	v_dual_mov_b32 v69, v53 :: v_dual_mov_b32 v76, v43
	v_dual_mov_b32 v75, v44 :: v_dual_mov_b32 v78, v46
	v_dual_mov_b32 v77, v45 :: v_dual_mov_b32 v70, v54
	v_mov_b32_e32 v19, v20
	v_dual_mov_b32 v20, v4 :: v_dual_mov_b32 v31, v71
	v_dual_mov_b32 v23, v63 :: v_dual_mov_b32 v24, v64
	;; [unrolled: 1-line block ×9, first 2 shown]
.LBB176_39:
	s_or_b32 exec_lo, exec_lo, s2
	s_delay_alu instid0(VALU_DEP_1)
	v_cmp_lt_f32_e32 vcc_lo, v1, v21
	v_mov_b32_e32 v4, v18
	v_mov_b32_e32 v8, v22
	s_mov_b32 s2, exec_lo
	v_dual_mov_b32 v2, v16 :: v_dual_cndmask_b32 v9, v37, v36
	v_cndmask_b32_e32 v36, v36, v37, vcc_lo
	v_cndmask_b32_e32 v10, v29, v28, vcc_lo
	v_dual_cndmask_b32 v28, v28, v29 :: v_dual_mov_b32 v3, v17
	v_cndmask_b32_e32 v7, v21, v1, vcc_lo
	v_dual_cndmask_b32 v6, v20, v21 :: v_dual_mov_b32 v5, v19
	v_mov_b32_e32 v1, v15
	v_cmpx_lt_f32_e32 v15, v16
	s_cbranch_execz .LBB176_41
; %bb.40:
	s_delay_alu instid0(VALU_DEP_2)
	v_dual_mov_b32 v39, v2 :: v_dual_mov_b32 v40, v1
	v_dual_mov_b32 v41, v3 :: v_dual_mov_b32 v42, v4
	;; [unrolled: 1-line block ×4, first 2 shown]
	v_mov_b32_e32 v11, v31
	v_mov_b32_e32 v12, v23
	v_dual_mov_b32 v1, v39 :: v_dual_mov_b32 v4, v42
	v_swap_b32 v31, v32
	v_swap_b32 v23, v24
	v_dual_mov_b32 v2, v40 :: v_dual_mov_b32 v3, v41
	v_dual_mov_b32 v5, v43 :: v_dual_mov_b32 v6, v44
	;; [unrolled: 1-line block ×3, first 2 shown]
	v_mov_b32_e32 v16, v15
.LBB176_41:
	s_or_b32 exec_lo, exec_lo, s2
	v_mov_b32_e32 v29, v10
	v_dual_mov_b32 v37, v9 :: v_dual_mov_b32 v54, v30
	v_mov_b32_e32 v46, v38
	v_dual_mov_b32 v44, v36 :: v_dual_mov_b32 v39, v31
	v_dual_mov_b32 v70, v38 :: v_dual_mov_b32 v49, v25
	s_delay_alu instid0(VALU_DEP_4)
	v_dual_mov_b32 v62, v30 :: v_dual_mov_b32 v45, v37
	v_dual_mov_b32 v43, v35 :: v_dual_mov_b32 v42, v34
	;; [unrolled: 1-line block ×12, first 2 shown]
	v_mov_b32_e32 v57, v25
	v_mov_b32_e32 v55, v23
	;; [unrolled: 1-line block ×3, first 2 shown]
	s_mov_b32 s2, exec_lo
	v_cmpx_lt_f32_e32 v16, v3
	s_cbranch_execz .LBB176_43
; %bb.42:
	v_dual_mov_b32 v62, v30 :: v_dual_mov_b32 v61, v29
	v_dual_mov_b32 v58, v26 :: v_dual_mov_b32 v57, v25
	;; [unrolled: 1-line block ×7, first 2 shown]
	s_delay_alu instid0(VALU_DEP_4)
	v_dual_mov_b32 v47, v55 :: v_dual_mov_b32 v48, v56
	v_dual_mov_b32 v68, v36 :: v_dual_mov_b32 v67, v35
	;; [unrolled: 1-line block ×16, first 2 shown]
	v_mov_b32_e32 v44, v36
	v_dual_mov_b32 v46, v38 :: v_dual_mov_b32 v11, v16
	v_mov_b32_e32 v33, v32
	v_mov_b32_e32 v25, v24
.LBB176_43:
	s_or_b32 exec_lo, exec_lo, s2
	v_mov_b32_e32 v12, v4
	s_mov_b32 s2, exec_lo
	v_cmpx_lt_f32_e32 v11, v4
	s_cbranch_execz .LBB176_45
; %bb.44:
	v_mov_b32_e32 v57, v26
	v_dual_mov_b32 v3, v4 :: v_dual_mov_b32 v4, v11
	v_mov_b32_e32 v65, v34
	v_dual_mov_b32 v47, v55 :: v_dual_mov_b32 v52, v60
	v_dual_mov_b32 v48, v56 :: v_dual_mov_b32 v39, v63
	;; [unrolled: 1-line block ×3, first 2 shown]
	v_mov_b32_e32 v54, v62
	v_dual_mov_b32 v50, v58 :: v_dual_mov_b32 v51, v59
	v_mov_b32_e32 v50, v25
	v_dual_mov_b32 v53, v61 :: v_dual_mov_b32 v52, v28
	v_dual_mov_b32 v41, v65 :: v_dual_mov_b32 v44, v68
	;; [unrolled: 1-line block ×8, first 2 shown]
	v_mov_b32_e32 v12, v11
	v_mov_b32_e32 v34, v33
	;; [unrolled: 1-line block ×3, first 2 shown]
.LBB176_45:
	s_or_b32 exec_lo, exec_lo, s2
	v_mov_b32_e32 v11, v5
	s_mov_b32 s2, exec_lo
	v_cmpx_lt_f32_e32 v12, v5
	s_cbranch_execz .LBB176_47
; %bb.46:
	v_dual_mov_b32 v68, v36 :: v_dual_mov_b32 v69, v9
	v_dual_mov_b32 v58, v27 :: v_dual_mov_b32 v59, v26
	;; [unrolled: 1-line block ×4, first 2 shown]
	v_mov_b32_e32 v70, v38
	v_dual_mov_b32 v4, v5 :: v_dual_mov_b32 v5, v12
	v_dual_mov_b32 v62, v30 :: v_dual_mov_b32 v39, v63
	;; [unrolled: 1-line block ×10, first 2 shown]
.LBB176_47:
	s_or_b32 exec_lo, exec_lo, s2
	s_delay_alu instid0(VALU_DEP_1)
	v_cmp_lt_f32_e32 vcc_lo, v11, v6
	v_dual_mov_b32 v19, v1 :: v_dual_mov_b32 v26, v8
	v_mov_b32_e32 v21, v3
	v_mov_b32_e32 v25, v7
	v_dual_cndmask_b32 v27, v44, v43 :: v_dual_mov_b32 v20, v2
	v_dual_cndmask_b32 v43, v43, v44 :: v_dual_cndmask_b32 v28, v52, v51
	v_dual_cndmask_b32 v51, v51, v52 :: v_dual_cndmask_b32 v24, v6, v11
	v_dual_cndmask_b32 v23, v5, v6 :: v_dual_mov_b32 v22, v4
	s_mov_b32 s2, exec_lo
	v_cmpx_lt_f32_e32 v1, v2
	s_cbranch_execz .LBB176_49
; %bb.48:
	v_dual_mov_b32 v8, v25 :: v_dual_mov_b32 v9, v26
	v_dual_mov_b32 v2, v20 :: v_dual_mov_b32 v3, v19
	;; [unrolled: 1-line block ×4, first 2 shown]
	v_mov_b32_e32 v10, v39
	v_dual_mov_b32 v11, v47 :: v_dual_mov_b32 v26, v9
	v_swap_b32 v39, v40
	v_swap_b32 v47, v48
	v_dual_mov_b32 v25, v8 :: v_dual_mov_b32 v24, v7
	v_dual_mov_b32 v23, v6 :: v_dual_mov_b32 v22, v5
	;; [unrolled: 1-line block ×4, first 2 shown]
.LBB176_49:
	s_or_b32 exec_lo, exec_lo, s2
	v_mov_b32_e32 v52, v28
	v_mov_b32_e32 v44, v27
	;; [unrolled: 1-line block ×4, first 2 shown]
	v_dual_mov_b32 v11, v39 :: v_dual_mov_b32 v4, v48
	v_dual_mov_b32 v12, v40 :: v_dual_mov_b32 v13, v41
	;; [unrolled: 1-line block ×7, first 2 shown]
	v_mov_b32_e32 v10, v54
	s_mov_b32 s2, exec_lo
	v_cmpx_lt_f32_e32 v2, v21
	s_cbranch_execz .LBB176_51
; %bb.50:
	v_dual_mov_b32 v3, v47 :: v_dual_mov_b32 v4, v48
	v_dual_mov_b32 v9, v53 :: v_dual_mov_b32 v10, v54
	;; [unrolled: 1-line block ×17, first 2 shown]
	v_mov_b32_e32 v49, v48
.LBB176_51:
	s_or_b32 exec_lo, exec_lo, s2
	v_mov_b32_e32 v29, v22
	s_mov_b32 s2, exec_lo
	v_cmpx_lt_f32_e32 v1, v22
; %bb.52:
	v_dual_mov_b32 v21, v22 :: v_dual_mov_b32 v22, v1
	v_dual_mov_b32 v5, v50 :: v_dual_mov_b32 v6, v49
	;; [unrolled: 1-line block ×7, first 2 shown]
	v_mov_b32_e32 v29, v1
; %bb.53:
	s_or_b32 exec_lo, exec_lo, s2
	s_delay_alu instid0(VALU_DEP_1)
	v_cmp_lt_f32_e32 vcc_lo, v29, v23
	v_dual_mov_b32 v28, v20 :: v_dual_mov_b32 v33, v25
	v_mov_b32_e32 v32, v24
	v_dual_mov_b32 v34, v26 :: v_dual_cndmask_b32 v1, v15, v14
	v_cndmask_b32_e32 v14, v14, v15, vcc_lo
	v_cndmask_b32_e32 v2, v7, v6, vcc_lo
	v_dual_cndmask_b32 v6, v6, v7 :: v_dual_cndmask_b32 v31, v23, v29
	v_dual_cndmask_b32 v30, v22, v23 :: v_dual_mov_b32 v27, v19
	v_mov_b32_e32 v29, v21
	s_mov_b32 s2, exec_lo
	v_cmpx_lt_f32_e32 v19, v20
	s_cbranch_execz .LBB176_55
; %bb.54:
	v_dual_mov_b32 v20, v28 :: v_dual_mov_b32 v21, v27
	v_dual_mov_b32 v26, v33 :: v_dual_mov_b32 v27, v34
	;; [unrolled: 1-line block ×4, first 2 shown]
	s_delay_alu instid0(VALU_DEP_3)
	v_mov_b32_e32 v34, v27
	v_mov_b32_e32 v7, v11
	v_dual_mov_b32 v15, v3 :: v_dual_mov_b32 v28, v21
	v_swap_b32 v11, v12
	v_swap_b32 v3, v4
	v_dual_mov_b32 v33, v26 :: v_dual_mov_b32 v30, v23
	v_dual_mov_b32 v32, v25 :: v_dual_mov_b32 v31, v24
	v_mov_b32_e32 v29, v22
	v_dual_mov_b32 v27, v20 :: v_dual_mov_b32 v20, v19
.LBB176_55:
	s_or_b32 exec_lo, exec_lo, s2
	v_mov_b32_e32 v7, v2
	v_mov_b32_e32 v15, v1
	;; [unrolled: 1-line block ×3, first 2 shown]
	s_mov_b32 s2, exec_lo
	v_cmpx_lt_f32_e32 v20, v29
	s_cbranch_execz .LBB176_57
; %bb.56:
	v_dual_mov_b32 v42, v10 :: v_dual_mov_b32 v41, v9
	v_dual_mov_b32 v40, v8 :: v_dual_mov_b32 v39, v7
	v_dual_mov_b32 v38, v6 :: v_dual_mov_b32 v37, v5
	v_dual_mov_b32 v36, v4 :: v_dual_mov_b32 v35, v3
	v_dual_mov_b32 v36, v5 :: v_dual_mov_b32 v37, v4
	v_dual_mov_b32 v38, v6 :: v_dual_mov_b32 v41, v9
	v_dual_mov_b32 v39, v2 :: v_dual_mov_b32 v40, v8
	v_dual_mov_b32 v2, v11 :: v_dual_mov_b32 v3, v12
	v_dual_mov_b32 v8, v17 :: v_dual_mov_b32 v9, v18
	v_dual_mov_b32 v4, v13 :: v_dual_mov_b32 v5, v14
	v_dual_mov_b32 v6, v15 :: v_dual_mov_b32 v7, v16
	v_dual_mov_b32 v9, v18 :: v_dual_mov_b32 v28, v29
	v_dual_mov_b32 v3, v13 :: v_dual_mov_b32 v4, v12
	v_dual_mov_b32 v5, v14 :: v_dual_mov_b32 v6, v1
	v_dual_mov_b32 v7, v16 :: v_dual_mov_b32 v8, v17
	v_dual_mov_b32 v42, v10 :: v_dual_mov_b32 v29, v20
	v_mov_b32_e32 v18, v9
	s_delay_alu instid0(VALU_DEP_3) | instskip(NEXT) | instid1(VALU_DEP_4)
	v_dual_mov_b32 v16, v7 :: v_dual_mov_b32 v15, v6
	v_dual_mov_b32 v17, v8 :: v_dual_mov_b32 v14, v5
	;; [unrolled: 1-line block ×3, first 2 shown]
	v_mov_b32_e32 v11, v2
	v_dual_mov_b32 v3, v35 :: v_dual_mov_b32 v4, v36
	v_dual_mov_b32 v5, v37 :: v_dual_mov_b32 v6, v38
	;; [unrolled: 1-line block ×4, first 2 shown]
	v_mov_b32_e32 v19, v20
.LBB176_57:
	s_or_b32 exec_lo, exec_lo, s2
	s_delay_alu instid0(VALU_DEP_1)
	v_cmp_lt_f32_e32 vcc_lo, v19, v30
	v_dual_mov_b32 v20, v7 :: v_dual_mov_b32 v21, v8
	v_dual_mov_b32 v22, v9 :: v_dual_mov_b32 v23, v10
	v_dual_cndmask_b32 v1, v14, v13 :: v_dual_cndmask_b32 v36, v5, v6
	v_dual_cndmask_b32 v35, v13, v14 :: v_dual_cndmask_b32 v2, v6, v5
	;; [unrolled: 1-line block ×3, first 2 shown]
	v_dual_mov_b32 v6, v15 :: v_dual_mov_b32 v13, v16
	v_dual_mov_b32 v14, v17 :: v_dual_mov_b32 v19, v18
	;; [unrolled: 1-line block ×4, first 2 shown]
	v_mov_b32_e32 v29, v34
	s_mov_b32 s2, exec_lo
	v_cmpx_lt_f32_e32 v27, v28
	s_cbranch_execz .LBB176_59
; %bb.58:
	v_dual_mov_b32 v24, v28 :: v_dual_mov_b32 v37, v27
	v_dual_mov_b32 v6, v11 :: v_dual_mov_b32 v13, v16
	;; [unrolled: 1-line block ×3, first 2 shown]
	v_swap_b32 v11, v12
	v_swap_b32 v3, v4
	v_dual_mov_b32 v28, v27 :: v_dual_mov_b32 v21, v8
	v_dual_mov_b32 v6, v15 :: v_dual_mov_b32 v23, v10
	;; [unrolled: 1-line block ×5, first 2 shown]
	v_mov_b32_e32 v24, v31
	v_mov_b32_e32 v26, v33
.LBB176_59:
	s_or_b32 exec_lo, exec_lo, s2
	s_clause 0x1
	s_load_b32 s8, s[0:1], 0x28
	s_load_b128 s[4:7], s[0:1], 0x10
	s_waitcnt lgkmcnt(0)
	s_cmp_lt_i32 s8, 1
	s_cbranch_scc1 .LBB176_65
; %bb.60:
	v_cmp_lt_f32_e32 vcc_lo, v28, v30
	v_mov_b32_e32 v9, 0
	s_mov_b32 s9, 0x76543210
	s_mov_b32 s10, s8
	v_mov_b32_e32 v8, 0
	v_dual_cndmask_b32 v10, v35, v12 :: v_dual_cndmask_b32 v17, v37, v30
	v_cndmask_b32_e32 v7, v36, v4, vcc_lo
	v_cndmask_b32_e32 v15, v4, v36, vcc_lo
	;; [unrolled: 1-line block ×4, first 2 shown]
	v_cmp_lt_f32_e64 s2, v27, v17
	s_delay_alu instid0(VALU_DEP_1)
	v_cndmask_b32_e64 v12, v15, v3, s2
	v_cndmask_b32_e64 v15, v3, v15, s2
	v_mov_b32_e32 v3, 0
	v_cndmask_b32_e64 v16, v17, v27, s2
	v_cndmask_b32_e64 v17, v27, v17, s2
	;; [unrolled: 1-line block ×4, first 2 shown]
	v_mov_b32_e32 v27, v0
.LBB176_61:                             ; =>This Inner Loop Header: Depth=1
	v_cmp_eq_u32_e32 vcc_lo, 1, v9
	v_cmp_eq_u32_e64 s2, 2, v9
	v_cmp_gt_u32_e64 s3, 8, v9
	v_dual_cndmask_b32 v28, v17, v16 :: v_dual_cndmask_b32 v31, v11, v18
	v_cndmask_b32_e32 v30, v15, v12, vcc_lo
	v_cmp_eq_u32_e32 vcc_lo, 3, v9
	s_delay_alu instid0(VALU_DEP_3) | instskip(NEXT) | instid1(VALU_DEP_4)
	v_cndmask_b32_e64 v28, v28, v4, s2
	v_cndmask_b32_e64 v31, v31, v10, s2
	s_delay_alu instid0(VALU_DEP_4) | instskip(SKIP_1) | instid1(VALU_DEP_4)
	v_cndmask_b32_e64 v30, v30, v7, s2
	v_cmp_eq_u32_e64 s2, 4, v9
	v_cndmask_b32_e32 v28, v28, v5, vcc_lo
	s_delay_alu instid0(VALU_DEP_3) | instskip(SKIP_1) | instid1(VALU_DEP_3)
	v_dual_cndmask_b32 v31, v31, v1 :: v_dual_cndmask_b32 v30, v30, v2
	v_cmp_eq_u32_e32 vcc_lo, 5, v9
	v_cndmask_b32_e64 v28, v28, v24, s2
	s_delay_alu instid0(VALU_DEP_3) | instskip(NEXT) | instid1(VALU_DEP_4)
	v_cndmask_b32_e64 v31, v31, v6, s2
	v_cndmask_b32_e64 v30, v30, v20, s2
	v_cmp_eq_u32_e64 s2, 6, v9
	s_delay_alu instid0(VALU_DEP_4) | instskip(NEXT) | instid1(VALU_DEP_4)
	v_cndmask_b32_e32 v28, v28, v25, vcc_lo
	v_cndmask_b32_e32 v31, v31, v13, vcc_lo
	s_delay_alu instid0(VALU_DEP_4) | instskip(SKIP_1) | instid1(VALU_DEP_4)
	v_cndmask_b32_e32 v30, v30, v21, vcc_lo
	v_cmp_eq_u32_e32 vcc_lo, 7, v9
	v_cndmask_b32_e64 v28, v28, v26, s2
	s_delay_alu instid0(VALU_DEP_3) | instskip(NEXT) | instid1(VALU_DEP_2)
	v_cndmask_b32_e64 v30, v30, v22, s2
	v_cndmask_b32_e32 v28, v28, v29, vcc_lo
	s_delay_alu instid0(VALU_DEP_2) | instskip(NEXT) | instid1(VALU_DEP_2)
	v_cndmask_b32_e32 v30, v30, v23, vcc_lo
	v_cndmask_b32_e64 v28, 0xff800000, v28, s3
	;;#ASMSTART
	v_max_f32 v32, v28, v28 quad_perm:[1,0,3,2] row_mask:0xf bank_mask:0xf bound_ctrl:1
	;;#ASMEND
	;;#ASMSTART
	v_max_f32 v33, v32, v32 quad_perm:[2,3,0,1] row_mask:0xf bank_mask:0xf bound_ctrl:1
	;;#ASMEND
	;;#ASMSTART
	v_max_f32 v32, v33, v33 row_half_mirror row_mask:0xf bank_mask:0xf bound_ctrl:1
	;;#ASMEND
	;;#ASMSTART
	v_max_f32 v33, v32, v32 row_mirror row_mask:0xf bank_mask:0xf bound_ctrl:1
	;;#ASMEND
	v_permlanex16_b32 v32, v33, s9, 0xfedcba98 op_sel:[1,1]
	s_delay_alu instid0(VALU_DEP_1) | instskip(SKIP_1) | instid1(VALU_DEP_2)
	v_dual_max_f32 v33, v33, v33 :: v_dual_max_f32 v32, v32, v32
	v_cndmask_b32_e64 v31, v31, v14, s2
	v_max_f32_e32 v32, v33, v32
	s_delay_alu instid0(VALU_DEP_1) | instskip(SKIP_1) | instid1(VALU_DEP_2)
	v_cmp_eq_f32_e64 s2, v28, v32
	v_cndmask_b32_e64 v28, 0, v30, s3
	s_ctz_i32_b32 s11, s2
	s_cmp_lg_u32 s2, 0
	s_cselect_b32 s2, s11, 0
	s_add_i32 s10, s10, -1
	v_readlane_b32 s11, v28, s2
	v_cndmask_b32_e32 v28, v31, v19, vcc_lo
	s_delay_alu instid0(VALU_DEP_2)
	v_cmp_eq_u32_e32 vcc_lo, s11, v30
	s_and_b32 s2, s11, 31
	s_and_b32 vcc_lo, s3, vcc_lo
	s_cmp_eq_u32 s10, 0
	v_cndmask_b32_e32 v28, 0, v28, vcc_lo
	v_add_co_ci_u32_e32 v9, vcc_lo, 0, v9, vcc_lo
	s_delay_alu instid0(VALU_DEP_2) | instskip(SKIP_2) | instid1(VALU_DEP_2)
	v_readlane_b32 s3, v28, s2
	v_cmp_eq_u32_e64 s2, 0, v27
	v_add_nc_u32_e32 v27, -1, v27
	v_cndmask_b32_e64 v8, v8, s3, s2
	v_cndmask_b32_e64 v3, v3, s11, s2
	s_cbranch_scc0 .LBB176_61
; %bb.62:
	s_mov_b32 s2, exec_lo
	v_cmpx_gt_i32_e64 s8, v0
	s_cbranch_execz .LBB176_64
.LBB176_63:
	s_clause 0x1
	s_load_b64 s[2:3], s[0:1], 0x20
	s_load_b32 s8, s[0:1], 0x30
	s_ashr_i32 s0, s15, 31
	v_lshlrev_b32_e32 v0, 2, v0
	s_waitcnt lgkmcnt(0)
	s_mul_i32 s1, s15, s3
	s_mul_hi_u32 s3, s15, s2
	s_mul_i32 s0, s0, s2
	s_add_i32 s1, s3, s1
	v_mul_f32_e32 v1, s8, v8
	s_add_i32 s1, s1, s0
	s_mul_i32 s0, s15, s2
	s_delay_alu instid0(SALU_CYCLE_1) | instskip(NEXT) | instid1(SALU_CYCLE_1)
	s_lshl_b64 s[0:1], s[0:1], 2
	s_add_u32 s2, s4, s0
	s_addc_u32 s3, s5, s1
	s_add_u32 s0, s6, s0
	s_addc_u32 s1, s7, s1
	s_clause 0x1
	global_store_b32 v0, v1, s[2:3]
	global_store_b32 v0, v3, s[0:1]
.LBB176_64:
	s_nop 0
	s_sendmsg sendmsg(MSG_DEALLOC_VGPRS)
	s_endpgm
.LBB176_65:
	v_dual_mov_b32 v3, 0 :: v_dual_mov_b32 v8, 0
	s_mov_b32 s2, exec_lo
	v_cmpx_gt_i32_e64 s8, v0
	s_cbranch_execnz .LBB176_63
	s_branch .LBB176_64
	.section	.rodata,"a",@progbits
	.p2align	6, 0x0
	.amdhsa_kernel _ZN5aiter24topk_softplus_kernel_optI6__half12hip_bfloat16Li256ELb0ELi1EEEvPKT_PKT0_PfPimiif
		.amdhsa_group_segment_fixed_size 0
		.amdhsa_private_segment_fixed_size 0
		.amdhsa_kernarg_size 52
		.amdhsa_user_sgpr_count 15
		.amdhsa_user_sgpr_dispatch_ptr 0
		.amdhsa_user_sgpr_queue_ptr 0
		.amdhsa_user_sgpr_kernarg_segment_ptr 1
		.amdhsa_user_sgpr_dispatch_id 0
		.amdhsa_user_sgpr_private_segment_size 0
		.amdhsa_wavefront_size32 1
		.amdhsa_uses_dynamic_stack 0
		.amdhsa_enable_private_segment 0
		.amdhsa_system_sgpr_workgroup_id_x 1
		.amdhsa_system_sgpr_workgroup_id_y 0
		.amdhsa_system_sgpr_workgroup_id_z 0
		.amdhsa_system_sgpr_workgroup_info 0
		.amdhsa_system_vgpr_workitem_id 0
		.amdhsa_next_free_vgpr 103
		.amdhsa_next_free_sgpr 16
		.amdhsa_reserve_vcc 1
		.amdhsa_float_round_mode_32 0
		.amdhsa_float_round_mode_16_64 0
		.amdhsa_float_denorm_mode_32 3
		.amdhsa_float_denorm_mode_16_64 3
		.amdhsa_dx10_clamp 1
		.amdhsa_ieee_mode 1
		.amdhsa_fp16_overflow 0
		.amdhsa_workgroup_processor_mode 1
		.amdhsa_memory_ordered 1
		.amdhsa_forward_progress 0
		.amdhsa_shared_vgpr_count 0
		.amdhsa_exception_fp_ieee_invalid_op 0
		.amdhsa_exception_fp_denorm_src 0
		.amdhsa_exception_fp_ieee_div_zero 0
		.amdhsa_exception_fp_ieee_overflow 0
		.amdhsa_exception_fp_ieee_underflow 0
		.amdhsa_exception_fp_ieee_inexact 0
		.amdhsa_exception_int_div_zero 0
	.end_amdhsa_kernel
	.section	.text._ZN5aiter24topk_softplus_kernel_optI6__half12hip_bfloat16Li256ELb0ELi1EEEvPKT_PKT0_PfPimiif,"axG",@progbits,_ZN5aiter24topk_softplus_kernel_optI6__half12hip_bfloat16Li256ELb0ELi1EEEvPKT_PKT0_PfPimiif,comdat
.Lfunc_end176:
	.size	_ZN5aiter24topk_softplus_kernel_optI6__half12hip_bfloat16Li256ELb0ELi1EEEvPKT_PKT0_PfPimiif, .Lfunc_end176-_ZN5aiter24topk_softplus_kernel_optI6__half12hip_bfloat16Li256ELb0ELi1EEEvPKT_PKT0_PfPimiif
                                        ; -- End function
	.section	.AMDGPU.csdata,"",@progbits
; Kernel info:
; codeLenInByte = 6876
; NumSgprs: 18
; NumVgprs: 103
; ScratchSize: 0
; MemoryBound: 0
; FloatMode: 240
; IeeeMode: 1
; LDSByteSize: 0 bytes/workgroup (compile time only)
; SGPRBlocks: 2
; VGPRBlocks: 12
; NumSGPRsForWavesPerEU: 18
; NumVGPRsForWavesPerEU: 103
; Occupancy: 12
; WaveLimiterHint : 0
; COMPUTE_PGM_RSRC2:SCRATCH_EN: 0
; COMPUTE_PGM_RSRC2:USER_SGPR: 15
; COMPUTE_PGM_RSRC2:TRAP_HANDLER: 0
; COMPUTE_PGM_RSRC2:TGID_X_EN: 1
; COMPUTE_PGM_RSRC2:TGID_Y_EN: 0
; COMPUTE_PGM_RSRC2:TGID_Z_EN: 0
; COMPUTE_PGM_RSRC2:TIDIG_COMP_CNT: 0
	.section	.text._ZN5aiter24topk_softplus_kernel_optI6__half12hip_bfloat16Li384ELb1ELi1EEEvPKT_PKT0_PfPimiif,"axG",@progbits,_ZN5aiter24topk_softplus_kernel_optI6__half12hip_bfloat16Li384ELb1ELi1EEEvPKT_PKT0_PfPimiif,comdat
	.protected	_ZN5aiter24topk_softplus_kernel_optI6__half12hip_bfloat16Li384ELb1ELi1EEEvPKT_PKT0_PfPimiif ; -- Begin function _ZN5aiter24topk_softplus_kernel_optI6__half12hip_bfloat16Li384ELb1ELi1EEEvPKT_PKT0_PfPimiif
	.globl	_ZN5aiter24topk_softplus_kernel_optI6__half12hip_bfloat16Li384ELb1ELi1EEEvPKT_PKT0_PfPimiif
	.p2align	8
	.type	_ZN5aiter24topk_softplus_kernel_optI6__half12hip_bfloat16Li384ELb1ELi1EEEvPKT_PKT0_PfPimiif,@function
_ZN5aiter24topk_softplus_kernel_optI6__half12hip_bfloat16Li384ELb1ELi1EEEvPKT_PKT0_PfPimiif: ; @_ZN5aiter24topk_softplus_kernel_optI6__half12hip_bfloat16Li384ELb1ELi1EEEvPKT_PKT0_PfPimiif
; %bb.0:
	s_load_b128 s[4:7], s[0:1], 0x0
	s_mul_i32 s2, s15, 0x180
	v_lshlrev_b32_e32 v3, 1, v0
	s_ashr_i32 s3, s2, 31
	s_delay_alu instid0(SALU_CYCLE_1)
	s_lshl_b64 s[2:3], s[2:3], 1
	s_waitcnt lgkmcnt(0)
	s_add_u32 s4, s4, s2
	s_addc_u32 s5, s5, s3
	s_mov_b32 s3, 0xbfb8aa3b
	global_load_u16 v1, v3, s[4:5]
	s_cmp_lg_u64 s[6:7], 0
	s_cselect_b32 s2, -1, 0
	s_waitcnt vmcnt(0)
	v_cvt_f32_f16_e32 v2, v1
	s_delay_alu instid0(VALU_DEP_1) | instskip(NEXT) | instid1(VALU_DEP_1)
	v_mul_f32_e32 v2, 0xbfb8aa3b, v2
	v_cmp_gt_f32_e32 vcc_lo, 0xc2fc0000, v2
	v_cndmask_b32_e64 v2, 0, 0x42800000, vcc_lo
	s_delay_alu instid0(VALU_DEP_1) | instskip(SKIP_2) | instid1(VALU_DEP_2)
	v_fma_mix_f32 v1, v1, s3, v2 op_sel_hi:[1,0,0]
	v_cndmask_b32_e64 v2, 1.0, 0x1f800000, vcc_lo
	s_and_b32 vcc_lo, exec_lo, s2
	v_exp_f32_e32 v1, v1
	s_waitcnt_depctr 0xfff
	v_fma_f32 v1, v1, v2, 1.0
	s_delay_alu instid0(VALU_DEP_1) | instskip(SKIP_1) | instid1(VALU_DEP_1)
	v_rcp_f32_e32 v37, v1
	v_add_co_u32 v1, s4, s4, v3
	v_add_co_ci_u32_e64 v2, null, s5, 0, s4
	s_waitcnt_depctr 0xfff
	v_mov_b32_e32 v48, v37
	s_cbranch_vccz .LBB177_2
; %bb.1:
	global_load_u16 v4, v3, s[6:7]
	s_waitcnt vmcnt(0)
	v_lshlrev_b32_e32 v4, 16, v4
	s_delay_alu instid0(VALU_DEP_1)
	v_add_f32_e32 v48, v37, v4
.LBB177_2:
	global_load_u16 v4, v[1:2], off offset:64
	s_waitcnt vmcnt(0)
	v_cvt_f32_f16_e32 v5, v4
	s_delay_alu instid0(VALU_DEP_1) | instskip(NEXT) | instid1(VALU_DEP_1)
	v_mul_f32_e32 v5, 0xbfb8aa3b, v5
	v_cmp_gt_f32_e32 vcc_lo, 0xc2fc0000, v5
	v_cndmask_b32_e64 v6, 0, 0x42800000, vcc_lo
	v_cndmask_b32_e64 v5, 1.0, 0x1f800000, vcc_lo
	s_and_not1_b32 vcc_lo, exec_lo, s2
	s_delay_alu instid0(VALU_DEP_2) | instskip(NEXT) | instid1(VALU_DEP_1)
	v_fma_mix_f32 v4, v4, s3, v6 op_sel_hi:[1,0,0]
	v_exp_f32_e32 v4, v4
	s_waitcnt_depctr 0xfff
	v_fma_f32 v4, v4, v5, 1.0
	s_delay_alu instid0(VALU_DEP_1)
	v_rcp_f32_e32 v14, v4
	v_cndmask_b32_e64 v4, 0, 1, s2
	s_waitcnt_depctr 0xfff
	v_mov_b32_e32 v49, v14
	s_cbranch_vccnz .LBB177_4
; %bb.3:
	global_load_u16 v5, v3, s[6:7] offset:64
	s_waitcnt vmcnt(0)
	v_lshlrev_b32_e32 v5, 16, v5
	s_delay_alu instid0(VALU_DEP_1)
	v_add_f32_e32 v49, v14, v5
.LBB177_4:
	global_load_u16 v5, v[1:2], off offset:128
	s_mov_b32 s2, 0xbfb8aa3b
	s_waitcnt vmcnt(0)
	v_cvt_f32_f16_e32 v6, v5
	s_delay_alu instid0(VALU_DEP_1) | instskip(NEXT) | instid1(VALU_DEP_1)
	v_mul_f32_e32 v6, 0xbfb8aa3b, v6
	v_cmp_gt_f32_e32 vcc_lo, 0xc2fc0000, v6
	v_cndmask_b32_e64 v7, 0, 0x42800000, vcc_lo
	v_cndmask_b32_e64 v6, 1.0, 0x1f800000, vcc_lo
	v_cmp_ne_u32_e32 vcc_lo, 1, v4
	s_delay_alu instid0(VALU_DEP_3) | instskip(SKIP_1) | instid1(VALU_DEP_1)
	v_fma_mix_f32 v5, v5, s2, v7 op_sel_hi:[1,0,0]
	s_and_b32 vcc_lo, exec_lo, vcc_lo
	v_exp_f32_e32 v5, v5
	s_waitcnt_depctr 0xfff
	v_fma_f32 v5, v5, v6, 1.0
	s_delay_alu instid0(VALU_DEP_1)
	v_rcp_f32_e32 v15, v5
	s_waitcnt_depctr 0xfff
	v_mov_b32_e32 v50, v15
	s_cbranch_vccnz .LBB177_6
; %bb.5:
	global_load_u16 v5, v3, s[6:7] offset:128
	s_waitcnt vmcnt(0)
	v_lshlrev_b32_e32 v5, 16, v5
	s_delay_alu instid0(VALU_DEP_1)
	v_add_f32_e32 v50, v15, v5
.LBB177_6:
	global_load_u16 v5, v[1:2], off offset:192
	s_waitcnt vmcnt(0)
	v_cvt_f32_f16_e32 v6, v5
	s_delay_alu instid0(VALU_DEP_1) | instskip(NEXT) | instid1(VALU_DEP_1)
	v_mul_f32_e32 v6, 0xbfb8aa3b, v6
	v_cmp_gt_f32_e32 vcc_lo, 0xc2fc0000, v6
	v_cndmask_b32_e64 v7, 0, 0x42800000, vcc_lo
	v_cndmask_b32_e64 v6, 1.0, 0x1f800000, vcc_lo
	v_cmp_ne_u32_e32 vcc_lo, 1, v4
	s_delay_alu instid0(VALU_DEP_3) | instskip(SKIP_1) | instid1(VALU_DEP_1)
	v_fma_mix_f32 v5, v5, s2, v7 op_sel_hi:[1,0,0]
	s_and_b32 vcc_lo, exec_lo, vcc_lo
	v_exp_f32_e32 v5, v5
	s_waitcnt_depctr 0xfff
	v_fma_f32 v5, v5, v6, 1.0
	s_delay_alu instid0(VALU_DEP_1)
	v_rcp_f32_e32 v16, v5
	s_waitcnt_depctr 0xfff
	v_mov_b32_e32 v51, v16
	s_cbranch_vccnz .LBB177_8
; %bb.7:
	global_load_u16 v5, v3, s[6:7] offset:192
	s_waitcnt vmcnt(0)
	v_lshlrev_b32_e32 v5, 16, v5
	s_delay_alu instid0(VALU_DEP_1)
	v_add_f32_e32 v51, v16, v5
.LBB177_8:
	global_load_u16 v5, v[1:2], off offset:256
	;; [unrolled: 27-line block ×9, first 2 shown]
	s_waitcnt vmcnt(0)
	v_cvt_f32_f16_e32 v2, v1
	s_delay_alu instid0(VALU_DEP_1) | instskip(NEXT) | instid1(VALU_DEP_1)
	v_mul_f32_e32 v2, 0xbfb8aa3b, v2
	v_cmp_gt_f32_e32 vcc_lo, 0xc2fc0000, v2
	v_cndmask_b32_e64 v5, 0, 0x42800000, vcc_lo
	v_cndmask_b32_e64 v2, 1.0, 0x1f800000, vcc_lo
	v_cmp_ne_u32_e32 vcc_lo, 1, v4
	s_delay_alu instid0(VALU_DEP_3) | instskip(NEXT) | instid1(VALU_DEP_1)
	v_fma_mix_f32 v1, v1, s2, v5 op_sel_hi:[1,0,0]
	v_exp_f32_e32 v1, v1
	s_waitcnt_depctr 0xfff
	v_fma_f32 v1, v1, v2, 1.0
	s_delay_alu instid0(VALU_DEP_1)
	v_rcp_f32_e32 v24, v1
	s_cbranch_vccnz .LBB177_24
; %bb.23:
	global_load_u16 v1, v3, s[6:7] offset:704
	s_waitcnt vmcnt(0)
	v_lshlrev_b32_e32 v1, 16, v1
	s_delay_alu instid0(VALU_DEP_1)
	v_add_f32_e32 v59, v24, v1
	s_branch .LBB177_25
.LBB177_24:
	s_waitcnt_depctr 0xfff
	v_mov_b32_e32 v59, v24
.LBB177_25:
	v_dual_mov_b32 v1, v48 :: v_dual_add_nc_u32 v26, 32, v0
	v_dual_mov_b32 v2, v49 :: v_dual_add_nc_u32 v27, 64, v0
	;; [unrolled: 1-line block ×11, first 2 shown]
	v_dual_mov_b32 v12, v59 :: v_dual_mov_b32 v13, v37
	v_mov_b32_e32 v25, v0
	s_mov_b32 s2, exec_lo
	v_cmpx_lt_f32_e32 v48, v49
	s_xor_b32 s2, exec_lo, s2
; %bb.26:
	v_dual_mov_b32 v1, v49 :: v_dual_mov_b32 v2, v48
	v_dual_mov_b32 v3, v50 :: v_dual_mov_b32 v4, v51
	;; [unrolled: 1-line block ×6, first 2 shown]
	v_mov_b32_e32 v49, v48
	v_dual_mov_b32 v13, v14 :: v_dual_mov_b32 v14, v37
	v_dual_mov_b32 v25, v26 :: v_dual_mov_b32 v26, v0
; %bb.27:
	s_or_b32 exec_lo, exec_lo, s2
	v_dual_mov_b32 v122, v24 :: v_dual_mov_b32 v119, v21
	v_dual_mov_b32 v86, v24 :: v_dual_mov_b32 v85, v23
	;; [unrolled: 1-line block ×37, first 2 shown]
	s_clause 0x8
	scratch_store_b128 off, v[13:16], off
	scratch_store_b128 off, v[17:20], off offset:16
	scratch_store_b128 off, v[21:24], off offset:32
	;; [unrolled: 1-line block ×8, first 2 shown]
	v_dual_mov_b32 v72, v34 :: v_dual_mov_b32 v69, v31
	v_dual_mov_b32 v70, v32 :: v_dual_mov_b32 v67, v29
	;; [unrolled: 1-line block ×29, first 2 shown]
	v_mov_b32_e32 v160, v26
	s_clause 0x2
	scratch_store_b128 off, v[25:28], off offset:144
	scratch_store_b128 off, v[29:32], off offset:160
	;; [unrolled: 1-line block ×3, first 2 shown]
	s_mov_b32 s2, exec_lo
	v_dual_mov_b32 v182, v36 :: v_dual_mov_b32 v179, v33
	v_dual_mov_b32 v181, v35 :: v_dual_mov_b32 v180, v34
	;; [unrolled: 1-line block ×6, first 2 shown]
	v_cmpx_lt_f32_e32 v49, v3
	s_cbranch_execz .LBB177_29
; %bb.28:
	v_dual_mov_b32 v182, v36 :: v_dual_mov_b32 v179, v33
	v_dual_mov_b32 v174, v28 :: v_dual_mov_b32 v171, v25
	;; [unrolled: 1-line block ×3, first 2 shown]
	v_mov_b32_e32 v172, v26
	v_dual_mov_b32 v62, v49 :: v_dual_mov_b32 v181, v35
	v_dual_mov_b32 v180, v34 :: v_dual_mov_b32 v177, v31
	;; [unrolled: 1-line block ×11, first 2 shown]
	v_mov_b32_e32 v125, v14
	v_dual_mov_b32 v162, v174 :: v_dual_mov_b32 v163, v175
	v_dual_mov_b32 v164, v176 :: v_dual_mov_b32 v165, v177
	;; [unrolled: 1-line block ×5, first 2 shown]
	v_mov_b32_e32 v162, v28
	v_dual_mov_b32 v170, v182 :: v_dual_mov_b32 v37, v159
	s_clause 0x2
	scratch_store_b128 off, v[123:126], off offset:96
	scratch_store_b128 off, v[127:130], off offset:112
	;; [unrolled: 1-line block ×3, first 2 shown]
	v_dual_mov_b32 v42, v164 :: v_dual_mov_b32 v47, v169
	v_dual_mov_b32 v126, v16 :: v_dual_mov_b32 v45, v167
	;; [unrolled: 1-line block ×5, first 2 shown]
	v_mov_b32_e32 v38, v160
	v_mov_b32_e32 v40, v162
	s_clause 0x2
	scratch_store_b128 off, v[37:40], off offset:144
	scratch_store_b128 off, v[41:44], off offset:160
	;; [unrolled: 1-line block ×3, first 2 shown]
	v_dual_mov_b32 v2, v3 :: v_dual_mov_b32 v3, v49
	v_mov_b32_e32 v147, v159
	v_mov_b32_e32 v127, v17
	;; [unrolled: 1-line block ×3, first 2 shown]
	v_dual_mov_b32 v151, v163 :: v_dual_mov_b32 v148, v160
	v_dual_mov_b32 v153, v165 :: v_dual_mov_b32 v152, v164
	;; [unrolled: 1-line block ×3, first 2 shown]
	v_mov_b32_e32 v158, v170
	v_dual_mov_b32 v150, v162 :: v_dual_mov_b32 v155, v167
	v_mov_b32_e32 v156, v168
	v_mov_b32_e32 v152, v30
	v_mov_b32_e32 v15, v14
	v_dual_mov_b32 v27, v26 :: v_dual_mov_b32 v42, v128
	v_mov_b32_e32 v37, v123
	v_dual_mov_b32 v43, v129 :: v_dual_mov_b32 v44, v130
	v_mov_b32_e32 v39, v125
	v_dual_mov_b32 v45, v131 :: v_dual_mov_b32 v46, v132
	v_dual_mov_b32 v47, v133 :: v_dual_mov_b32 v48, v134
	v_mov_b32_e32 v38, v124
	v_mov_b32_e32 v40, v126
	s_clause 0x2
	scratch_store_b128 off, v[37:40], off offset:48
	scratch_store_b128 off, v[41:44], off offset:64
	;; [unrolled: 1-line block ×3, first 2 shown]
	v_mov_b32_e32 v37, v123
	v_mov_b32_e32 v39, v125
	v_dual_mov_b32 v41, v127 :: v_dual_mov_b32 v38, v124
	v_mov_b32_e32 v99, v147
	v_mov_b32_e32 v105, v153
	v_dual_mov_b32 v105, v31 :: v_dual_mov_b32 v106, v154
	v_dual_mov_b32 v40, v126 :: v_dual_mov_b32 v101, v149
	;; [unrolled: 1-line block ×3, first 2 shown]
	v_mov_b32_e32 v110, v158
	v_mov_b32_e32 v50, v123
	v_dual_mov_b32 v100, v148 :: v_dual_mov_b32 v107, v155
	v_dual_mov_b32 v102, v150 :: v_dual_mov_b32 v109, v157
	;; [unrolled: 1-line block ×7, first 2 shown]
	v_mov_b32_e32 v58, v131
	v_mov_b32_e32 v56, v19
	s_clause 0x2
	scratch_store_b128 off, v[37:40], off
	scratch_store_b128 off, v[41:44], off offset:16
	scratch_store_b128 off, v[45:48], off offset:32
	v_dual_mov_b32 v60, v133 :: v_dual_mov_b32 v55, v128
	v_mov_b32_e32 v37, v99
	v_mov_b32_e32 v41, v103
	v_mov_b32_e32 v39, v101
	v_dual_mov_b32 v43, v105 :: v_dual_mov_b32 v48, v110
	v_dual_mov_b32 v38, v100 :: v_dual_mov_b32 v45, v107
	v_mov_b32_e32 v44, v106
	v_dual_mov_b32 v122, v61 :: v_dual_mov_b32 v113, v52
	v_dual_mov_b32 v40, v102 :: v_dual_mov_b32 v47, v109
	v_dual_mov_b32 v42, v104 :: v_dual_mov_b32 v119, v58
	v_dual_mov_b32 v46, v108 :: v_dual_mov_b32 v115, v54
	v_dual_mov_b32 v44, v32 :: v_dual_mov_b32 v111, v50
	v_dual_mov_b32 v117, v56 :: v_dual_mov_b32 v120, v59
	v_dual_mov_b32 v121, v60 :: v_dual_mov_b32 v118, v57
	v_mov_b32_e32 v114, v53
	v_mov_b32_e32 v116, v55
	;; [unrolled: 1-line block ×4, first 2 shown]
	v_dual_mov_b32 v98, v48 :: v_dual_mov_b32 v95, v45
	v_mov_b32_e32 v95, v33
	v_mov_b32_e32 v93, v43
	;; [unrolled: 1-line block ×4, first 2 shown]
	v_dual_mov_b32 v87, v37 :: v_dual_mov_b32 v146, v122
	v_dual_mov_b32 v137, v113 :: v_dual_mov_b32 v96, v46
	;; [unrolled: 1-line block ×3, first 2 shown]
	v_mov_b32_e32 v135, v111
	v_dual_mov_b32 v97, v47 :: v_dual_mov_b32 v94, v44
	v_dual_mov_b32 v92, v42 :: v_dual_mov_b32 v143, v119
	;; [unrolled: 1-line block ×4, first 2 shown]
	v_mov_b32_e32 v138, v114
	v_dual_mov_b32 v142, v118 :: v_dual_mov_b32 v143, v21
	v_dual_mov_b32 v140, v116 :: v_dual_mov_b32 v63, v87
	;; [unrolled: 1-line block ×8, first 2 shown]
	v_mov_b32_e32 v86, v146
	v_dual_mov_b32 v64, v88 :: v_dual_mov_b32 v69, v93
	v_dual_mov_b32 v66, v90 :: v_dual_mov_b32 v71, v95
	;; [unrolled: 1-line block ×7, first 2 shown]
	v_mov_b32_e32 v82, v142
	v_mov_b32_e32 v84, v22
	;; [unrolled: 1-line block ×3, first 2 shown]
.LBB177_29:
	s_or_b32 exec_lo, exec_lo, s2
	v_mov_b32_e32 v13, v4
	s_mov_b32 s2, exec_lo
	v_cmpx_lt_f32_e32 v62, v4
	s_cbranch_execz .LBB177_31
; %bb.30:
	s_clause 0x2
	scratch_load_b128 v[37:40], off, off offset:96
	scratch_load_b128 v[41:44], off, off offset:112
	;; [unrolled: 1-line block ×3, first 2 shown]
	v_dual_mov_b32 v173, v28 :: v_dual_mov_b32 v28, v27
	v_mov_b32_e32 v3, v4
	s_waitcnt vmcnt(0)
	v_dual_mov_b32 v13, v62 :: v_dual_mov_b32 v134, v48
	v_dual_mov_b32 v133, v47 :: v_dual_mov_b32 v124, v38
	;; [unrolled: 1-line block ×3, first 2 shown]
	v_mov_b32_e32 v125, v16
	v_dual_mov_b32 v159, v171 :: v_dual_mov_b32 v160, v172
	s_delay_alu instid0(VALU_DEP_3) | instskip(NEXT) | instid1(VALU_DEP_3)
	v_dual_mov_b32 v162, v174 :: v_dual_mov_b32 v37, v123
	v_dual_mov_b32 v38, v124 :: v_dual_mov_b32 v39, v125
	;; [unrolled: 1-line block ×5, first 2 shown]
	v_mov_b32_e32 v126, v15
	s_clause 0x2
	scratch_store_b128 off, v[37:40], off offset:96
	scratch_store_b128 off, v[41:44], off offset:112
	;; [unrolled: 1-line block ×3, first 2 shown]
	v_dual_mov_b32 v161, v173 :: v_dual_mov_b32 v164, v176
	v_dual_mov_b32 v167, v179 :: v_dual_mov_b32 v170, v182
	;; [unrolled: 1-line block ×5, first 2 shown]
	s_delay_alu instid0(VALU_DEP_2) | instskip(SKIP_2) | instid1(VALU_DEP_4)
	v_dual_mov_b32 v42, v164 :: v_dual_mov_b32 v43, v165
	v_dual_mov_b32 v48, v170 :: v_dual_mov_b32 v37, v159
	;; [unrolled: 1-line block ×6, first 2 shown]
	s_clause 0x2
	scratch_store_b128 off, v[37:40], off offset:144
	scratch_store_b128 off, v[41:44], off offset:160
	;; [unrolled: 1-line block ×3, first 2 shown]
	v_dual_mov_b32 v42, v128 :: v_dual_mov_b32 v43, v129
	v_dual_mov_b32 v48, v134 :: v_dual_mov_b32 v37, v123
	;; [unrolled: 1-line block ×6, first 2 shown]
	s_clause 0x2
	scratch_store_b128 off, v[37:40], off offset:48
	scratch_store_b128 off, v[41:44], off offset:64
	;; [unrolled: 1-line block ×3, first 2 shown]
	v_dual_mov_b32 v147, v159 :: v_dual_mov_b32 v148, v160
	v_dual_mov_b32 v151, v163 :: v_dual_mov_b32 v152, v164
	;; [unrolled: 1-line block ×10, first 2 shown]
	s_delay_alu instid0(VALU_DEP_4)
	v_dual_mov_b32 v106, v154 :: v_dual_mov_b32 v107, v155
	v_mov_b32_e32 v110, v158
	v_dual_mov_b32 v100, v148 :: v_dual_mov_b32 v101, v149
	v_dual_mov_b32 v104, v152 :: v_dual_mov_b32 v105, v153
	v_dual_mov_b32 v50, v123 :: v_dual_mov_b32 v51, v124
	v_dual_mov_b32 v108, v156 :: v_dual_mov_b32 v109, v157
	v_dual_mov_b32 v105, v31 :: v_dual_mov_b32 v60, v133
	v_mov_b32_e32 v61, v134
	s_clause 0x2
	scratch_store_b128 off, v[37:40], off
	scratch_store_b128 off, v[41:44], off offset:16
	scratch_store_b128 off, v[45:48], off offset:32
	v_dual_mov_b32 v54, v127 :: v_dual_mov_b32 v55, v128
	v_dual_mov_b32 v56, v129 :: v_dual_mov_b32 v57, v130
	v_dual_mov_b32 v102, v150 :: v_dual_mov_b32 v103, v151
	v_dual_mov_b32 v58, v131 :: v_dual_mov_b32 v59, v132
	v_dual_mov_b32 v37, v99 :: v_dual_mov_b32 v38, v100
	v_dual_mov_b32 v52, v125 :: v_dual_mov_b32 v53, v126
	v_dual_mov_b32 v56, v19 :: v_dual_mov_b32 v39, v101
	v_dual_mov_b32 v44, v106 :: v_dual_mov_b32 v45, v107
	v_mov_b32_e32 v48, v110
	v_mov_b32_e32 v44, v32
	v_dual_mov_b32 v42, v104 :: v_dual_mov_b32 v43, v105
	v_dual_mov_b32 v46, v108 :: v_dual_mov_b32 v47, v109
	;; [unrolled: 1-line block ×9, first 2 shown]
	v_mov_b32_e32 v114, v53
	v_mov_b32_e32 v112, v51
	v_dual_mov_b32 v98, v48 :: v_dual_mov_b32 v91, v41
	v_dual_mov_b32 v94, v44 :: v_dual_mov_b32 v87, v37
	;; [unrolled: 1-line block ×3, first 2 shown]
	v_mov_b32_e32 v89, v39
	v_mov_b32_e32 v95, v45
	v_dual_mov_b32 v93, v43 :: v_dual_mov_b32 v146, v122
	v_dual_mov_b32 v143, v119 :: v_dual_mov_b32 v140, v116
	;; [unrolled: 1-line block ×15, first 2 shown]
	v_mov_b32_e32 v86, v146
	v_dual_mov_b32 v64, v88 :: v_dual_mov_b32 v65, v89
	v_dual_mov_b32 v66, v90 :: v_dual_mov_b32 v67, v91
	;; [unrolled: 1-line block ×8, first 2 shown]
	v_mov_b32_e32 v84, v22
	v_mov_b32_e32 v86, v24
.LBB177_31:
	s_or_b32 exec_lo, exec_lo, s2
	v_mov_b32_e32 v14, v5
	s_mov_b32 s2, exec_lo
	v_cmpx_lt_f32_e32 v13, v5
	s_cbranch_execz .LBB177_33
; %bb.32:
	s_clause 0x2
	scratch_load_b128 v[37:40], off, off offset:96
	scratch_load_b128 v[41:44], off, off offset:112
	;; [unrolled: 1-line block ×3, first 2 shown]
	v_mov_b32_e32 v174, v29
	v_mov_b32_e32 v14, v13
	;; [unrolled: 1-line block ×3, first 2 shown]
	v_dual_mov_b32 v17, v16 :: v_dual_mov_b32 v4, v5
	v_mov_b32_e32 v29, v28
	s_waitcnt vmcnt(0)
	v_dual_mov_b32 v73, v48 :: v_dual_mov_b32 v64, v39
	v_dual_mov_b32 v70, v45 :: v_dual_mov_b32 v69, v44
	;; [unrolled: 1-line block ×18, first 2 shown]
	v_mov_b32_e32 v127, v16
	v_dual_mov_b32 v147, v159 :: v_dual_mov_b32 v148, v160
	v_dual_mov_b32 v149, v161 :: v_dual_mov_b32 v152, v164
	;; [unrolled: 1-line block ×19, first 2 shown]
	v_mov_b32_e32 v61, v134
	s_clause 0x2
	scratch_store_b128 off, v[37:40], off
	scratch_store_b128 off, v[41:44], off offset:16
	scratch_store_b128 off, v[45:48], off offset:32
	v_dual_mov_b32 v53, v126 :: v_dual_mov_b32 v54, v127
	v_dual_mov_b32 v101, v149 :: v_dual_mov_b32 v102, v150
	;; [unrolled: 1-line block ×10, first 2 shown]
	v_mov_b32_e32 v46, v108
	v_dual_mov_b32 v122, v61 :: v_dual_mov_b32 v121, v60
	v_dual_mov_b32 v43, v105 :: v_dual_mov_b32 v44, v106
	;; [unrolled: 1-line block ×8, first 2 shown]
	v_mov_b32_e32 v112, v51
	v_mov_b32_e32 v118, v20
	v_dual_mov_b32 v98, v48 :: v_dual_mov_b32 v93, v43
	v_dual_mov_b32 v92, v42 :: v_dual_mov_b32 v87, v37
	v_mov_b32_e32 v97, v47
	v_dual_mov_b32 v95, v45 :: v_dual_mov_b32 v146, v122
	v_dual_mov_b32 v143, v119 :: v_dual_mov_b32 v138, v114
	;; [unrolled: 1-line block ×7, first 2 shown]
	v_mov_b32_e32 v89, v39
	s_clause 0x5
	scratch_store_b128 off, v[62:65], off offset:48
	scratch_store_b128 off, v[66:69], off offset:64
	;; [unrolled: 1-line block ×6, first 2 shown]
	v_dual_mov_b32 v142, v118 :: v_dual_mov_b32 v139, v115
	v_dual_mov_b32 v140, v116 :: v_dual_mov_b32 v137, v113
	;; [unrolled: 1-line block ×17, first 2 shown]
	v_mov_b32_e32 v84, v22
	v_mov_b32_e32 v86, v24
.LBB177_33:
	s_or_b32 exec_lo, exec_lo, s2
	v_mov_b32_e32 v13, v6
	s_mov_b32 s2, exec_lo
	v_cmpx_lt_f32_e32 v14, v6
	s_cbranch_execz .LBB177_35
; %bb.34:
	s_clause 0x2
	scratch_load_b128 v[37:40], off, off offset:144
	scratch_load_b128 v[41:44], off, off offset:160
	;; [unrolled: 1-line block ×3, first 2 shown]
	v_mov_b32_e32 v5, v6
	s_waitcnt vmcnt(0)
	v_dual_mov_b32 v13, v14 :: v_dual_mov_b32 v170, v48
	v_dual_mov_b32 v169, v47 :: v_dual_mov_b32 v162, v40
	;; [unrolled: 1-line block ×6, first 2 shown]
	s_clause 0x2
	scratch_load_b128 v[37:40], off, off offset:48
	scratch_load_b128 v[41:44], off, off offset:64
	;; [unrolled: 1-line block ×3, first 2 shown]
	v_dual_mov_b32 v163, v30 :: v_dual_mov_b32 v30, v29
	s_waitcnt vmcnt(0)
	v_dual_mov_b32 v73, v48 :: v_dual_mov_b32 v72, v47
	v_dual_mov_b32 v65, v40 :: v_dual_mov_b32 v62, v37
	v_mov_b32_e32 v63, v38
	v_dual_mov_b32 v67, v42 :: v_dual_mov_b32 v64, v39
	v_dual_mov_b32 v71, v46 :: v_dual_mov_b32 v70, v45
	;; [unrolled: 1-line block ×4, first 2 shown]
	v_mov_b32_e32 v148, v160
	v_dual_mov_b32 v134, v73 :: v_dual_mov_b32 v133, v72
	v_dual_mov_b32 v124, v63 :: v_dual_mov_b32 v123, v62
	v_dual_mov_b32 v151, v163 :: v_dual_mov_b32 v152, v164
	v_dual_mov_b32 v128, v67 :: v_dual_mov_b32 v127, v66
	v_dual_mov_b32 v149, v161 :: v_dual_mov_b32 v150, v162
	v_dual_mov_b32 v153, v165 :: v_dual_mov_b32 v154, v166
	v_dual_mov_b32 v155, v167 :: v_dual_mov_b32 v156, v168
	v_dual_mov_b32 v157, v169 :: v_dual_mov_b32 v158, v170
	v_dual_mov_b32 v132, v71 :: v_dual_mov_b32 v131, v70
	v_dual_mov_b32 v130, v69 :: v_dual_mov_b32 v129, v68
	v_dual_mov_b32 v126, v65 :: v_dual_mov_b32 v125, v64
	v_mov_b32_e32 v128, v17
	v_mov_b32_e32 v152, v29
	v_dual_mov_b32 v50, v123 :: v_dual_mov_b32 v51, v124
	v_mov_b32_e32 v99, v147
	s_delay_alu instid0(VALU_DEP_3)
	v_dual_mov_b32 v53, v126 :: v_dual_mov_b32 v104, v152
	v_dual_mov_b32 v105, v153 :: v_dual_mov_b32 v100, v148
	;; [unrolled: 1-line block ×7, first 2 shown]
	v_mov_b32_e32 v57, v130
	v_dual_mov_b32 v102, v150 :: v_dual_mov_b32 v103, v151
	v_dual_mov_b32 v108, v156 :: v_dual_mov_b32 v109, v157
	;; [unrolled: 1-line block ×3, first 2 shown]
	v_mov_b32_e32 v58, v131
	v_mov_b32_e32 v56, v19
	v_dual_mov_b32 v37, v99 :: v_dual_mov_b32 v38, v100
	v_mov_b32_e32 v39, v101
	v_dual_mov_b32 v43, v105 :: v_dual_mov_b32 v48, v110
	s_delay_alu instid0(VALU_DEP_4)
	v_dual_mov_b32 v122, v61 :: v_dual_mov_b32 v117, v56
	v_dual_mov_b32 v42, v104 :: v_dual_mov_b32 v45, v107
	;; [unrolled: 1-line block ×9, first 2 shown]
	v_mov_b32_e32 v118, v20
	v_mov_b32_e32 v44, v32
	;; [unrolled: 1-line block ×3, first 2 shown]
	v_dual_mov_b32 v98, v48 :: v_dual_mov_b32 v95, v45
	v_dual_mov_b32 v146, v122 :: v_dual_mov_b32 v145, v121
	s_delay_alu instid0(VALU_DEP_4)
	v_dual_mov_b32 v94, v44 :: v_dual_mov_b32 v87, v37
	v_dual_mov_b32 v97, v47 :: v_dual_mov_b32 v144, v120
	;; [unrolled: 1-line block ×5, first 2 shown]
	v_mov_b32_e32 v93, v43
	v_dual_mov_b32 v91, v41 :: v_dual_mov_b32 v90, v40
	v_dual_mov_b32 v141, v117 :: v_dual_mov_b32 v88, v38
	;; [unrolled: 1-line block ×6, first 2 shown]
	s_clause 0x2
	scratch_store_b128 off, v[62:65], off
	scratch_store_b128 off, v[66:69], off offset:16
	scratch_store_b128 off, v[70:73], off offset:32
	v_dual_mov_b32 v63, v87 :: v_dual_mov_b32 v74, v98
	v_dual_mov_b32 v75, v135 :: v_dual_mov_b32 v72, v96
	;; [unrolled: 1-line block ×14, first 2 shown]
	v_mov_b32_e32 v84, v22
	v_mov_b32_e32 v86, v24
	;; [unrolled: 1-line block ×3, first 2 shown]
.LBB177_35:
	s_or_b32 exec_lo, exec_lo, s2
	v_mov_b32_e32 v14, v7
	s_mov_b32 s2, exec_lo
	v_cmpx_lt_f32_e32 v13, v7
	s_cbranch_execz .LBB177_37
; %bb.36:
	s_clause 0x2
	scratch_load_b128 v[37:40], off, off
	scratch_load_b128 v[41:44], off, off offset:16
	scratch_load_b128 v[45:48], off, off offset:32
	v_mov_b32_e32 v164, v31
	v_dual_mov_b32 v14, v13 :: v_dual_mov_b32 v31, v30
	s_waitcnt vmcnt(0)
	v_dual_mov_b32 v134, v48 :: v_dual_mov_b32 v133, v47
	v_dual_mov_b32 v130, v44 :: v_dual_mov_b32 v127, v41
	;; [unrolled: 1-line block ×5, first 2 shown]
	v_mov_b32_e32 v125, v39
	v_dual_mov_b32 v99, v159 :: v_dual_mov_b32 v100, v160
	v_dual_mov_b32 v128, v19 :: v_dual_mov_b32 v101, v161
	v_mov_b32_e32 v110, v170
	v_dual_mov_b32 v50, v123 :: v_dual_mov_b32 v53, v126
	v_dual_mov_b32 v106, v166 :: v_dual_mov_b32 v107, v167
	;; [unrolled: 1-line block ×19, first 2 shown]
	v_mov_b32_e32 v47, v109
	v_dual_mov_b32 v114, v53 :: v_dual_mov_b32 v111, v50
	v_mov_b32_e32 v118, v20
	v_dual_mov_b32 v120, v59 :: v_dual_mov_b32 v117, v56
	v_dual_mov_b32 v116, v55 :: v_dual_mov_b32 v113, v52
	v_mov_b32_e32 v44, v32
	v_mov_b32_e32 v112, v51
	v_dual_mov_b32 v98, v48 :: v_dual_mov_b32 v95, v45
	v_dual_mov_b32 v146, v122 :: v_dual_mov_b32 v145, v121
	;; [unrolled: 1-line block ×8, first 2 shown]
	v_mov_b32_e32 v89, v39
	v_dual_mov_b32 v93, v43 :: v_dual_mov_b32 v88, v38
	v_dual_mov_b32 v141, v117 :: v_dual_mov_b32 v140, v116
	v_mov_b32_e32 v95, v33
	v_dual_mov_b32 v139, v115 :: v_dual_mov_b32 v138, v114
	v_dual_mov_b32 v143, v21 :: v_dual_mov_b32 v136, v112
	;; [unrolled: 1-line block ×24, first 2 shown]
	v_mov_b32_e32 v158, v170
.LBB177_37:
	s_or_b32 exec_lo, exec_lo, s2
	v_mov_b32_e32 v13, v8
	s_mov_b32 s2, exec_lo
	v_cmpx_lt_f32_e32 v14, v8
	s_cbranch_execz .LBB177_39
; %bb.38:
	v_mov_b32_e32 v129, v20
	v_mov_b32_e32 v153, v32
	v_dual_mov_b32 v111, v123 :: v_dual_mov_b32 v114, v126
	v_dual_mov_b32 v37, v147 :: v_dual_mov_b32 v38, v148
	;; [unrolled: 1-line block ×10, first 2 shown]
	v_mov_b32_e32 v120, v132
	v_dual_mov_b32 v116, v128 :: v_dual_mov_b32 v121, v133
	v_mov_b32_e32 v44, v31
	v_dual_mov_b32 v119, v131 :: v_dual_mov_b32 v98, v48
	v_dual_mov_b32 v118, v19 :: v_dual_mov_b32 v95, v45
	;; [unrolled: 1-line block ×13, first 2 shown]
	v_mov_b32_e32 v95, v33
	v_dual_mov_b32 v7, v8 :: v_dual_mov_b32 v8, v14
	v_mov_b32_e32 v143, v21
	v_dual_mov_b32 v63, v87 :: v_dual_mov_b32 v68, v92
	v_dual_mov_b32 v64, v88 :: v_dual_mov_b32 v75, v135
	v_dual_mov_b32 v80, v140 :: v_dual_mov_b32 v67, v91
	v_dual_mov_b32 v72, v96 :: v_dual_mov_b32 v69, v93
	v_dual_mov_b32 v74, v98 :: v_dual_mov_b32 v73, v97
	v_dual_mov_b32 v78, v138 :: v_dual_mov_b32 v79, v139
	v_dual_mov_b32 v84, v144 :: v_dual_mov_b32 v81, v141
	v_dual_mov_b32 v86, v146 :: v_dual_mov_b32 v85, v145
	v_mov_b32_e32 v74, v36
	v_dual_mov_b32 v50, v123 :: v_dual_mov_b32 v51, v124
	v_dual_mov_b32 v99, v147 :: v_dual_mov_b32 v100, v148
	v_dual_mov_b32 v65, v89 :: v_dual_mov_b32 v70, v94
	v_dual_mov_b32 v66, v90 :: v_dual_mov_b32 v71, v95
	v_dual_mov_b32 v76, v136 :: v_dual_mov_b32 v77, v137
	v_dual_mov_b32 v82, v142 :: v_dual_mov_b32 v83, v143
	v_dual_mov_b32 v72, v34 :: v_dual_mov_b32 v73, v35
	;; [unrolled: 9-line block ×3, first 2 shown]
	v_dual_mov_b32 v105, v153 :: v_dual_mov_b32 v106, v154
	v_dual_mov_b32 v107, v155 :: v_dual_mov_b32 v108, v156
	v_dual_mov_b32 v109, v157 :: v_dual_mov_b32 v110, v158
	v_dual_mov_b32 v13, v14 :: v_dual_mov_b32 v20, v19
	v_mov_b32_e32 v32, v31
.LBB177_39:
	s_or_b32 exec_lo, exec_lo, s2
	v_mov_b32_e32 v14, v9
	s_mov_b32 s2, exec_lo
	v_cmpx_lt_f32_e32 v13, v9
	s_cbranch_execz .LBB177_41
; %bb.40:
	v_mov_b32_e32 v57, v21
	v_mov_b32_e32 v106, v33
	v_dual_mov_b32 v146, v61 :: v_dual_mov_b32 v145, v60
	v_dual_mov_b32 v87, v99 :: v_dual_mov_b32 v90, v102
	v_mov_b32_e32 v88, v100
	v_dual_mov_b32 v136, v51 :: v_dual_mov_b32 v135, v50
	v_dual_mov_b32 v91, v103 :: v_dual_mov_b32 v94, v106
	;; [unrolled: 1-line block ×7, first 2 shown]
	v_mov_b32_e32 v139, v54
	v_dual_mov_b32 v89, v101 :: v_dual_mov_b32 v92, v104
	v_dual_mov_b32 v138, v53 :: v_dual_mov_b32 v137, v52
	;; [unrolled: 1-line block ×3, first 2 shown]
	v_mov_b32_e32 v143, v20
	s_delay_alu instid0(VALU_DEP_4)
	v_dual_mov_b32 v63, v87 :: v_dual_mov_b32 v68, v92
	v_dual_mov_b32 v66, v90 :: v_dual_mov_b32 v75, v135
	;; [unrolled: 1-line block ×8, first 2 shown]
	v_mov_b32_e32 v74, v36
	v_dual_mov_b32 v122, v61 :: v_dual_mov_b32 v121, v60
	v_dual_mov_b32 v37, v99 :: v_dual_mov_b32 v38, v100
	;; [unrolled: 1-line block ×20, first 2 shown]
	v_mov_b32_e32 v33, v32
.LBB177_41:
	s_or_b32 exec_lo, exec_lo, s2
	v_mov_b32_e32 v15, v10
	s_mov_b32 s2, exec_lo
	v_cmpx_lt_f32_e32 v14, v10
	s_cbranch_execz .LBB177_43
; %bb.42:
	v_mov_b32_e32 v45, v34
	v_dual_mov_b32 v9, v10 :: v_dual_mov_b32 v74, v48
	v_mov_b32_e32 v72, v46
	v_mov_b32_e32 v72, v33
	s_delay_alu instid0(VALU_DEP_4) | instskip(SKIP_4) | instid1(VALU_DEP_4)
	v_mov_b32_e32 v71, v45
	v_dual_mov_b32 v119, v22 :: v_dual_mov_b32 v70, v44
	v_dual_mov_b32 v75, v111 :: v_dual_mov_b32 v78, v114
	;; [unrolled: 1-line block ×27, first 2 shown]
	v_mov_b32_e32 v34, v33
.LBB177_43:
	s_or_b32 exec_lo, exec_lo, s2
	v_mov_b32_e32 v13, v11
	s_mov_b32 s2, exec_lo
	v_cmpx_lt_f32_e32 v15, v11
	s_cbranch_execz .LBB177_45
; %bb.44:
	v_dual_mov_b32 v144, v23 :: v_dual_mov_b32 v145, v22
	v_dual_mov_b32 v96, v35 :: v_dual_mov_b32 v97, v34
	v_mov_b32_e32 v146, v24
	v_mov_b32_e32 v10, v11
	v_dual_mov_b32 v11, v15 :: v_dual_mov_b32 v98, v36
	v_dual_mov_b32 v75, v135 :: v_dual_mov_b32 v84, v144
	;; [unrolled: 1-line block ×3, first 2 shown]
	v_mov_b32_e32 v79, v139
	v_dual_mov_b32 v77, v137 :: v_dual_mov_b32 v78, v138
	v_dual_mov_b32 v81, v141 :: v_dual_mov_b32 v80, v140
	;; [unrolled: 1-line block ×10, first 2 shown]
.LBB177_45:
	s_or_b32 exec_lo, exec_lo, s2
	s_delay_alu instid0(VALU_DEP_1)
	v_cmp_lt_f32_e32 vcc_lo, v13, v12
	v_cmp_lt_f32_e64 s2, v1, v2
	v_dual_mov_b32 v40, v76 :: v_dual_mov_b32 v41, v77
	v_dual_mov_b32 v43, v79 :: v_dual_mov_b32 v44, v80
	v_dual_cndmask_b32 v23, v12, v13 :: v_dual_mov_b32 v42, v78
	v_dual_cndmask_b32 v11, v11, v12 :: v_dual_cndmask_b32 v62, v74, v73
	s_delay_alu instid0(VALU_DEP_2) | instskip(SKIP_3) | instid1(VALU_DEP_4)
	v_dual_cndmask_b32 v49, v85, v86 :: v_dual_mov_b32 v12, v23
	v_dual_cndmask_b32 v61, v73, v74 :: v_dual_cndmask_b32 v50, v86, v85
	v_mov_b32_e32 v39, v75
	v_dual_mov_b32 v45, v81 :: v_dual_mov_b32 v48, v84
	v_dual_mov_b32 v38, v12 :: v_dual_mov_b32 v37, v11
	;; [unrolled: 1-line block ×13, first 2 shown]
	s_and_saveexec_b32 s3, s2
	s_delay_alu instid0(SALU_CYCLE_1)
	s_xor_b32 s2, exec_lo, s3
	s_cbranch_execz .LBB177_47
; %bb.46:
	v_dual_mov_b32 v12, v2 :: v_dual_mov_b32 v13, v1
	v_dual_mov_b32 v14, v3 :: v_dual_mov_b32 v15, v4
	;; [unrolled: 1-line block ×6, first 2 shown]
	s_delay_alu instid0(VALU_DEP_2) | instskip(NEXT) | instid1(VALU_DEP_2)
	v_dual_mov_b32 v38, v23 :: v_dual_mov_b32 v35, v20
	v_dual_mov_b32 v36, v21 :: v_dual_mov_b32 v37, v22
	;; [unrolled: 1-line block ×15, first 2 shown]
	v_mov_b32_e32 v58, v70
	v_mov_b32_e32 v60, v72
.LBB177_47:
	s_or_b32 exec_lo, exec_lo, s2
	v_dual_mov_b32 v1, v29 :: v_dual_mov_b32 v122, v50
	v_dual_mov_b32 v15, v39 :: v_dual_mov_b32 v16, v40
	;; [unrolled: 1-line block ×30, first 2 shown]
	v_mov_b32_e32 v135, v39
	s_clause 0x2
	scratch_store_b128 off, v[39:42], off offset:48
	scratch_store_b128 off, v[43:46], off offset:64
	;; [unrolled: 1-line block ×3, first 2 shown]
	v_dual_mov_b32 v3, v51 :: v_dual_mov_b32 v6, v54
	v_dual_mov_b32 v13, v61 :: v_dual_mov_b32 v74, v62
	v_dual_mov_b32 v63, v51 :: v_dual_mov_b32 v98, v62
	v_dual_mov_b32 v87, v51 :: v_dual_mov_b32 v134, v62
	v_dual_mov_b32 v123, v51 :: v_dual_mov_b32 v158, v62
	v_dual_mov_b32 v147, v51 :: v_dual_mov_b32 v170, v62
	v_dual_mov_b32 v5, v53 :: v_dual_mov_b32 v8, v56
	v_dual_mov_b32 v7, v55 :: v_dual_mov_b32 v10, v58
	v_dual_mov_b32 v9, v57 :: v_dual_mov_b32 v12, v60
	v_dual_mov_b32 v11, v59 :: v_dual_mov_b32 v14, v62
	v_dual_mov_b32 v71, v59 :: v_dual_mov_b32 v70, v58
	v_dual_mov_b32 v69, v57 :: v_dual_mov_b32 v68, v56
	v_dual_mov_b32 v67, v55 :: v_dual_mov_b32 v66, v54
	v_dual_mov_b32 v65, v53 :: v_dual_mov_b32 v64, v52
	v_dual_mov_b32 v97, v61 :: v_dual_mov_b32 v96, v60
	v_dual_mov_b32 v95, v59 :: v_dual_mov_b32 v94, v58
	v_dual_mov_b32 v93, v57 :: v_dual_mov_b32 v92, v56
	v_dual_mov_b32 v91, v55 :: v_dual_mov_b32 v90, v54
	v_dual_mov_b32 v89, v53 :: v_dual_mov_b32 v88, v52
	v_dual_mov_b32 v133, v61 :: v_dual_mov_b32 v132, v60
	v_dual_mov_b32 v131, v59 :: v_dual_mov_b32 v130, v58
	v_dual_mov_b32 v129, v57 :: v_dual_mov_b32 v128, v56
	v_dual_mov_b32 v127, v55 :: v_dual_mov_b32 v126, v54
	v_dual_mov_b32 v125, v53 :: v_dual_mov_b32 v124, v52
	v_dual_mov_b32 v157, v61 :: v_dual_mov_b32 v156, v60
	v_dual_mov_b32 v155, v59 :: v_dual_mov_b32 v154, v58
	v_dual_mov_b32 v153, v57 :: v_dual_mov_b32 v152, v56
	v_dual_mov_b32 v151, v55 :: v_dual_mov_b32 v150, v54
	v_dual_mov_b32 v149, v53 :: v_dual_mov_b32 v148, v52
	v_dual_mov_b32 v169, v61 :: v_dual_mov_b32 v168, v60
	v_dual_mov_b32 v167, v59 :: v_dual_mov_b32 v166, v58
	v_dual_mov_b32 v165, v57 :: v_dual_mov_b32 v164, v56
	v_dual_mov_b32 v163, v55 :: v_dual_mov_b32 v162, v54
	v_dual_mov_b32 v161, v53 :: v_dual_mov_b32 v160, v52
	v_mov_b32_e32 v159, v51
	s_mov_b32 s2, exec_lo
	v_dual_mov_b32 v73, v61 :: v_dual_mov_b32 v72, v60
	v_mov_b32_e32 v4, v52
	s_clause 0x2
	scratch_store_b128 off, v[51:54], off
	scratch_store_b128 off, v[55:58], off offset:16
	scratch_store_b128 off, v[59:62], off offset:32
	v_dual_mov_b32 v182, v50 :: v_dual_mov_b32 v181, v49
	v_dual_mov_b32 v180, v48 :: v_dual_mov_b32 v179, v47
	v_dual_mov_b32 v178, v46 :: v_dual_mov_b32 v177, v45
	v_dual_mov_b32 v176, v44 :: v_dual_mov_b32 v175, v43
	v_dual_mov_b32 v174, v42 :: v_dual_mov_b32 v173, v41
	v_dual_mov_b32 v172, v40 :: v_dual_mov_b32 v171, v39
	v_cmpx_lt_f32_e32 v2, v29
	s_cbranch_execz .LBB177_49
; %bb.48:
	v_dual_mov_b32 v170, v62 :: v_dual_mov_b32 v169, v61
	v_dual_mov_b32 v162, v54 :: v_dual_mov_b32 v161, v53
	;; [unrolled: 1-line block ×7, first 2 shown]
	s_clause 0x2
	scratch_store_b128 off, v[159:162], off
	scratch_store_b128 off, v[163:166], off offset:16
	scratch_store_b128 off, v[167:170], off offset:32
	v_dual_mov_b32 v182, v50 :: v_dual_mov_b32 v181, v49
	v_dual_mov_b32 v172, v40 :: v_dual_mov_b32 v171, v39
	;; [unrolled: 1-line block ×8, first 2 shown]
	s_delay_alu instid0(VALU_DEP_3)
	v_dual_mov_b32 v140, v176 :: v_dual_mov_b32 v141, v177
	v_dual_mov_b32 v138, v174 :: v_dual_mov_b32 v139, v175
	;; [unrolled: 1-line block ×3, first 2 shown]
	v_mov_b32_e32 v146, v182
	v_dual_mov_b32 v136, v172 :: v_dual_mov_b32 v137, v173
	v_mov_b32_e32 v138, v42
	v_dual_mov_b32 v142, v178 :: v_dual_mov_b32 v143, v179
	v_mov_b32_e32 v53, v52
	v_mov_b32_e32 v139, v43
	;; [unrolled: 1-line block ×3, first 2 shown]
	v_dual_mov_b32 v147, v159 :: v_dual_mov_b32 v148, v160
	v_mov_b32_e32 v151, v163
	v_dual_mov_b32 v149, v161 :: v_dual_mov_b32 v150, v162
	v_dual_mov_b32 v153, v165 :: v_dual_mov_b32 v152, v164
	;; [unrolled: 1-line block ×16, first 2 shown]
	v_mov_b32_e32 v122, v146
	v_dual_mov_b32 v114, v138 :: v_dual_mov_b32 v117, v141
	v_dual_mov_b32 v116, v140 :: v_dual_mov_b32 v119, v143
	;; [unrolled: 1-line block ×14, first 2 shown]
	v_mov_b32_e32 v82, v118
	v_dual_mov_b32 v76, v112 :: v_dual_mov_b32 v81, v117
	v_dual_mov_b32 v80, v116 :: v_dual_mov_b32 v85, v121
	;; [unrolled: 1-line block ×6, first 2 shown]
	v_mov_b32_e32 v81, v45
	v_dual_mov_b32 v65, v89 :: v_dual_mov_b32 v72, v96
	v_mov_b32_e32 v29, v2
	s_delay_alu instid0(VALU_DEP_3)
	v_dual_mov_b32 v110, v86 :: v_dual_mov_b32 v105, v81
	v_dual_mov_b32 v70, v94 :: v_dual_mov_b32 v73, v97
	;; [unrolled: 1-line block ×11, first 2 shown]
	v_mov_b32_e32 v106, v46
	s_clause 0x2
	scratch_store_b128 off, v[3:6], off offset:48
	scratch_store_b128 off, v[7:10], off offset:64
	;; [unrolled: 1-line block ×3, first 2 shown]
	v_dual_mov_b32 v100, v76 :: v_dual_mov_b32 v3, v63
	v_dual_mov_b32 v12, v72 :: v_dual_mov_b32 v5, v65
	;; [unrolled: 1-line block ×16, first 2 shown]
	v_mov_b32_e32 v26, v50
.LBB177_49:
	s_or_b32 exec_lo, exec_lo, s2
	v_mov_b32_e32 v2, v30
	s_mov_b32 s2, exec_lo
	v_cmpx_lt_f32_e32 v1, v30
	s_cbranch_execz .LBB177_51
; %bb.50:
	s_clause 0x2
	scratch_load_b128 v[2:5], off, off
	scratch_load_b128 v[6:9], off, off offset:16
	scratch_load_b128 v[10:13], off, off offset:32
	v_dual_mov_b32 v29, v30 :: v_dual_mov_b32 v30, v1
	v_dual_mov_b32 v161, v54 :: v_dual_mov_b32 v54, v53
	s_waitcnt vmcnt(0)
	v_dual_mov_b32 v170, v13 :: v_dual_mov_b32 v169, v12
	v_mov_b32_e32 v160, v3
	v_dual_mov_b32 v162, v5 :: v_dual_mov_b32 v159, v2
	v_dual_mov_b32 v173, v42 :: v_dual_mov_b32 v168, v11
	;; [unrolled: 1-line block ×3, first 2 shown]
	s_delay_alu instid0(VALU_DEP_3)
	v_dual_mov_b32 v165, v8 :: v_dual_mov_b32 v2, v159
	v_dual_mov_b32 v3, v160 :: v_dual_mov_b32 v4, v161
	;; [unrolled: 1-line block ×3, first 2 shown]
	s_clause 0x2
	scratch_store_b128 off, v[2:5], off
	scratch_store_b128 off, v[6:9], off offset:16
	scratch_store_b128 off, v[10:13], off offset:32
	v_dual_mov_b32 v162, v53 :: v_dual_mov_b32 v135, v171
	v_dual_mov_b32 v140, v176 :: v_dual_mov_b32 v141, v177
	;; [unrolled: 1-line block ×14, first 2 shown]
	v_mov_b32_e32 v137, v173
	v_dual_mov_b32 v123, v147 :: v_dual_mov_b32 v126, v150
	v_dual_mov_b32 v124, v148 :: v_dual_mov_b32 v111, v135
	s_delay_alu instid0(VALU_DEP_4)
	v_dual_mov_b32 v112, v136 :: v_dual_mov_b32 v125, v149
	v_dual_mov_b32 v128, v152 :: v_dual_mov_b32 v115, v139
	;; [unrolled: 1-line block ×7, first 2 shown]
	v_mov_b32_e32 v128, v56
	v_dual_mov_b32 v116, v44 :: v_dual_mov_b32 v87, v123
	v_dual_mov_b32 v113, v137 :: v_dual_mov_b32 v114, v138
	;; [unrolled: 1-line block ×21, first 2 shown]
	v_mov_b32_e32 v81, v45
	v_dual_mov_b32 v63, v87 :: v_dual_mov_b32 v66, v90
	v_mov_b32_e32 v64, v88
	v_dual_mov_b32 v110, v86 :: v_dual_mov_b32 v109, v85
	v_dual_mov_b32 v65, v89 :: v_dual_mov_b32 v68, v92
	;; [unrolled: 1-line block ×9, first 2 shown]
	v_mov_b32_e32 v102, v78
	v_dual_mov_b32 v42, v41 :: v_dual_mov_b32 v103, v79
	v_mov_b32_e32 v100, v76
	v_mov_b32_e32 v106, v46
	s_clause 0x2
	scratch_store_b128 off, v[2:5], off offset:48
	scratch_store_b128 off, v[6:9], off offset:64
	;; [unrolled: 1-line block ×3, first 2 shown]
	v_dual_mov_b32 v2, v1 :: v_dual_mov_b32 v107, v83
	v_mov_b32_e32 v3, v63
	v_mov_b32_e32 v5, v65
	v_dual_mov_b32 v7, v67 :: v_dual_mov_b32 v14, v74
	v_dual_mov_b32 v15, v99 :: v_dual_mov_b32 v6, v66
	;; [unrolled: 1-line block ×14, first 2 shown]
	v_mov_b32_e32 v24, v48
	v_mov_b32_e32 v26, v50
.LBB177_51:
	s_or_b32 exec_lo, exec_lo, s2
	v_mov_b32_e32 v1, v31
	s_mov_b32 s2, exec_lo
	v_cmpx_lt_f32_e32 v2, v31
	s_cbranch_execz .LBB177_53
; %bb.52:
	s_clause 0x2
	scratch_load_b128 v[3:6], off, off
	scratch_load_b128 v[7:10], off, off offset:16
	scratch_load_b128 v[11:14], off, off offset:32
	v_dual_mov_b32 v30, v31 :: v_dual_mov_b32 v31, v2
	v_mov_b32_e32 v1, v2
	s_waitcnt vmcnt(0)
	v_dual_mov_b32 v170, v14 :: v_dual_mov_b32 v169, v13
	v_dual_mov_b32 v161, v5 :: v_dual_mov_b32 v160, v4
	;; [unrolled: 1-line block ×5, first 2 shown]
	v_mov_b32_e32 v174, v43
	v_mov_b32_e32 v159, v3
	;; [unrolled: 1-line block ×3, first 2 shown]
	v_dual_mov_b32 v135, v171 :: v_dual_mov_b32 v136, v172
	v_mov_b32_e32 v137, v173
	s_delay_alu instid0(VALU_DEP_4) | instskip(NEXT) | instid1(VALU_DEP_4)
	v_dual_mov_b32 v147, v159 :: v_dual_mov_b32 v148, v160
	v_dual_mov_b32 v149, v161 :: v_dual_mov_b32 v150, v162
	v_dual_mov_b32 v151, v163 :: v_dual_mov_b32 v156, v168
	v_dual_mov_b32 v157, v169 :: v_dual_mov_b32 v158, v170
	v_dual_mov_b32 v139, v175 :: v_dual_mov_b32 v152, v164
	v_dual_mov_b32 v153, v165 :: v_dual_mov_b32 v154, v166
	v_dual_mov_b32 v155, v167 :: v_dual_mov_b32 v138, v174
	v_dual_mov_b32 v140, v176 :: v_dual_mov_b32 v141, v177
	v_dual_mov_b32 v142, v178 :: v_dual_mov_b32 v143, v179
	v_dual_mov_b32 v144, v180 :: v_dual_mov_b32 v145, v181
	v_mov_b32_e32 v139, v42
	v_mov_b32_e32 v151, v54
	v_dual_mov_b32 v146, v182 :: v_dual_mov_b32 v123, v147
	v_dual_mov_b32 v111, v135 :: v_dual_mov_b32 v112, v136
	;; [unrolled: 1-line block ×3, first 2 shown]
	s_delay_alu instid0(VALU_DEP_4)
	v_dual_mov_b32 v124, v148 :: v_dual_mov_b32 v127, v151
	v_dual_mov_b32 v128, v152 :: v_dual_mov_b32 v131, v155
	;; [unrolled: 1-line block ×9, first 2 shown]
	v_mov_b32_e32 v120, v144
	v_dual_mov_b32 v116, v44 :: v_dual_mov_b32 v87, v123
	v_mov_b32_e32 v114, v138
	v_dual_mov_b32 v98, v134 :: v_dual_mov_b32 v75, v111
	v_dual_mov_b32 v88, v124 :: v_dual_mov_b32 v89, v125
	;; [unrolled: 1-line block ×3, first 2 shown]
	v_mov_b32_e32 v86, v122
	v_dual_mov_b32 v90, v126 :: v_dual_mov_b32 v91, v127
	v_dual_mov_b32 v92, v128 :: v_dual_mov_b32 v93, v129
	;; [unrolled: 1-line block ×8, first 2 shown]
	v_mov_b32_e32 v79, v115
	v_mov_b32_e32 v81, v45
	v_dual_mov_b32 v63, v87 :: v_dual_mov_b32 v66, v90
	v_dual_mov_b32 v64, v88 :: v_dual_mov_b32 v73, v97
	;; [unrolled: 1-line block ×9, first 2 shown]
	v_mov_b32_e32 v108, v84
	v_dual_mov_b32 v106, v46 :: v_dual_mov_b32 v3, v63
	v_dual_mov_b32 v105, v81 :: v_dual_mov_b32 v104, v80
	;; [unrolled: 1-line block ×19, first 2 shown]
	v_mov_b32_e32 v26, v50
	v_mov_b32_e32 v43, v42
	;; [unrolled: 1-line block ×3, first 2 shown]
	s_clause 0x2
	scratch_store_b128 off, v[171:174], off offset:48
	scratch_store_b128 off, v[175:178], off offset:64
	;; [unrolled: 1-line block ×3, first 2 shown]
.LBB177_53:
	s_or_b32 exec_lo, exec_lo, s2
	v_mov_b32_e32 v2, v32
	s_mov_b32 s2, exec_lo
	v_cmpx_lt_f32_e32 v1, v32
	s_cbranch_execz .LBB177_55
; %bb.54:
	s_clause 0x2
	scratch_load_b128 v[2:5], off, off offset:48
	scratch_load_b128 v[6:9], off, off offset:64
	;; [unrolled: 1-line block ×3, first 2 shown]
	v_dual_mov_b32 v163, v56 :: v_dual_mov_b32 v56, v55
	s_waitcnt vmcnt(0)
	v_dual_mov_b32 v31, v32 :: v_dual_mov_b32 v146, v13
	v_dual_mov_b32 v138, v5 :: v_dual_mov_b32 v137, v4
	;; [unrolled: 1-line block ×6, first 2 shown]
	v_mov_b32_e32 v139, v44
	v_dual_mov_b32 v123, v159 :: v_dual_mov_b32 v124, v160
	v_dual_mov_b32 v125, v161 :: v_dual_mov_b32 v128, v164
	v_dual_mov_b32 v126, v162 :: v_dual_mov_b32 v131, v167
	v_dual_mov_b32 v134, v170 :: v_dual_mov_b32 v111, v135
	v_dual_mov_b32 v114, v138 :: v_dual_mov_b32 v129, v165
	v_dual_mov_b32 v132, v168 :: v_dual_mov_b32 v133, v169
	v_dual_mov_b32 v112, v136 :: v_dual_mov_b32 v119, v143
	v_dual_mov_b32 v122, v146 :: v_dual_mov_b32 v127, v163
	v_dual_mov_b32 v130, v166 :: v_dual_mov_b32 v113, v137
	v_dual_mov_b32 v116, v140 :: v_dual_mov_b32 v115, v139
	v_dual_mov_b32 v118, v142 :: v_dual_mov_b32 v121, v145
	v_dual_mov_b32 v128, v55 :: v_dual_mov_b32 v117, v141
	v_mov_b32_e32 v120, v144
	v_mov_b32_e32 v116, v43
	v_dual_mov_b32 v87, v123 :: v_dual_mov_b32 v88, v124
	v_dual_mov_b32 v89, v125 :: v_dual_mov_b32 v98, v134
	;; [unrolled: 1-line block ×12, first 2 shown]
	v_mov_b32_e32 v79, v115
	v_mov_b32_e32 v81, v45
	v_dual_mov_b32 v63, v87 :: v_dual_mov_b32 v66, v90
	v_dual_mov_b32 v64, v88 :: v_dual_mov_b32 v73, v97
	;; [unrolled: 1-line block ×8, first 2 shown]
	v_mov_b32_e32 v70, v58
	v_dual_mov_b32 v106, v46 :: v_dual_mov_b32 v65, v89
	v_dual_mov_b32 v68, v92 :: v_dual_mov_b32 v105, v81
	;; [unrolled: 1-line block ×4, first 2 shown]
	v_mov_b32_e32 v100, v76
	v_dual_mov_b32 v32, v1 :: v_dual_mov_b32 v3, v63
	v_dual_mov_b32 v14, v74 :: v_dual_mov_b32 v15, v99
	v_mov_b32_e32 v26, v110
	v_dual_mov_b32 v10, v70 :: v_dual_mov_b32 v11, v71
	v_dual_mov_b32 v12, v72 :: v_dual_mov_b32 v13, v73
	;; [unrolled: 1-line block ×20, first 2 shown]
	v_mov_b32_e32 v2, v1
	v_mov_b32_e32 v44, v43
.LBB177_55:
	s_or_b32 exec_lo, exec_lo, s2
	v_mov_b32_e32 v1, v33
	s_mov_b32 s2, exec_lo
	v_cmpx_lt_f32_e32 v2, v33
	s_cbranch_execz .LBB177_57
; %bb.56:
	v_mov_b32_e32 v140, v45
	v_dual_mov_b32 v152, v57 :: v_dual_mov_b32 v75, v135
	v_dual_mov_b32 v87, v147 :: v_dual_mov_b32 v90, v150
	v_dual_mov_b32 v91, v151 :: v_dual_mov_b32 v86, v146
	s_delay_alu instid0(VALU_DEP_3)
	v_dual_mov_b32 v92, v152 :: v_dual_mov_b32 v93, v153
	v_dual_mov_b32 v76, v136 :: v_dual_mov_b32 v79, v139
	;; [unrolled: 1-line block ×6, first 2 shown]
	v_mov_b32_e32 v93, v56
	v_dual_mov_b32 v84, v144 :: v_dual_mov_b32 v63, v87
	v_dual_mov_b32 v78, v138 :: v_dual_mov_b32 v81, v141
	;; [unrolled: 1-line block ×5, first 2 shown]
	s_delay_alu instid0(VALU_DEP_3) | instskip(SKIP_1) | instid1(VALU_DEP_4)
	v_dual_mov_b32 v110, v86 :: v_dual_mov_b32 v109, v85
	v_dual_mov_b32 v100, v76 :: v_dual_mov_b32 v99, v75
	;; [unrolled: 1-line block ×11, first 2 shown]
	v_mov_b32_e32 v106, v46
	v_dual_mov_b32 v70, v58 :: v_dual_mov_b32 v15, v99
	v_dual_mov_b32 v3, v63 :: v_dual_mov_b32 v24, v108
	v_dual_mov_b32 v24, v48 :: v_dual_mov_b32 v111, v135
	s_delay_alu instid0(VALU_DEP_3)
	v_dual_mov_b32 v10, v70 :: v_dual_mov_b32 v11, v71
	v_dual_mov_b32 v12, v72 :: v_dual_mov_b32 v13, v73
	;; [unrolled: 1-line block ×26, first 2 shown]
	v_mov_b32_e32 v1, v2
	v_dual_mov_b32 v134, v158 :: v_dual_mov_b32 v45, v44
	v_mov_b32_e32 v57, v56
.LBB177_57:
	s_or_b32 exec_lo, exec_lo, s2
	v_mov_b32_e32 v2, v34
	s_mov_b32 s2, exec_lo
	v_cmpx_lt_f32_e32 v1, v34
	s_cbranch_execz .LBB177_59
; %bb.58:
	v_mov_b32_e32 v129, v58
	v_dual_mov_b32 v63, v123 :: v_dual_mov_b32 v70, v130
	v_dual_mov_b32 v70, v57 :: v_dual_mov_b32 v71, v131
	;; [unrolled: 1-line block ×22, first 2 shown]
	v_mov_b32_e32 v34, v1
	v_dual_mov_b32 v5, v65 :: v_dual_mov_b32 v6, v66
	v_dual_mov_b32 v7, v67 :: v_dual_mov_b32 v8, v68
	;; [unrolled: 1-line block ×20, first 2 shown]
	v_mov_b32_e32 v2, v1
	v_mov_b32_e32 v46, v45
	;; [unrolled: 1-line block ×3, first 2 shown]
.LBB177_59:
	s_or_b32 exec_lo, exec_lo, s2
	v_mov_b32_e32 v1, v35
	s_mov_b32 s2, exec_lo
	v_cmpx_lt_f32_e32 v2, v35
	s_cbranch_execz .LBB177_61
; %bb.60:
	v_mov_b32_e32 v94, v59
	v_dual_mov_b32 v34, v35 :: v_dual_mov_b32 v35, v2
	v_mov_b32_e32 v82, v47
	v_dual_mov_b32 v3, v87 :: v_dual_mov_b32 v4, v88
	v_dual_mov_b32 v12, v96 :: v_dual_mov_b32 v9, v93
	;; [unrolled: 1-line block ×13, first 2 shown]
	v_mov_b32_e32 v7, v91
	v_mov_b32_e32 v11, v58
	v_dual_mov_b32 v14, v62 :: v_dual_mov_b32 v17, v77
	v_dual_mov_b32 v16, v76 :: v_dual_mov_b32 v19, v79
	;; [unrolled: 1-line block ×14, first 2 shown]
	v_mov_b32_e32 v47, v46
	v_mov_b32_e32 v59, v58
	v_mov_b32_e32 v74, v98
.LBB177_61:
	s_or_b32 exec_lo, exec_lo, s2
	v_mov_b32_e32 v39, v36
	s_mov_b32 s2, exec_lo
	v_cmpx_lt_f32_e32 v1, v36
	s_cbranch_execz .LBB177_63
; %bb.62:
	v_dual_mov_b32 v71, v60 :: v_dual_mov_b32 v72, v59
	v_dual_mov_b32 v73, v61 :: v_dual_mov_b32 v108, v47
	v_dual_mov_b32 v107, v48 :: v_dual_mov_b32 v110, v50
	v_dual_mov_b32 v109, v49 :: v_dual_mov_b32 v74, v62
	v_dual_mov_b32 v15, v99 :: v_dual_mov_b32 v16, v100
	v_dual_mov_b32 v3, v63 :: v_dual_mov_b32 v4, v64
	v_dual_mov_b32 v35, v36 :: v_dual_mov_b32 v36, v1
	v_dual_mov_b32 v17, v101 :: v_dual_mov_b32 v18, v102
	v_dual_mov_b32 v19, v103 :: v_dual_mov_b32 v20, v104
	v_dual_mov_b32 v21, v105 :: v_dual_mov_b32 v22, v106
	v_dual_mov_b32 v23, v107 :: v_dual_mov_b32 v24, v108
	v_dual_mov_b32 v25, v109 :: v_dual_mov_b32 v26, v110
	v_dual_mov_b32 v5, v65 :: v_dual_mov_b32 v6, v66
	v_dual_mov_b32 v7, v67 :: v_dual_mov_b32 v8, v68
	v_dual_mov_b32 v9, v69 :: v_dual_mov_b32 v10, v70
	v_dual_mov_b32 v11, v71 :: v_dual_mov_b32 v12, v72
	v_dual_mov_b32 v13, v73 :: v_dual_mov_b32 v14, v74
	v_mov_b32_e32 v39, v1
.LBB177_63:
	s_or_b32 exec_lo, exec_lo, s2
	s_delay_alu instid0(VALU_DEP_1)
	v_cmp_lt_f32_e32 vcc_lo, v39, v37
	v_dual_mov_b32 v40, v28 :: v_dual_mov_b32 v43, v31
	v_dual_mov_b32 v42, v30 :: v_dual_mov_b32 v45, v33
	v_dual_cndmask_b32 v1, v25, v24 :: v_dual_cndmask_b32 v24, v24, v25
	v_cndmask_b32_e32 v2, v13, v12, vcc_lo
	v_dual_cndmask_b32 v12, v12, v13 :: v_dual_cndmask_b32 v49, v37, v39
	v_dual_cndmask_b32 v48, v36, v37 :: v_dual_mov_b32 v41, v29
	v_dual_mov_b32 v39, v27 :: v_dual_mov_b32 v44, v32
	v_dual_mov_b32 v47, v35 :: v_dual_mov_b32 v46, v34
	v_mov_b32_e32 v50, v38
	s_mov_b32 s2, exec_lo
	v_cmpx_lt_f32_e32 v27, v28
	s_cbranch_execz .LBB177_65
; %bb.64:
	v_dual_mov_b32 v28, v40 :: v_dual_mov_b32 v29, v39
	v_dual_mov_b32 v38, v49 :: v_dual_mov_b32 v39, v50
	;; [unrolled: 1-line block ×6, first 2 shown]
	v_mov_b32_e32 v50, v39
	v_mov_b32_e32 v13, v15
	v_dual_mov_b32 v25, v3 :: v_dual_mov_b32 v44, v33
	v_swap_b32 v15, v16
	v_swap_b32 v3, v4
	v_dual_mov_b32 v49, v38 :: v_dual_mov_b32 v46, v35
	v_dual_mov_b32 v48, v37 :: v_dual_mov_b32 v47, v36
	;; [unrolled: 1-line block ×4, first 2 shown]
	v_mov_b32_e32 v41, v30
	v_dual_mov_b32 v39, v28 :: v_dual_mov_b32 v28, v27
.LBB177_65:
	s_or_b32 exec_lo, exec_lo, s2
	v_mov_b32_e32 v13, v2
	v_dual_mov_b32 v25, v1 :: v_dual_mov_b32 v62, v14
	v_dual_mov_b32 v74, v26 :: v_dual_mov_b32 v63, v15
	v_mov_b32_e32 v86, v26
	v_dual_mov_b32 v72, v24 :: v_dual_mov_b32 v75, v15
	v_dual_mov_b32 v110, v26 :: v_dual_mov_b32 v53, v5
	;; [unrolled: 1-line block ×61, first 2 shown]
	v_mov_b32_e32 v149, v5
	v_mov_b32_e32 v147, v3
	;; [unrolled: 1-line block ×3, first 2 shown]
	s_mov_b32 s2, exec_lo
	v_dual_mov_b32 v85, v25 :: v_dual_mov_b32 v84, v24
	v_dual_mov_b32 v83, v23 :: v_dual_mov_b32 v82, v22
	s_clause 0x2
	scratch_store_b128 off, v[3:6], off
	scratch_store_b128 off, v[7:10], off offset:16
	scratch_store_b128 off, v[11:14], off offset:32
	v_cmpx_lt_f32_e32 v28, v41
	s_cbranch_execz .LBB177_67
; %bb.66:
	v_dual_mov_b32 v158, v14 :: v_dual_mov_b32 v157, v13
	v_dual_mov_b32 v150, v6 :: v_dual_mov_b32 v149, v5
	;; [unrolled: 1-line block ×7, first 2 shown]
	s_clause 0x2
	scratch_store_b128 off, v[147:150], off
	scratch_store_b128 off, v[151:154], off offset:16
	scratch_store_b128 off, v[155:158], off offset:32
	v_dual_mov_b32 v182, v26 :: v_dual_mov_b32 v181, v25
	v_dual_mov_b32 v172, v16 :: v_dual_mov_b32 v171, v15
	;; [unrolled: 1-line block ×8, first 2 shown]
	s_delay_alu instid0(VALU_DEP_4) | instskip(SKIP_1) | instid1(VALU_DEP_4)
	v_dual_mov_b32 v160, v172 :: v_dual_mov_b32 v161, v173
	v_dual_mov_b32 v162, v174 :: v_dual_mov_b32 v163, v175
	;; [unrolled: 1-line block ×4, first 2 shown]
	v_mov_b32_e32 v170, v182
	v_dual_mov_b32 v166, v178 :: v_dual_mov_b32 v167, v179
	v_mov_b32_e32 v162, v18
	v_dual_mov_b32 v40, v41 :: v_dual_mov_b32 v41, v28
	v_mov_b32_e32 v5, v4
	v_mov_b32_e32 v17, v16
	;; [unrolled: 1-line block ×3, first 2 shown]
	v_dual_mov_b32 v137, v149 :: v_dual_mov_b32 v144, v156
	v_dual_mov_b32 v123, v159 :: v_dual_mov_b32 v136, v148
	v_dual_mov_b32 v139, v151 :: v_dual_mov_b32 v124, v160
	v_dual_mov_b32 v127, v163 :: v_dual_mov_b32 v140, v152
	v_dual_mov_b32 v143, v155 :: v_dual_mov_b32 v128, v164
	v_dual_mov_b32 v131, v167 :: v_dual_mov_b32 v132, v168
	v_dual_mov_b32 v139, v7 :: v_dual_mov_b32 v134, v170
	v_dual_mov_b32 v127, v19 :: v_dual_mov_b32 v138, v150
	v_dual_mov_b32 v141, v153 :: v_dual_mov_b32 v142, v154
	v_dual_mov_b32 v145, v157 :: v_dual_mov_b32 v146, v158
	v_dual_mov_b32 v125, v161 :: v_dual_mov_b32 v126, v162
	v_dual_mov_b32 v129, v165 :: v_dual_mov_b32 v130, v166
	v_mov_b32_e32 v133, v169
	v_dual_mov_b32 v111, v135 :: v_dual_mov_b32 v112, v136
	v_dual_mov_b32 v99, v123 :: v_dual_mov_b32 v100, v124
	;; [unrolled: 1-line block ×12, first 2 shown]
	v_mov_b32_e32 v104, v20
	v_dual_mov_b32 v116, v8 :: v_dual_mov_b32 v75, v99
	v_mov_b32_e32 v87, v111
	v_dual_mov_b32 v93, v117 :: v_dual_mov_b32 v78, v102
	s_delay_alu instid0(VALU_DEP_3)
	v_dual_mov_b32 v81, v105 :: v_dual_mov_b32 v92, v116
	v_dual_mov_b32 v90, v114 :: v_dual_mov_b32 v91, v115
	;; [unrolled: 1-line block ×11, first 2 shown]
	v_mov_b32_e32 v51, v87
	v_dual_mov_b32 v63, v75 :: v_dual_mov_b32 v66, v78
	v_dual_mov_b32 v55, v91 :: v_dual_mov_b32 v58, v94
	;; [unrolled: 1-line block ×14, first 2 shown]
	v_mov_b32_e32 v72, v24
	v_dual_mov_b32 v62, v14 :: v_dual_mov_b32 v71, v23
	v_dual_mov_b32 v70, v22 :: v_dual_mov_b32 v73, v1
	v_mov_b32_e32 v74, v26
.LBB177_67:
	s_or_b32 exec_lo, exec_lo, s2
	v_mov_b32_e32 v3, v42
	v_cmp_lt_f32_e32 vcc_lo, v13, v42
	s_mov_b32 s2, exec_lo
	s_clause 0x2
	scratch_load_b128 v[27:30], off, off
	scratch_load_b128 v[31:34], off, off offset:16
	scratch_load_b128 v[35:38], off, off offset:32
	s_and_b32 s3, s2, vcc_lo
	s_delay_alu instid0(SALU_CYCLE_1)
	s_mov_b32 exec_lo, s3
	s_cbranch_execz .LBB177_69
; %bb.68:
	v_mov_b32_e32 v173, v18
	s_waitcnt vmcnt(2)
	v_mov_b32_e32 v29, v6
	v_dual_mov_b32 v159, v171 :: v_dual_mov_b32 v160, v172
	s_waitcnt vmcnt(0)
	v_dual_mov_b32 v158, v38 :: v_dual_mov_b32 v157, v37
	v_dual_mov_b32 v156, v36 :: v_dual_mov_b32 v147, v27
	;; [unrolled: 1-line block ×6, first 2 shown]
	v_mov_b32_e32 v168, v180
	v_dual_mov_b32 v164, v176 :: v_dual_mov_b32 v165, v177
	v_dual_mov_b32 v170, v182 :: v_dual_mov_b32 v155, v35
	;; [unrolled: 1-line block ×4, first 2 shown]
	v_mov_b32_e32 v150, v5
	v_mov_b32_e32 v169, v181
	v_dual_mov_b32 v162, v17 :: v_dual_mov_b32 v135, v147
	v_dual_mov_b32 v136, v148 :: v_dual_mov_b32 v123, v159
	v_dual_mov_b32 v124, v160 :: v_dual_mov_b32 v137, v149
	v_dual_mov_b32 v138, v150 :: v_dual_mov_b32 v139, v151
	v_dual_mov_b32 v140, v152 :: v_dual_mov_b32 v141, v153
	v_dual_mov_b32 v142, v154 :: v_dual_mov_b32 v127, v163
	v_dual_mov_b32 v128, v164 :: v_dual_mov_b32 v129, v165
	v_dual_mov_b32 v130, v166 :: v_dual_mov_b32 v143, v155
	v_dual_mov_b32 v144, v156 :: v_dual_mov_b32 v145, v157
	v_dual_mov_b32 v146, v158 :: v_dual_mov_b32 v125, v161
	v_dual_mov_b32 v126, v162 :: v_dual_mov_b32 v131, v167
	v_dual_mov_b32 v132, v168 :: v_dual_mov_b32 v133, v169
	v_dual_mov_b32 v134, v170 :: v_dual_mov_b32 v127, v19
	v_mov_b32_e32 v139, v7
	v_dual_mov_b32 v99, v123 :: v_dual_mov_b32 v100, v124
	v_dual_mov_b32 v111, v135 :: v_dual_mov_b32 v114, v138
	;; [unrolled: 1-line block ×4, first 2 shown]
	v_mov_b32_e32 v120, v144
	v_dual_mov_b32 v104, v128 :: v_dual_mov_b32 v105, v129
	v_dual_mov_b32 v110, v134 :: v_dual_mov_b32 v115, v139
	;; [unrolled: 1-line block ×21, first 2 shown]
	v_mov_b32_e32 v93, v9
	v_dual_mov_b32 v63, v75 :: v_dual_mov_b32 v64, v76
	v_dual_mov_b32 v51, v87 :: v_dual_mov_b32 v54, v90
	;; [unrolled: 1-line block ×3, first 2 shown]
	s_delay_alu instid0(VALU_DEP_4)
	v_dual_mov_b32 v58, v94 :: v_dual_mov_b32 v57, v93
	v_dual_mov_b32 v60, v96 :: v_dual_mov_b32 v59, v95
	;; [unrolled: 1-line block ×9, first 2 shown]
	v_mov_b32_e32 v42, v13
	v_dual_mov_b32 v53, v89 :: v_dual_mov_b32 v56, v92
	v_dual_mov_b32 v68, v80 :: v_dual_mov_b32 v59, v11
	v_mov_b32_e32 v62, v14
	v_dual_mov_b32 v61, v2 :: v_dual_mov_b32 v72, v24
	v_dual_mov_b32 v70, v22 :: v_dual_mov_b32 v71, v23
	;; [unrolled: 1-line block ×3, first 2 shown]
	v_mov_b32_e32 v3, v13
	v_mov_b32_e32 v18, v17
	;; [unrolled: 1-line block ×3, first 2 shown]
.LBB177_69:
	s_or_b32 exec_lo, exec_lo, s2
	v_mov_b32_e32 v4, v43
	s_mov_b32 s2, exec_lo
	v_cmpx_lt_f32_e32 v3, v43
	s_cbranch_execz .LBB177_71
; %bb.70:
	v_mov_b32_e32 v174, v19
	s_waitcnt vmcnt(2)
	v_mov_b32_e32 v30, v7
	v_mov_b32_e32 v123, v171
	s_waitcnt vmcnt(0)
	v_dual_mov_b32 v125, v173 :: v_dual_mov_b32 v146, v38
	s_delay_alu instid0(VALU_DEP_3)
	v_dual_mov_b32 v143, v35 :: v_dual_mov_b32 v138, v30
	v_mov_b32_e32 v135, v27
	v_dual_mov_b32 v145, v37 :: v_dual_mov_b32 v142, v34
	v_dual_mov_b32 v139, v31 :: v_dual_mov_b32 v136, v28
	;; [unrolled: 1-line block ×6, first 2 shown]
	v_mov_b32_e32 v139, v6
	v_dual_mov_b32 v127, v18 :: v_dual_mov_b32 v124, v172
	v_dual_mov_b32 v126, v174 :: v_dual_mov_b32 v129, v177
	;; [unrolled: 1-line block ×15, first 2 shown]
	v_mov_b32_e32 v110, v134
	v_mov_b32_e32 v104, v20
	v_dual_mov_b32 v116, v8 :: v_dual_mov_b32 v75, v99
	v_mov_b32_e32 v87, v111
	v_dual_mov_b32 v93, v117 :: v_dual_mov_b32 v78, v102
	s_delay_alu instid0(VALU_DEP_3)
	v_dual_mov_b32 v81, v105 :: v_dual_mov_b32 v92, v116
	v_dual_mov_b32 v80, v104 :: v_dual_mov_b32 v83, v107
	;; [unrolled: 1-line block ×11, first 2 shown]
	v_mov_b32_e32 v63, v75
	s_delay_alu instid0(VALU_DEP_3)
	v_dual_mov_b32 v51, v87 :: v_dual_mov_b32 v54, v90
	v_dual_mov_b32 v71, v83 :: v_dual_mov_b32 v72, v84
	;; [unrolled: 1-line block ×14, first 2 shown]
	v_mov_b32_e32 v68, v80
	v_dual_mov_b32 v58, v10 :: v_dual_mov_b32 v59, v11
	v_dual_mov_b32 v60, v12 :: v_dual_mov_b32 v61, v2
	v_dual_mov_b32 v62, v14 :: v_dual_mov_b32 v71, v23
	v_dual_mov_b32 v70, v22 :: v_dual_mov_b32 v73, v1
	v_dual_mov_b32 v74, v26 :: v_dual_mov_b32 v161, v173
	v_dual_mov_b32 v160, v172 :: v_dual_mov_b32 v163, v175
	v_dual_mov_b32 v162, v174 :: v_dual_mov_b32 v165, v177
	v_dual_mov_b32 v164, v176 :: v_dual_mov_b32 v167, v179
	v_dual_mov_b32 v166, v178 :: v_dual_mov_b32 v169, v181
	v_dual_mov_b32 v168, v180 :: v_dual_mov_b32 v157, v37
	v_dual_mov_b32 v170, v182 :: v_dual_mov_b32 v155, v35
	v_dual_mov_b32 v156, v36 :: v_dual_mov_b32 v151, v31
	v_dual_mov_b32 v154, v34 :: v_dual_mov_b32 v149, v29
	v_dual_mov_b32 v152, v32 :: v_dual_mov_b32 v147, v27
	v_mov_b32_e32 v150, v30
	v_dual_mov_b32 v148, v28 :: v_dual_mov_b32 v19, v18
	v_dual_mov_b32 v4, v3 :: v_dual_mov_b32 v7, v6
.LBB177_71:
	s_or_b32 exec_lo, exec_lo, s2
	v_mov_b32_e32 v3, v44
	s_mov_b32 s2, exec_lo
	s_delay_alu instid0(VALU_DEP_2)
	v_cmpx_lt_f32_e32 v4, v44
	s_cbranch_execz .LBB177_73
; %bb.72:
	v_mov_b32_e32 v163, v20
	v_mov_b32_e32 v151, v8
	v_dual_mov_b32 v99, v159 :: v_dual_mov_b32 v102, v162
	v_dual_mov_b32 v111, v147 :: v_dual_mov_b32 v112, v148
	;; [unrolled: 1-line block ×10, first 2 shown]
	v_mov_b32_e32 v108, v168
	v_dual_mov_b32 v104, v164 :: v_dual_mov_b32 v109, v169
	v_mov_b32_e32 v116, v7
	v_mov_b32_e32 v107, v167
	;; [unrolled: 1-line block ×3, first 2 shown]
	v_dual_mov_b32 v87, v111 :: v_dual_mov_b32 v90, v114
	v_dual_mov_b32 v88, v112 :: v_dual_mov_b32 v89, v113
	;; [unrolled: 1-line block ×12, first 2 shown]
	v_mov_b32_e32 v93, v9
	v_mov_b32_e32 v43, v44
	v_dual_mov_b32 v44, v4 :: v_dual_mov_b32 v81, v21
	v_dual_mov_b32 v51, v87 :: v_dual_mov_b32 v56, v92
	;; [unrolled: 1-line block ×15, first 2 shown]
	v_mov_b32_e32 v136, v148
	v_dual_mov_b32 v54, v90 :: v_dual_mov_b32 v59, v11
	v_mov_b32_e32 v62, v14
	v_dual_mov_b32 v61, v2 :: v_dual_mov_b32 v72, v24
	v_dual_mov_b32 v70, v22 :: v_dual_mov_b32 v71, v23
	;; [unrolled: 1-line block ×14, first 2 shown]
	v_mov_b32_e32 v8, v7
.LBB177_73:
	s_or_b32 exec_lo, exec_lo, s2
	v_mov_b32_e32 v4, v45
	s_mov_b32 s2, exec_lo
	v_cmpx_lt_f32_e32 v3, v45
	s_cbranch_execz .LBB177_75
; %bb.74:
	v_mov_b32_e32 v140, v9
	v_dual_mov_b32 v128, v21 :: v_dual_mov_b32 v87, v135
	v_mov_b32_e32 v93, v141
	v_dual_mov_b32 v93, v8 :: v_dual_mov_b32 v94, v142
	v_dual_mov_b32 v96, v144 :: v_dual_mov_b32 v97, v145
	v_mov_b32_e32 v98, v146
	v_dual_mov_b32 v44, v45 :: v_dual_mov_b32 v75, v123
	v_dual_mov_b32 v84, v132 :: v_dual_mov_b32 v85, v133
	;; [unrolled: 1-line block ×8, first 2 shown]
	v_mov_b32_e32 v81, v20
	v_dual_mov_b32 v51, v87 :: v_dual_mov_b32 v52, v88
	v_dual_mov_b32 v76, v124 :: v_dual_mov_b32 v77, v125
	;; [unrolled: 1-line block ×30, first 2 shown]
	v_mov_b32_e32 v120, v144
	v_dual_mov_b32 v122, v146 :: v_dual_mov_b32 v21, v20
	v_dual_mov_b32 v4, v3 :: v_dual_mov_b32 v9, v8
.LBB177_75:
	s_or_b32 exec_lo, exec_lo, s2
	v_mov_b32_e32 v3, v46
	s_mov_b32 s2, exec_lo
	s_delay_alu instid0(VALU_DEP_2)
	v_cmpx_lt_f32_e32 v4, v46
	s_cbranch_execz .LBB177_77
; %bb.76:
	v_mov_b32_e32 v117, v10
	v_dual_mov_b32 v45, v46 :: v_dual_mov_b32 v46, v4
	v_mov_b32_e32 v105, v22
	v_dual_mov_b32 v51, v111 :: v_dual_mov_b32 v54, v114
	v_dual_mov_b32 v56, v116 :: v_dual_mov_b32 v63, v99
	;; [unrolled: 1-line block ×6, first 2 shown]
	v_mov_b32_e32 v58, v9
	v_dual_mov_b32 v61, v121 :: v_dual_mov_b32 v60, v12
	v_dual_mov_b32 v67, v103 :: v_dual_mov_b32 v70, v106
	;; [unrolled: 1-line block ×8, first 2 shown]
	v_mov_b32_e32 v62, v14
	v_dual_mov_b32 v61, v2 :: v_dual_mov_b32 v64, v100
	v_dual_mov_b32 v65, v101 :: v_dual_mov_b32 v68, v104
	;; [unrolled: 1-line block ×15, first 2 shown]
	v_mov_b32_e32 v98, v122
.LBB177_77:
	s_or_b32 exec_lo, exec_lo, s2
	v_mov_b32_e32 v4, v47
	s_mov_b32 s2, exec_lo
	v_cmpx_lt_f32_e32 v3, v47
	s_cbranch_execz .LBB177_79
; %bb.78:
	v_dual_mov_b32 v84, v24 :: v_dual_mov_b32 v85, v1
	v_dual_mov_b32 v94, v11 :: v_dual_mov_b32 v95, v10
	;; [unrolled: 1-line block ×4, first 2 shown]
	v_mov_b32_e32 v86, v26
	v_mov_b32_e32 v46, v47
	v_dual_mov_b32 v47, v3 :: v_dual_mov_b32 v98, v14
	v_dual_mov_b32 v63, v75 :: v_dual_mov_b32 v72, v84
	v_dual_mov_b32 v51, v87 :: v_dual_mov_b32 v64, v76
	v_mov_b32_e32 v67, v79
	v_dual_mov_b32 v65, v77 :: v_dual_mov_b32 v66, v78
	v_dual_mov_b32 v69, v81 :: v_dual_mov_b32 v68, v80
	v_dual_mov_b32 v71, v83 :: v_dual_mov_b32 v70, v82
	v_dual_mov_b32 v73, v85 :: v_dual_mov_b32 v74, v86
	v_dual_mov_b32 v53, v89 :: v_dual_mov_b32 v52, v88
	v_dual_mov_b32 v55, v91 :: v_dual_mov_b32 v54, v90
	v_dual_mov_b32 v57, v93 :: v_dual_mov_b32 v56, v92
	v_dual_mov_b32 v59, v95 :: v_dual_mov_b32 v58, v94
	v_dual_mov_b32 v61, v97 :: v_dual_mov_b32 v60, v96
	v_mov_b32_e32 v62, v98
	v_mov_b32_e32 v4, v3
.LBB177_79:
	s_or_b32 exec_lo, exec_lo, s2
	s_delay_alu instid0(VALU_DEP_1)
	v_cmp_lt_f32_e32 vcc_lo, v4, v48
	v_dual_mov_b32 v3, v41 :: v_dual_mov_b32 v8, v46
	v_dual_mov_b32 v5, v43 :: v_dual_mov_b32 v12, v50
	s_waitcnt vmcnt(0)
	v_cndmask_b32_e32 v37, v72, v71, vcc_lo
	v_dual_cndmask_b32 v71, v71, v72 :: v_dual_cndmask_b32 v38, v60, v59
	v_dual_cndmask_b32 v59, v59, v60 :: v_dual_mov_b32 v2, v40
	v_dual_cndmask_b32 v10, v48, v4 :: v_dual_mov_b32 v1, v39
	;; [unrolled: 1-line block ×3, first 2 shown]
	v_dual_mov_b32 v4, v42 :: v_dual_mov_b32 v7, v45
	v_mov_b32_e32 v11, v49
	s_mov_b32 s2, exec_lo
	v_cmpx_lt_f32_e32 v39, v40
	s_cbranch_execz .LBB177_81
; %bb.80:
	v_dual_mov_b32 v13, v2 :: v_dual_mov_b32 v14, v1
	v_dual_mov_b32 v15, v3 :: v_dual_mov_b32 v16, v4
	;; [unrolled: 1-line block ×6, first 2 shown]
	v_mov_b32_e32 v25, v63
	v_dual_mov_b32 v26, v51 :: v_dual_mov_b32 v1, v13
	v_swap_b32 v63, v64
	v_swap_b32 v51, v52
	v_dual_mov_b32 v2, v14 :: v_dual_mov_b32 v3, v15
	v_dual_mov_b32 v4, v16 :: v_dual_mov_b32 v5, v17
	;; [unrolled: 1-line block ×5, first 2 shown]
	v_mov_b32_e32 v12, v24
	v_mov_b32_e32 v40, v39
.LBB177_81:
	s_or_b32 exec_lo, exec_lo, s2
	v_mov_b32_e32 v60, v38
	v_dual_mov_b32 v72, v37 :: v_dual_mov_b32 v13, v51
	v_dual_mov_b32 v25, v63 :: v_dual_mov_b32 v98, v74
	;; [unrolled: 1-line block ×60, first 2 shown]
	s_mov_b32 s2, exec_lo
	v_dual_mov_b32 v96, v72 :: v_dual_mov_b32 v93, v69
	v_cmpx_lt_f32_e32 v40, v3
	s_cbranch_execz .LBB177_83
; %bb.82:
	v_dual_mov_b32 v134, v62 :: v_dual_mov_b32 v133, v61
	v_dual_mov_b32 v124, v52 :: v_dual_mov_b32 v123, v51
	v_mov_b32_e32 v124, v53
	v_dual_mov_b32 v128, v56 :: v_dual_mov_b32 v127, v55
	v_dual_mov_b32 v132, v60 :: v_dual_mov_b32 v131, v59
	;; [unrolled: 1-line block ×11, first 2 shown]
	v_mov_b32_e32 v141, v69
	v_dual_mov_b32 v136, v65 :: v_dual_mov_b32 v137, v64
	v_dual_mov_b32 v160, v124 :: v_dual_mov_b32 v159, v123
	;; [unrolled: 1-line block ×40, first 2 shown]
	v_mov_b32_e32 v22, v84
	v_dual_mov_b32 v22, v38 :: v_dual_mov_b32 v25, v87
	v_dual_mov_b32 v16, v78 :: v_dual_mov_b32 v19, v81
	;; [unrolled: 1-line block ×16, first 2 shown]
	v_mov_b32_e32 v35, v73
	v_dual_mov_b32 v34, v37 :: v_dual_mov_b32 v39, v40
	v_dual_mov_b32 v36, v74 :: v_dual_mov_b32 v65, v64
	v_mov_b32_e32 v53, v52
.LBB177_83:
	s_or_b32 exec_lo, exec_lo, s2
	v_mov_b32_e32 v40, v4
	s_mov_b32 s2, exec_lo
	v_cmpx_lt_f32_e32 v39, v4
	s_cbranch_execz .LBB177_85
; %bb.84:
	v_mov_b32_e32 v137, v66
	v_mov_b32_e32 v125, v54
	;; [unrolled: 1-line block ×4, first 2 shown]
	v_dual_mov_b32 v170, v134 :: v_dual_mov_b32 v169, v133
	v_dual_mov_b32 v168, v132 :: v_dual_mov_b32 v159, v123
	;; [unrolled: 1-line block ×9, first 2 shown]
	v_mov_b32_e32 v157, v145
	v_dual_mov_b32 v155, v143 :: v_dual_mov_b32 v152, v140
	v_mov_b32_e32 v162, v53
	v_mov_b32_e32 v149, v137
	v_dual_mov_b32 v150, v65 :: v_dual_mov_b32 v111, v159
	v_dual_mov_b32 v112, v160 :: v_dual_mov_b32 v99, v147
	;; [unrolled: 1-line block ×13, first 2 shown]
	v_mov_b32_e32 v115, v55
	v_dual_mov_b32 v87, v99 :: v_dual_mov_b32 v88, v100
	v_dual_mov_b32 v75, v111 :: v_dual_mov_b32 v78, v114
	;; [unrolled: 1-line block ×3, first 2 shown]
	s_delay_alu instid0(VALU_DEP_4)
	v_dual_mov_b32 v80, v116 :: v_dual_mov_b32 v79, v115
	v_dual_mov_b32 v82, v118 :: v_dual_mov_b32 v81, v117
	;; [unrolled: 1-line block ×6, first 2 shown]
	v_mov_b32_e32 v96, v108
	v_dual_mov_b32 v92, v104 :: v_dual_mov_b32 v93, v105
	v_dual_mov_b32 v98, v110 :: v_dual_mov_b32 v95, v107
	;; [unrolled: 1-line block ×21, first 2 shown]
	v_mov_b32_e32 v34, v37
	v_dual_mov_b32 v35, v73 :: v_dual_mov_b32 v36, v74
	v_mov_b32_e32 v40, v39
	v_mov_b32_e32 v66, v65
	v_mov_b32_e32 v54, v53
.LBB177_85:
	s_or_b32 exec_lo, exec_lo, s2
	v_mov_b32_e32 v39, v5
	s_mov_b32 s2, exec_lo
	v_cmpx_lt_f32_e32 v40, v5
	s_cbranch_execz .LBB177_87
; %bb.86:
	v_mov_b32_e32 v126, v55
	v_mov_b32_e32 v111, v123
	;; [unrolled: 1-line block ×3, first 2 shown]
	v_dual_mov_b32 v115, v54 :: v_dual_mov_b32 v116, v128
	v_dual_mov_b32 v138, v67 :: v_dual_mov_b32 v113, v125
	v_mov_b32_e32 v112, v124
	v_dual_mov_b32 v118, v130 :: v_dual_mov_b32 v119, v131
	v_dual_mov_b32 v120, v132 :: v_dual_mov_b32 v121, v133
	;; [unrolled: 1-line block ×24, first 2 shown]
	v_mov_b32_e32 v22, v84
	v_dual_mov_b32 v22, v38 :: v_dual_mov_b32 v25, v87
	v_dual_mov_b32 v16, v78 :: v_dual_mov_b32 v19, v81
	;; [unrolled: 1-line block ×18, first 2 shown]
	v_mov_b32_e32 v35, v73
	v_dual_mov_b32 v34, v37 :: v_dual_mov_b32 v155, v143
	v_dual_mov_b32 v36, v74 :: v_dual_mov_b32 v157, v145
	;; [unrolled: 1-line block ×12, first 2 shown]
	v_mov_b32_e32 v55, v54
.LBB177_87:
	s_or_b32 exec_lo, exec_lo, s2
	v_mov_b32_e32 v40, v6
	s_mov_b32 s2, exec_lo
	v_cmpx_lt_f32_e32 v39, v6
	s_cbranch_execz .LBB177_89
; %bb.88:
	v_mov_b32_e32 v163, v56
	v_dual_mov_b32 v75, v159 :: v_dual_mov_b32 v80, v164
	v_dual_mov_b32 v80, v55 :: v_dual_mov_b32 v81, v165
	;; [unrolled: 1-line block ×7, first 2 shown]
	v_mov_b32_e32 v85, v169
	v_dual_mov_b32 v89, v149 :: v_dual_mov_b32 v92, v152
	v_dual_mov_b32 v91, v151 :: v_dual_mov_b32 v94, v154
	v_dual_mov_b32 v93, v153 :: v_dual_mov_b32 v96, v156
	v_dual_mov_b32 v95, v155 :: v_dual_mov_b32 v98, v158
	v_dual_mov_b32 v97, v157 :: v_dual_mov_b32 v92, v67
	v_dual_mov_b32 v76, v160 :: v_dual_mov_b32 v5, v6
	v_mov_b32_e32 v88, v148
	v_mov_b32_e32 v6, v39
	s_delay_alu instid0(VALU_DEP_3) | instskip(NEXT) | instid1(VALU_DEP_3)
	v_dual_mov_b32 v13, v75 :: v_dual_mov_b32 v14, v76
	v_dual_mov_b32 v25, v87 :: v_dual_mov_b32 v26, v88
	;; [unrolled: 1-line block ×30, first 2 shown]
	v_mov_b32_e32 v40, v39
	v_mov_b32_e32 v68, v67
	;; [unrolled: 1-line block ×3, first 2 shown]
.LBB177_89:
	s_or_b32 exec_lo, exec_lo, s2
	v_mov_b32_e32 v39, v7
	s_mov_b32 s2, exec_lo
	v_cmpx_lt_f32_e32 v40, v7
	s_cbranch_execz .LBB177_91
; %bb.90:
	v_mov_b32_e32 v116, v57
	v_dual_mov_b32 v6, v7 :: v_dual_mov_b32 v7, v40
	v_dual_mov_b32 v104, v69 :: v_dual_mov_b32 v13, v111
	v_mov_b32_e32 v22, v120
	v_dual_mov_b32 v22, v38 :: v_dual_mov_b32 v25, v99
	v_mov_b32_e32 v34, v108
	v_dual_mov_b32 v34, v37 :: v_dual_mov_b32 v87, v99
	v_dual_mov_b32 v16, v114 :: v_dual_mov_b32 v19, v117
	;; [unrolled: 1-line block ×12, first 2 shown]
	v_mov_b32_e32 v23, v61
	v_dual_mov_b32 v21, v59 :: v_dual_mov_b32 v24, v62
	v_dual_mov_b32 v27, v101 :: v_dual_mov_b32 v26, v100
	v_dual_mov_b32 v29, v103 :: v_dual_mov_b32 v32, v70
	v_mov_b32_e32 v35, v73
	v_dual_mov_b32 v33, v71 :: v_dual_mov_b32 v36, v74
	v_dual_mov_b32 v89, v101 :: v_dual_mov_b32 v88, v100
	;; [unrolled: 1-line block ×9, first 2 shown]
	v_mov_b32_e32 v39, v40
	v_mov_b32_e32 v69, v68
	v_dual_mov_b32 v57, v56 :: v_dual_mov_b32 v94, v106
	v_dual_mov_b32 v97, v109 :: v_dual_mov_b32 v82, v118
	;; [unrolled: 1-line block ×3, first 2 shown]
.LBB177_91:
	s_or_b32 exec_lo, exec_lo, s2
	v_mov_b32_e32 v40, v8
	s_mov_b32 s2, exec_lo
	v_cmpx_lt_f32_e32 v39, v8
	s_cbranch_execz .LBB177_93
; %bb.92:
	v_dual_mov_b32 v81, v58 :: v_dual_mov_b32 v82, v57
	v_dual_mov_b32 v83, v59 :: v_dual_mov_b32 v84, v38
	;; [unrolled: 1-line block ×19, first 2 shown]
	v_mov_b32_e32 v40, v39
.LBB177_93:
	s_or_b32 exec_lo, exec_lo, s2
	s_delay_alu instid0(VALU_DEP_1)
	v_cmp_lt_f32_e32 vcc_lo, v40, v9
	v_dual_mov_b32 v38, v2 :: v_dual_mov_b32 v41, v5
	v_dual_mov_b32 v42, v6 :: v_dual_mov_b32 v47, v11
	v_dual_cndmask_b32 v145, v33, v32 :: v_dual_cndmask_b32 v32, v32, v33
	v_dual_cndmask_b32 v146, v21, v20 :: v_dual_mov_b32 v39, v3
	v_dual_cndmask_b32 v20, v20, v21 :: v_dual_cndmask_b32 v45, v9, v40
	v_dual_cndmask_b32 v44, v8, v9 :: v_dual_mov_b32 v37, v1
	v_dual_mov_b32 v40, v4 :: v_dual_mov_b32 v43, v7
	v_mov_b32_e32 v46, v10
	v_mov_b32_e32 v48, v12
	s_mov_b32 s2, exec_lo
	v_cmpx_lt_f32_e32 v1, v2
	s_cbranch_execz .LBB177_95
; %bb.94:
	v_dual_mov_b32 v49, v38 :: v_dual_mov_b32 v50, v37
	v_dual_mov_b32 v51, v39 :: v_dual_mov_b32 v52, v40
	;; [unrolled: 1-line block ×6, first 2 shown]
	v_mov_b32_e32 v3, v25
	v_mov_b32_e32 v4, v13
	v_dual_mov_b32 v37, v49 :: v_dual_mov_b32 v40, v52
	v_swap_b32 v25, v26
	v_swap_b32 v13, v14
	v_dual_mov_b32 v38, v50 :: v_dual_mov_b32 v39, v51
	v_dual_mov_b32 v41, v53 :: v_dual_mov_b32 v42, v54
	;; [unrolled: 1-line block ×5, first 2 shown]
	v_mov_b32_e32 v2, v1
.LBB177_95:
	s_or_b32 exec_lo, exec_lo, s2
	v_mov_b32_e32 v21, v146
	v_dual_mov_b32 v33, v145 :: v_dual_mov_b32 v60, v24
	v_dual_mov_b32 v72, v36 :: v_dual_mov_b32 v61, v25
	;; [unrolled: 1-line block ×43, first 2 shown]
	v_mov_b32_e32 v97, v13
	v_mov_b32_e32 v1, v39
	s_mov_b32 s2, exec_lo
	v_dual_mov_b32 v95, v35 :: v_dual_mov_b32 v94, v34
	v_dual_mov_b32 v93, v33 :: v_dual_mov_b32 v92, v32
	;; [unrolled: 1-line block ×5, first 2 shown]
	v_cmpx_lt_f32_e32 v2, v39
	s_cbranch_execz .LBB177_97
; %bb.96:
	v_dual_mov_b32 v108, v24 :: v_dual_mov_b32 v107, v23
	v_dual_mov_b32 v98, v14 :: v_dual_mov_b32 v97, v13
	v_mov_b32_e32 v98, v15
	v_dual_mov_b32 v104, v20 :: v_dual_mov_b32 v103, v19
	v_dual_mov_b32 v100, v16 :: v_dual_mov_b32 v99, v15
	;; [unrolled: 1-line block ×26, first 2 shown]
	v_mov_b32_e32 v84, v144
	v_dual_mov_b32 v74, v134 :: v_dual_mov_b32 v77, v137
	v_mov_b32_e32 v75, v135
	v_dual_mov_b32 v38, v39 :: v_dual_mov_b32 v85, v121
	v_dual_mov_b32 v76, v136 :: v_dual_mov_b32 v79, v139
	;; [unrolled: 1-line block ×10, first 2 shown]
	v_mov_b32_e32 v39, v2
	v_dual_mov_b32 v49, v73 :: v_dual_mov_b32 v50, v74
	v_dual_mov_b32 v59, v83 :: v_dual_mov_b32 v60, v84
	;; [unrolled: 1-line block ×18, first 2 shown]
	v_mov_b32_e32 v70, v34
	v_dual_mov_b32 v72, v36 :: v_dual_mov_b32 v1, v2
	v_mov_b32_e32 v27, v26
	v_mov_b32_e32 v15, v14
.LBB177_97:
	s_or_b32 exec_lo, exec_lo, s2
	v_mov_b32_e32 v2, v40
	s_mov_b32 s2, exec_lo
	v_cmpx_lt_f32_e32 v1, v40
	s_cbranch_execz .LBB177_99
; %bb.98:
	v_mov_b32_e32 v99, v16
	v_mov_b32_e32 v144, v108
	;; [unrolled: 1-line block ×3, first 2 shown]
	v_dual_mov_b32 v136, v15 :: v_dual_mov_b32 v111, v28
	v_dual_mov_b32 v142, v106 :: v_dual_mov_b32 v133, v97
	;; [unrolled: 1-line block ×4, first 2 shown]
	v_mov_b32_e32 v135, v99
	v_dual_mov_b32 v125, v113 :: v_dual_mov_b32 v124, v112
	v_mov_b32_e32 v143, v107
	v_dual_mov_b32 v141, v105 :: v_dual_mov_b32 v140, v104
	v_dual_mov_b32 v139, v103 :: v_dual_mov_b32 v138, v102
	v_dual_mov_b32 v131, v119 :: v_dual_mov_b32 v130, v118
	v_dual_mov_b32 v129, v117 :: v_dual_mov_b32 v128, v116
	v_dual_mov_b32 v127, v115 :: v_dual_mov_b32 v126, v114
	v_dual_mov_b32 v123, v111 :: v_dual_mov_b32 v122, v110
	v_dual_mov_b32 v124, v27 :: v_dual_mov_b32 v73, v133
	v_dual_mov_b32 v74, v134 :: v_dual_mov_b32 v85, v121
	v_dual_mov_b32 v75, v135 :: v_dual_mov_b32 v76, v136
	v_dual_mov_b32 v77, v137 :: v_dual_mov_b32 v78, v138
	v_dual_mov_b32 v89, v125 :: v_dual_mov_b32 v92, v128
	v_dual_mov_b32 v79, v139 :: v_dual_mov_b32 v80, v140
	v_dual_mov_b32 v81, v141 :: v_dual_mov_b32 v82, v142
	v_dual_mov_b32 v83, v143 :: v_dual_mov_b32 v84, v144
	v_dual_mov_b32 v77, v17 :: v_dual_mov_b32 v86, v122
	v_dual_mov_b32 v87, v123 :: v_dual_mov_b32 v90, v126
	v_dual_mov_b32 v91, v127 :: v_dual_mov_b32 v94, v130
	v_dual_mov_b32 v93, v129 :: v_dual_mov_b32 v96, v132
	v_mov_b32_e32 v95, v131
	v_dual_mov_b32 v89, v29 :: v_dual_mov_b32 v88, v124
	v_dual_mov_b32 v49, v73 :: v_dual_mov_b32 v54, v78
	v_mov_b32_e32 v50, v74
	v_dual_mov_b32 v52, v76 :: v_dual_mov_b32 v61, v85
	s_delay_alu instid0(VALU_DEP_4)
	v_dual_mov_b32 v64, v88 :: v_dual_mov_b32 v51, v75
	v_dual_mov_b32 v56, v80 :: v_dual_mov_b32 v53, v77
	;; [unrolled: 1-line block ×12, first 2 shown]
	v_mov_b32_e32 v58, v22
	v_dual_mov_b32 v57, v146 :: v_dual_mov_b32 v60, v24
	v_dual_mov_b32 v59, v23 :: v_dual_mov_b32 v62, v86
	;; [unrolled: 1-line block ×5, first 2 shown]
	v_mov_b32_e32 v2, v1
	v_mov_b32_e32 v28, v27
	v_mov_b32_e32 v16, v15
.LBB177_99:
	s_or_b32 exec_lo, exec_lo, s2
	v_mov_b32_e32 v1, v41
	s_mov_b32 s2, exec_lo
	v_cmpx_lt_f32_e32 v2, v41
	s_cbranch_execz .LBB177_101
; %bb.100:
	v_mov_b32_e32 v100, v17
	v_mov_b32_e32 v73, v97
	;; [unrolled: 1-line block ×3, first 2 shown]
	v_dual_mov_b32 v77, v16 :: v_dual_mov_b32 v78, v102
	v_dual_mov_b32 v112, v29 :: v_dual_mov_b32 v75, v99
	;; [unrolled: 1-line block ×3, first 2 shown]
	v_mov_b32_e32 v84, v108
	v_dual_mov_b32 v74, v98 :: v_dual_mov_b32 v85, v109
	v_mov_b32_e32 v86, v110
	v_dual_mov_b32 v76, v100 :: v_dual_mov_b32 v79, v103
	v_dual_mov_b32 v80, v104 :: v_dual_mov_b32 v81, v105
	;; [unrolled: 1-line block ×8, first 2 shown]
	v_mov_b32_e32 v49, v73
	v_dual_mov_b32 v89, v28 :: v_dual_mov_b32 v50, v74
	v_dual_mov_b32 v59, v83 :: v_dual_mov_b32 v60, v84
	;; [unrolled: 1-line block ×32, first 2 shown]
	v_mov_b32_e32 v17, v16
.LBB177_101:
	s_or_b32 exec_lo, exec_lo, s2
	v_mov_b32_e32 v2, v42
	s_mov_b32 s2, exec_lo
	v_cmpx_lt_f32_e32 v1, v42
	s_cbranch_execz .LBB177_103
; %bb.102:
	v_mov_b32_e32 v137, v18
	v_mov_b32_e32 v125, v30
	v_dual_mov_b32 v41, v42 :: v_dual_mov_b32 v42, v1
	v_dual_mov_b32 v49, v133 :: v_dual_mov_b32 v50, v134
	;; [unrolled: 1-line block ×13, first 2 shown]
	v_mov_b32_e32 v66, v29
	v_dual_mov_b32 v85, v121 :: v_dual_mov_b32 v86, v122
	v_dual_mov_b32 v73, v133 :: v_dual_mov_b32 v74, v134
	;; [unrolled: 1-line block ×4, first 2 shown]
	v_mov_b32_e32 v64, v124
	v_dual_mov_b32 v58, v22 :: v_dual_mov_b32 v59, v23
	v_dual_mov_b32 v67, v31 :: v_dual_mov_b32 v68, v32
	;; [unrolled: 1-line block ×8, first 2 shown]
	v_mov_b32_e32 v2, v1
	v_mov_b32_e32 v30, v29
	v_dual_mov_b32 v18, v17 :: v_dual_mov_b32 v91, v127
	v_dual_mov_b32 v92, v128 :: v_dual_mov_b32 v93, v129
	v_dual_mov_b32 v94, v130 :: v_dual_mov_b32 v95, v131
	v_dual_mov_b32 v96, v132 :: v_dual_mov_b32 v79, v139
	v_dual_mov_b32 v80, v140 :: v_dual_mov_b32 v81, v141
	v_dual_mov_b32 v82, v142 :: v_dual_mov_b32 v83, v143
	v_mov_b32_e32 v84, v144
.LBB177_103:
	s_or_b32 exec_lo, exec_lo, s2
	v_mov_b32_e32 v1, v43
	s_mov_b32 s2, exec_lo
	v_cmpx_lt_f32_e32 v2, v43
	s_cbranch_execz .LBB177_105
; %bb.104:
	v_dual_mov_b32 v94, v34 :: v_dual_mov_b32 v95, v35
	v_dual_mov_b32 v78, v19 :: v_dual_mov_b32 v79, v18
	;; [unrolled: 1-line block ×6, first 2 shown]
	v_mov_b32_e32 v96, v36
	v_dual_mov_b32 v42, v43 :: v_dual_mov_b32 v43, v2
	v_dual_mov_b32 v84, v24 :: v_dual_mov_b32 v61, v85
	;; [unrolled: 1-line block ×14, first 2 shown]
.LBB177_105:
	s_or_b32 exec_lo, exec_lo, s2
	s_delay_alu instid0(VALU_DEP_1)
	v_cmp_lt_f32_e32 vcc_lo, v1, v44
	v_dual_mov_b32 v3, v39 :: v_dual_mov_b32 v10, v46
	v_dual_mov_b32 v5, v41 :: v_dual_mov_b32 v12, v48
	v_dual_cndmask_b32 v121, v68, v67 :: v_dual_mov_b32 v2, v38
	v_dual_cndmask_b32 v67, v67, v68 :: v_dual_cndmask_b32 v122, v56, v55
	v_dual_cndmask_b32 v55, v55, v56 :: v_dual_cndmask_b32 v8, v44, v1
	v_dual_cndmask_b32 v7, v43, v44 :: v_dual_mov_b32 v4, v40
	v_dual_mov_b32 v1, v37 :: v_dual_mov_b32 v6, v42
	v_mov_b32_e32 v9, v45
	v_mov_b32_e32 v11, v47
	s_mov_b32 s2, exec_lo
	v_cmpx_lt_f32_e32 v37, v38
	s_cbranch_execz .LBB177_107
; %bb.106:
	v_dual_mov_b32 v13, v2 :: v_dual_mov_b32 v14, v1
	v_dual_mov_b32 v15, v3 :: v_dual_mov_b32 v16, v4
	;; [unrolled: 1-line block ×6, first 2 shown]
	v_mov_b32_e32 v25, v61
	v_mov_b32_e32 v26, v49
	v_dual_mov_b32 v1, v13 :: v_dual_mov_b32 v4, v16
	v_swap_b32 v61, v62
	v_swap_b32 v49, v50
	v_dual_mov_b32 v2, v14 :: v_dual_mov_b32 v3, v15
	v_dual_mov_b32 v5, v17 :: v_dual_mov_b32 v6, v18
	;; [unrolled: 1-line block ×5, first 2 shown]
	v_mov_b32_e32 v38, v37
.LBB177_107:
	s_or_b32 exec_lo, exec_lo, s2
	v_mov_b32_e32 v56, v122
	v_mov_b32_e32 v68, v121
	;; [unrolled: 1-line block ×3, first 2 shown]
	v_dual_mov_b32 v27, v51 :: v_dual_mov_b32 v84, v72
	v_mov_b32_e32 v81, v69
	v_dual_mov_b32 v83, v71 :: v_dual_mov_b32 v96, v60
	v_dual_mov_b32 v91, v55 :: v_dual_mov_b32 v120, v72
	;; [unrolled: 1-line block ×31, first 2 shown]
	v_mov_b32_e32 v24, v60
	s_mov_b32 s2, exec_lo
	v_dual_mov_b32 v118, v70 :: v_dual_mov_b32 v115, v67
	v_dual_mov_b32 v116, v68 :: v_dual_mov_b32 v113, v65
	;; [unrolled: 1-line block ×3, first 2 shown]
	v_cmpx_lt_f32_e32 v38, v3
	s_cbranch_execz .LBB177_109
; %bb.108:
	v_dual_mov_b32 v13, v49 :: v_dual_mov_b32 v14, v50
	v_dual_mov_b32 v23, v59 :: v_dual_mov_b32 v24, v60
	;; [unrolled: 1-line block ×30, first 2 shown]
	v_mov_b32_e32 v112, v64
	v_dual_mov_b32 v34, v94 :: v_dual_mov_b32 v35, v95
	v_dual_mov_b32 v35, v59 :: v_dual_mov_b32 v34, v58
	;; [unrolled: 1-line block ×15, first 2 shown]
	v_mov_b32_e32 v81, v69
	v_dual_mov_b32 v80, v121 :: v_dual_mov_b32 v83, v71
	v_mov_b32_e32 v82, v70
	v_dual_mov_b32 v84, v72 :: v_dual_mov_b32 v37, v38
	v_mov_b32_e32 v63, v62
	v_mov_b32_e32 v51, v50
.LBB177_109:
	s_or_b32 exec_lo, exec_lo, s2
	v_mov_b32_e32 v38, v4
	s_mov_b32 s2, exec_lo
	v_cmpx_lt_f32_e32 v37, v4
	s_cbranch_execz .LBB177_111
; %bb.110:
	v_mov_b32_e32 v15, v52
	v_mov_b32_e32 v96, v24
	v_mov_b32_e32 v88, v16
	v_dual_mov_b32 v88, v51 :: v_dual_mov_b32 v99, v64
	v_dual_mov_b32 v94, v22 :: v_dual_mov_b32 v85, v13
	v_dual_mov_b32 v120, v108 :: v_dual_mov_b32 v109, v97
	v_mov_b32_e32 v95, v23
	v_dual_mov_b32 v93, v21 :: v_dual_mov_b32 v92, v20
	v_dual_mov_b32 v91, v19 :: v_dual_mov_b32 v90, v18
	;; [unrolled: 1-line block ×7, first 2 shown]
	v_mov_b32_e32 v87, v15
	v_dual_mov_b32 v111, v99 :: v_dual_mov_b32 v110, v98
	v_dual_mov_b32 v112, v63 :: v_dual_mov_b32 v25, v85
	;; [unrolled: 1-line block ×3, first 2 shown]
	s_delay_alu instid0(VALU_DEP_3)
	v_dual_mov_b32 v74, v110 :: v_dual_mov_b32 v29, v89
	v_dual_mov_b32 v30, v90 :: v_dual_mov_b32 v31, v91
	;; [unrolled: 1-line block ×8, first 2 shown]
	v_mov_b32_e32 v84, v120
	v_dual_mov_b32 v3, v4 :: v_dual_mov_b32 v4, v37
	v_dual_mov_b32 v27, v87 :: v_dual_mov_b32 v28, v88
	;; [unrolled: 1-line block ×11, first 2 shown]
	v_mov_b32_e32 v38, v37
	v_mov_b32_e32 v64, v63
	;; [unrolled: 1-line block ×3, first 2 shown]
.LBB177_111:
	s_or_b32 exec_lo, exec_lo, s2
	v_mov_b32_e32 v16, v5
	s_mov_b32 s2, exec_lo
	v_cmpx_lt_f32_e32 v38, v5
	s_cbranch_execz .LBB177_113
; %bb.112:
	v_mov_b32_e32 v100, v65
	v_mov_b32_e32 v16, v53
	v_dual_mov_b32 v4, v5 :: v_dual_mov_b32 v5, v38
	v_dual_mov_b32 v36, v24 :: v_dual_mov_b32 v33, v21
	v_dual_mov_b32 v35, v23 :: v_dual_mov_b32 v34, v22
	v_mov_b32_e32 v31, v19
	v_dual_mov_b32 v35, v59 :: v_dual_mov_b32 v34, v58
	v_dual_mov_b32 v73, v97 :: v_dual_mov_b32 v32, v20
	;; [unrolled: 1-line block ×8, first 2 shown]
	v_mov_b32_e32 v77, v64
	v_dual_mov_b32 v84, v108 :: v_dual_mov_b32 v79, v67
	v_dual_mov_b32 v120, v108 :: v_dual_mov_b32 v115, v103
	;; [unrolled: 1-line block ×19, first 2 shown]
	v_mov_b32_e32 v88, v16
	v_dual_mov_b32 v86, v14 :: v_dual_mov_b32 v65, v64
	v_dual_mov_b32 v16, v38 :: v_dual_mov_b32 v53, v52
	;; [unrolled: 1-line block ×3, first 2 shown]
.LBB177_113:
	s_or_b32 exec_lo, exec_lo, s2
	v_mov_b32_e32 v13, v6
	s_mov_b32 s2, exec_lo
	v_cmpx_lt_f32_e32 v16, v6
	s_cbranch_execz .LBB177_115
; %bb.114:
	v_dual_mov_b32 v89, v54 :: v_dual_mov_b32 v90, v53
	v_dual_mov_b32 v91, v55 :: v_dual_mov_b32 v92, v122
	v_dual_mov_b32 v93, v57 :: v_dual_mov_b32 v94, v58
	v_dual_mov_b32 v95, v59 :: v_dual_mov_b32 v114, v65
	v_dual_mov_b32 v113, v66 :: v_dual_mov_b32 v116, v121
	v_dual_mov_b32 v115, v67 :: v_dual_mov_b32 v118, v70
	v_dual_mov_b32 v117, v69 :: v_dual_mov_b32 v120, v72
	v_dual_mov_b32 v119, v71 :: v_dual_mov_b32 v96, v60
	v_dual_mov_b32 v73, v109 :: v_dual_mov_b32 v74, v110
	v_dual_mov_b32 v25, v85 :: v_dual_mov_b32 v26, v86
	v_dual_mov_b32 v5, v6 :: v_dual_mov_b32 v6, v16
	v_dual_mov_b32 v75, v111 :: v_dual_mov_b32 v76, v112
	v_dual_mov_b32 v77, v113 :: v_dual_mov_b32 v78, v114
	v_dual_mov_b32 v79, v115 :: v_dual_mov_b32 v80, v116
	v_dual_mov_b32 v81, v117 :: v_dual_mov_b32 v82, v118
	v_dual_mov_b32 v83, v119 :: v_dual_mov_b32 v84, v120
	v_dual_mov_b32 v27, v87 :: v_dual_mov_b32 v28, v88
	v_dual_mov_b32 v29, v89 :: v_dual_mov_b32 v30, v90
	v_dual_mov_b32 v31, v91 :: v_dual_mov_b32 v32, v92
	v_dual_mov_b32 v33, v93 :: v_dual_mov_b32 v34, v94
	v_dual_mov_b32 v35, v95 :: v_dual_mov_b32 v36, v96
	v_mov_b32_e32 v13, v16
.LBB177_115:
	s_or_b32 exec_lo, exec_lo, s2
	s_delay_alu instid0(VALU_DEP_1)
	v_cmp_lt_f32_e32 vcc_lo, v13, v7
	v_dual_mov_b32 v14, v2 :: v_dual_mov_b32 v17, v5
	v_dual_mov_b32 v16, v4 :: v_dual_mov_b32 v21, v9
	v_dual_cndmask_b32 v37, v79, v78 :: v_dual_cndmask_b32 v78, v78, v79
	v_cndmask_b32_e32 v38, v31, v30, vcc_lo
	v_dual_cndmask_b32 v30, v30, v31 :: v_dual_cndmask_b32 v19, v7, v13
	v_dual_cndmask_b32 v18, v6, v7 :: v_dual_mov_b32 v15, v3
	v_dual_mov_b32 v13, v1 :: v_dual_mov_b32 v20, v8
	v_dual_mov_b32 v23, v11 :: v_dual_mov_b32 v22, v10
	v_mov_b32_e32 v24, v12
	s_mov_b32 s2, exec_lo
	v_cmpx_lt_f32_e32 v1, v2
	s_cbranch_execz .LBB177_117
; %bb.116:
	v_dual_mov_b32 v2, v14 :: v_dual_mov_b32 v3, v13
	v_dual_mov_b32 v12, v23 :: v_dual_mov_b32 v13, v24
	v_dual_mov_b32 v4, v15 :: v_dual_mov_b32 v5, v16
	v_dual_mov_b32 v6, v17 :: v_dual_mov_b32 v7, v18
	v_dual_mov_b32 v8, v19 :: v_dual_mov_b32 v9, v20
	v_dual_mov_b32 v10, v21 :: v_dual_mov_b32 v11, v22
	v_mov_b32_e32 v24, v13
	v_mov_b32_e32 v31, v73
	v_dual_mov_b32 v39, v25 :: v_dual_mov_b32 v18, v7
	v_swap_b32 v73, v74
	v_swap_b32 v25, v26
	v_dual_mov_b32 v23, v12 :: v_dual_mov_b32 v20, v9
	v_dual_mov_b32 v22, v11 :: v_dual_mov_b32 v21, v10
	;; [unrolled: 1-line block ×4, first 2 shown]
	v_mov_b32_e32 v15, v4
	v_dual_mov_b32 v13, v2 :: v_dual_mov_b32 v2, v1
.LBB177_117:
	s_or_b32 exec_lo, exec_lo, s2
	v_mov_b32_e32 v31, v38
	v_dual_mov_b32 v79, v37 :: v_dual_mov_b32 v50, v36
	v_dual_mov_b32 v51, v73 :: v_dual_mov_b32 v52, v74
	v_dual_mov_b32 v54, v76 :: v_dual_mov_b32 v61, v83
	v_dual_mov_b32 v108, v84 :: v_dual_mov_b32 v41, v27
	v_dual_mov_b32 v96, v36 :: v_dual_mov_b32 v53, v75
	v_dual_mov_b32 v56, v78 :: v_dual_mov_b32 v55, v77
	v_dual_mov_b32 v58, v80 :: v_dual_mov_b32 v57, v79
	v_dual_mov_b32 v60, v82 :: v_dual_mov_b32 v59, v81
	v_dual_mov_b32 v62, v84 :: v_dual_mov_b32 v107, v83
	v_dual_mov_b32 v106, v82 :: v_dual_mov_b32 v105, v81
	v_dual_mov_b32 v104, v80 :: v_dual_mov_b32 v103, v79
	v_dual_mov_b32 v102, v78 :: v_dual_mov_b32 v101, v77
	v_dual_mov_b32 v100, v76 :: v_dual_mov_b32 v99, v75
	v_dual_mov_b32 v98, v74 :: v_dual_mov_b32 v97, v73
	v_dual_mov_b32 v48, v34 :: v_dual_mov_b32 v49, v35
	v_dual_mov_b32 v46, v32 :: v_dual_mov_b32 v47, v33
	v_dual_mov_b32 v44, v30 :: v_dual_mov_b32 v45, v31
	v_dual_mov_b32 v42, v28 :: v_dual_mov_b32 v43, v29
	v_dual_mov_b32 v40, v26 :: v_dual_mov_b32 v39, v25
	v_dual_mov_b32 v94, v34 :: v_dual_mov_b32 v95, v35
	v_dual_mov_b32 v92, v32 :: v_dual_mov_b32 v93, v33
	v_dual_mov_b32 v90, v30 :: v_dual_mov_b32 v91, v31
	v_dual_mov_b32 v88, v28 :: v_dual_mov_b32 v89, v29
	v_dual_mov_b32 v86, v26 :: v_dual_mov_b32 v87, v27
	v_mov_b32_e32 v85, v25
	v_mov_b32_e32 v1, v15
	s_mov_b32 s2, exec_lo
	v_cmpx_lt_f32_e32 v2, v15
	s_cbranch_execz .LBB177_119
; %bb.118:
	v_dual_mov_b32 v96, v36 :: v_dual_mov_b32 v95, v35
	v_dual_mov_b32 v86, v26 :: v_dual_mov_b32 v85, v25
	v_dual_mov_b32 v90, v30 :: v_dual_mov_b32 v89, v29
	v_dual_mov_b32 v88, v28 :: v_dual_mov_b32 v87, v27
	v_dual_mov_b32 v94, v34 :: v_dual_mov_b32 v93, v33
	v_dual_mov_b32 v92, v32 :: v_dual_mov_b32 v91, v31
	v_dual_mov_b32 v86, v27 :: v_dual_mov_b32 v87, v26
	v_dual_mov_b32 v39, v85 :: v_dual_mov_b32 v108, v84
	v_mov_b32_e32 v105, v81
	v_dual_mov_b32 v43, v89 :: v_dual_mov_b32 v44, v90
	v_dual_mov_b32 v100, v76 :: v_dual_mov_b32 v97, v73
	;; [unrolled: 1-line block ×6, first 2 shown]
	v_mov_b32_e32 v98, v74
	v_dual_mov_b32 v98, v75 :: v_dual_mov_b32 v99, v74
	v_dual_mov_b32 v49, v95 :: v_dual_mov_b32 v50, v96
	;; [unrolled: 1-line block ×12, first 2 shown]
	v_mov_b32_e32 v40, v86
	v_dual_mov_b32 v42, v28 :: v_dual_mov_b32 v43, v29
	v_dual_mov_b32 v45, v38 :: v_dual_mov_b32 v46, v32
	;; [unrolled: 1-line block ×9, first 2 shown]
	v_mov_b32_e32 v75, v74
	v_mov_b32_e32 v27, v26
.LBB177_119:
	s_or_b32 exec_lo, exec_lo, s2
	v_mov_b32_e32 v2, v16
	s_mov_b32 s2, exec_lo
	v_cmpx_lt_f32_e32 v1, v16
	s_cbranch_execz .LBB177_121
; %bb.120:
	v_mov_b32_e32 v87, v28
	v_mov_b32_e32 v99, v76
	v_dual_mov_b32 v15, v16 :: v_dual_mov_b32 v16, v1
	v_dual_mov_b32 v39, v85 :: v_dual_mov_b32 v42, v88
	;; [unrolled: 1-line block ×13, first 2 shown]
	v_mov_b32_e32 v56, v78
	v_mov_b32_e32 v40, v86
	v_dual_mov_b32 v42, v27 :: v_dual_mov_b32 v43, v29
	v_dual_mov_b32 v45, v38 :: v_dual_mov_b32 v46, v32
	;; [unrolled: 1-line block ×8, first 2 shown]
	v_mov_b32_e32 v2, v1
	v_mov_b32_e32 v76, v75
	;; [unrolled: 1-line block ×3, first 2 shown]
.LBB177_121:
	s_or_b32 exec_lo, exec_lo, s2
	v_mov_b32_e32 v1, v17
	s_mov_b32 s2, exec_lo
	v_cmpx_lt_f32_e32 v2, v17
	s_cbranch_execz .LBB177_123
; %bb.122:
	v_dual_mov_b32 v106, v82 :: v_dual_mov_b32 v107, v83
	v_dual_mov_b32 v88, v29 :: v_dual_mov_b32 v89, v28
	;; [unrolled: 1-line block ×8, first 2 shown]
	v_mov_b32_e32 v108, v84
	v_dual_mov_b32 v16, v17 :: v_dual_mov_b32 v17, v2
	v_dual_mov_b32 v96, v36 :: v_dual_mov_b32 v51, v97
	;; [unrolled: 1-line block ×14, first 2 shown]
.LBB177_123:
	s_or_b32 exec_lo, exec_lo, s2
	s_delay_alu instid0(VALU_DEP_1)
	v_cmp_lt_f32_e32 vcc_lo, v1, v18
	v_dual_mov_b32 v27, v13 :: v_dual_mov_b32 v34, v20
	v_dual_mov_b32 v29, v15 :: v_dual_mov_b32 v36, v22
	v_dual_cndmask_b32 v63, v56, v55 :: v_dual_cndmask_b32 v32, v18, v1
	v_dual_cndmask_b32 v55, v55, v56 :: v_dual_cndmask_b32 v64, v44, v43
	v_dual_cndmask_b32 v43, v43, v44 :: v_dual_mov_b32 v28, v14
	v_dual_cndmask_b32 v31, v17, v18 :: v_dual_mov_b32 v30, v16
	v_dual_mov_b32 v33, v19 :: v_dual_mov_b32 v38, v24
	v_mov_b32_e32 v35, v21
	v_mov_b32_e32 v37, v23
	s_mov_b32 s2, exec_lo
	v_cmpx_lt_f32_e32 v13, v14
	s_cbranch_execz .LBB177_125
; %bb.124:
	s_delay_alu instid0(VALU_DEP_2)
	v_dual_mov_b32 v11, v37 :: v_dual_mov_b32 v12, v38
	v_dual_mov_b32 v1, v28 :: v_dual_mov_b32 v2, v27
	v_dual_mov_b32 v3, v29 :: v_dual_mov_b32 v4, v30
	v_dual_mov_b32 v5, v31 :: v_dual_mov_b32 v6, v32
	v_dual_mov_b32 v7, v33 :: v_dual_mov_b32 v8, v34
	v_dual_mov_b32 v9, v35 :: v_dual_mov_b32 v10, v36
	v_dual_mov_b32 v15, v51 :: v_dual_mov_b32 v38, v12
	s_delay_alu instid0(VALU_DEP_2)
	v_dual_mov_b32 v16, v39 :: v_dual_mov_b32 v35, v9
	v_swap_b32 v51, v52
	v_swap_b32 v39, v40
	v_dual_mov_b32 v37, v11 :: v_dual_mov_b32 v36, v10
	v_dual_mov_b32 v34, v8 :: v_dual_mov_b32 v33, v7
	;; [unrolled: 1-line block ×5, first 2 shown]
	v_mov_b32_e32 v14, v13
.LBB177_125:
	s_or_b32 exec_lo, exec_lo, s2
	v_mov_b32_e32 v44, v64
	v_mov_b32_e32 v56, v63
	;; [unrolled: 1-line block ×4, first 2 shown]
	v_dual_mov_b32 v15, v51 :: v_dual_mov_b32 v2, v40
	v_dual_mov_b32 v16, v52 :: v_dual_mov_b32 v17, v53
	;; [unrolled: 1-line block ×11, first 2 shown]
	v_mov_b32_e32 v12, v50
	s_mov_b32 s2, exec_lo
	v_cmpx_lt_f32_e32 v14, v29
	s_cbranch_execz .LBB177_127
; %bb.126:
	v_dual_mov_b32 v1, v39 :: v_dual_mov_b32 v2, v40
	v_dual_mov_b32 v11, v49 :: v_dual_mov_b32 v12, v50
	;; [unrolled: 1-line block ×25, first 2 shown]
	v_mov_b32_e32 v41, v40
.LBB177_127:
	s_or_b32 exec_lo, exec_lo, s2
	v_mov_b32_e32 v39, v30
	s_mov_b32 s2, exec_lo
	v_cmpx_lt_f32_e32 v13, v30
	s_cbranch_execz .LBB177_129
; %bb.128:
	v_dual_mov_b32 v29, v30 :: v_dual_mov_b32 v30, v13
	v_dual_mov_b32 v3, v42 :: v_dual_mov_b32 v4, v41
	;; [unrolled: 1-line block ×11, first 2 shown]
	v_mov_b32_e32 v39, v13
.LBB177_129:
	s_or_b32 exec_lo, exec_lo, s2
	s_delay_alu instid0(VALU_DEP_1)
	v_cmp_lt_f32_e32 vcc_lo, v39, v31
	v_dual_mov_b32 v40, v28 :: v_dual_mov_b32 v45, v33
	v_dual_mov_b32 v44, v32 :: v_dual_mov_b32 v47, v35
	v_dual_cndmask_b32 v13, v19, v18 :: v_dual_cndmask_b32 v18, v18, v19
	v_dual_cndmask_b32 v14, v5, v4 :: v_dual_cndmask_b32 v43, v31, v39
	v_dual_cndmask_b32 v4, v4, v5 :: v_dual_mov_b32 v39, v27
	v_dual_cndmask_b32 v42, v30, v31 :: v_dual_mov_b32 v41, v29
	v_dual_mov_b32 v46, v34 :: v_dual_mov_b32 v49, v37
	v_mov_b32_e32 v48, v36
	v_mov_b32_e32 v50, v38
	s_mov_b32 s2, exec_lo
	v_cmpx_lt_f32_e32 v27, v28
	s_cbranch_execz .LBB177_131
; %bb.130:
	v_dual_mov_b32 v28, v40 :: v_dual_mov_b32 v29, v39
	v_dual_mov_b32 v38, v49 :: v_dual_mov_b32 v39, v50
	v_dual_mov_b32 v30, v41 :: v_dual_mov_b32 v31, v42
	v_dual_mov_b32 v32, v43 :: v_dual_mov_b32 v33, v44
	v_dual_mov_b32 v34, v45 :: v_dual_mov_b32 v35, v46
	v_dual_mov_b32 v36, v47 :: v_dual_mov_b32 v37, v48
	v_dual_mov_b32 v19, v1 :: v_dual_mov_b32 v50, v39
	v_mov_b32_e32 v5, v15
	v_swap_b32 v15, v16
	s_delay_alu instid0(VALU_DEP_4)
	v_mov_b32_e32 v48, v37
	v_swap_b32 v1, v2
	v_dual_mov_b32 v49, v38 :: v_dual_mov_b32 v46, v35
	v_dual_mov_b32 v47, v36 :: v_dual_mov_b32 v44, v33
	;; [unrolled: 1-line block ×4, first 2 shown]
	v_mov_b32_e32 v41, v30
	v_dual_mov_b32 v39, v28 :: v_dual_mov_b32 v28, v27
.LBB177_131:
	s_or_b32 exec_lo, exec_lo, s2
	v_mov_b32_e32 v5, v14
	v_mov_b32_e32 v19, v13
	;; [unrolled: 1-line block ×3, first 2 shown]
	s_mov_b32 s2, exec_lo
	v_cmpx_lt_f32_e32 v28, v41
	s_cbranch_execz .LBB177_133
; %bb.132:
	v_dual_mov_b32 v74, v26 :: v_dual_mov_b32 v73, v25
	v_dual_mov_b32 v62, v12 :: v_dual_mov_b32 v61, v11
	;; [unrolled: 1-line block ×22, first 2 shown]
	v_mov_b32_e32 v74, v26
	v_dual_mov_b32 v40, v41 :: v_dual_mov_b32 v41, v28
	v_dual_mov_b32 v62, v12 :: v_dual_mov_b32 v15, v63
	;; [unrolled: 1-line block ×14, first 2 shown]
.LBB177_133:
	s_or_b32 exec_lo, exec_lo, s2
	s_delay_alu instid0(VALU_DEP_1)
	v_cmp_lt_f32_e32 vcc_lo, v27, v42
	v_dual_mov_b32 v29, v24 :: v_dual_mov_b32 v32, v5
	v_dual_mov_b32 v31, v26 :: v_dual_mov_b32 v34, v7
	v_dual_cndmask_b32 v13, v18, v17 :: v_dual_cndmask_b32 v14, v4, v3
	v_cndmask_b32_e32 v51, v17, v18, vcc_lo
	v_dual_cndmask_b32 v59, v3, v4 :: v_dual_cndmask_b32 v60, v41, v42
	v_dual_cndmask_b32 v3, v42, v27 :: v_dual_mov_b32 v18, v21
	v_cmp_lt_f32_e32 vcc_lo, v39, v40
	v_dual_mov_b32 v4, v19 :: v_dual_mov_b32 v17, v20
	v_dual_mov_b32 v28, v23 :: v_dual_mov_b32 v27, v22
	;; [unrolled: 1-line block ×7, first 2 shown]
	v_mov_b32_e32 v58, v50
	v_dual_mov_b32 v52, v44 :: v_dual_mov_b32 v53, v45
	v_dual_mov_b32 v55, v47 :: v_dual_mov_b32 v56, v48
	v_mov_b32_e32 v57, v49
	s_and_saveexec_b32 s2, vcc_lo
	s_cbranch_execz .LBB177_135
; %bb.134:
	v_dual_mov_b32 v42, v40 :: v_dual_mov_b32 v27, v22
	v_dual_mov_b32 v4, v15 :: v_dual_mov_b32 v17, v20
	v_dual_mov_b32 v32, v1 :: v_dual_mov_b32 v61, v39
	v_swap_b32 v15, v16
	v_swap_b32 v1, v2
	v_dual_mov_b32 v40, v39 :: v_dual_mov_b32 v29, v24
	v_dual_mov_b32 v4, v19 :: v_dual_mov_b32 v31, v26
	;; [unrolled: 1-line block ×10, first 2 shown]
	v_mov_b32_e32 v52, v44
	v_mov_b32_e32 v54, v46
	;; [unrolled: 1-line block ×4, first 2 shown]
.LBB177_135:
	s_or_b32 exec_lo, exec_lo, s2
	s_clause 0x1
	s_load_b32 s8, s[0:1], 0x28
	s_load_b128 s[4:7], s[0:1], 0x10
	v_mov_b32_e32 v6, 0
	s_waitcnt lgkmcnt(0)
	s_cmp_lt_i32 s8, 1
	s_cbranch_scc1 .LBB177_141
; %bb.136:
	v_cmp_lt_f32_e32 vcc_lo, v40, v60
	v_mov_b32_e32 v7, 0
	s_mov_b32 s9, 0x76543210
	s_mov_b32 s10, s8
	v_mov_b32_e32 v6, 0
	v_cndmask_b32_e32 v8, v60, v40, vcc_lo
	v_cndmask_b32_e32 v19, v61, v60, vcc_lo
	v_dual_cndmask_b32 v5, v59, v2 :: v_dual_cndmask_b32 v2, v2, v59
	v_dual_cndmask_b32 v9, v51, v16 :: v_dual_cndmask_b32 v20, v16, v51
	s_delay_alu instid0(VALU_DEP_3) | instskip(NEXT) | instid1(VALU_DEP_1)
	v_cmp_lt_f32_e64 s2, v39, v19
	v_cndmask_b32_e64 v10, v2, v1, s2
	v_cndmask_b32_e64 v11, v1, v2, s2
	;; [unrolled: 1-line block ×6, first 2 shown]
	v_dual_mov_b32 v20, v0 :: v_dual_mov_b32 v1, 0
	v_mov_b32_e32 v2, 0
.LBB177_137:                            ; =>This Inner Loop Header: Depth=1
	v_cmp_eq_u32_e32 vcc_lo, 1, v7
	v_cmp_eq_u32_e64 s2, 2, v7
	v_dual_cndmask_b32 v21, v16, v12 :: v_dual_cndmask_b32 v22, v11, v10
	s_delay_alu instid0(VALU_DEP_1) | instskip(NEXT) | instid1(VALU_DEP_2)
	v_cndmask_b32_e64 v21, v21, v8, s2
	v_cndmask_b32_e64 v22, v22, v5, s2
	v_cndmask_b32_e32 v23, v15, v19, vcc_lo
	v_cmp_eq_u32_e32 vcc_lo, 3, v7
	s_delay_alu instid0(VALU_DEP_3) | instskip(NEXT) | instid1(VALU_DEP_3)
	v_cndmask_b32_e32 v22, v22, v14, vcc_lo
	v_cndmask_b32_e64 v23, v23, v9, s2
	v_cmp_eq_u32_e64 s2, 4, v7
	s_delay_alu instid0(VALU_DEP_2) | instskip(NEXT) | instid1(VALU_DEP_2)
	v_cndmask_b32_e32 v23, v23, v13, vcc_lo
	v_cndmask_b32_e64 v22, v22, v32, s2
	v_cndmask_b32_e32 v21, v21, v3, vcc_lo
	v_cmp_eq_u32_e32 vcc_lo, 5, v7
	s_delay_alu instid0(VALU_DEP_4) | instskip(NEXT) | instid1(VALU_DEP_4)
	v_cndmask_b32_e64 v23, v23, v4, s2
	v_cndmask_b32_e32 v22, v22, v33, vcc_lo
	s_delay_alu instid0(VALU_DEP_4) | instskip(SKIP_1) | instid1(VALU_DEP_4)
	v_cndmask_b32_e64 v21, v21, v42, s2
	v_cmp_eq_u32_e64 s2, 6, v7
	v_cndmask_b32_e32 v23, v23, v17, vcc_lo
	s_delay_alu instid0(VALU_DEP_3) | instskip(SKIP_1) | instid1(VALU_DEP_4)
	v_cndmask_b32_e32 v21, v21, v52, vcc_lo
	v_cmp_eq_u32_e32 vcc_lo, 7, v7
	v_cndmask_b32_e64 v22, v22, v34, s2
	s_delay_alu instid0(VALU_DEP_4) | instskip(NEXT) | instid1(VALU_DEP_4)
	v_cndmask_b32_e64 v23, v23, v18, s2
	v_cndmask_b32_e64 v21, v21, v53, s2
	v_cmp_eq_u32_e64 s2, 8, v7
	s_delay_alu instid0(VALU_DEP_4) | instskip(NEXT) | instid1(VALU_DEP_4)
	v_cndmask_b32_e32 v22, v22, v35, vcc_lo
	v_cndmask_b32_e32 v23, v23, v27, vcc_lo
	s_delay_alu instid0(VALU_DEP_4) | instskip(SKIP_1) | instid1(VALU_DEP_4)
	v_cndmask_b32_e32 v21, v21, v54, vcc_lo
	v_cmp_eq_u32_e32 vcc_lo, 9, v7
	v_cndmask_b32_e64 v22, v22, v36, s2
	s_delay_alu instid0(VALU_DEP_4) | instskip(NEXT) | instid1(VALU_DEP_4)
	v_cndmask_b32_e64 v23, v23, v28, s2
	v_cndmask_b32_e64 v21, v21, v55, s2
	v_cmp_eq_u32_e64 s2, 10, v7
	s_delay_alu instid0(VALU_DEP_4) | instskip(NEXT) | instid1(VALU_DEP_4)
	v_cndmask_b32_e32 v22, v22, v37, vcc_lo
	v_cndmask_b32_e32 v23, v23, v29, vcc_lo
	s_delay_alu instid0(VALU_DEP_4) | instskip(SKIP_1) | instid1(VALU_DEP_4)
	v_cndmask_b32_e32 v21, v21, v56, vcc_lo
	v_cmp_eq_u32_e32 vcc_lo, 11, v7
	v_cndmask_b32_e64 v22, v22, v38, s2
	s_delay_alu instid0(VALU_DEP_4) | instskip(NEXT) | instid1(VALU_DEP_4)
	v_cndmask_b32_e64 v23, v23, v30, s2
	v_cndmask_b32_e64 v21, v21, v57, s2
	v_cmp_gt_u32_e64 s2, 12, v7
	s_delay_alu instid0(VALU_DEP_2) | instskip(NEXT) | instid1(VALU_DEP_1)
	v_dual_cndmask_b32 v22, v22, v41 :: v_dual_cndmask_b32 v21, v21, v58
	v_cndmask_b32_e64 v24, 0, v22, s2
	s_delay_alu instid0(VALU_DEP_2)
	v_cndmask_b32_e64 v21, 0xff800000, v21, s2
	;;#ASMSTART
	v_max_f32 v25, v21, v21 quad_perm:[1,0,3,2] row_mask:0xf bank_mask:0xf bound_ctrl:1
	;;#ASMEND
	;;#ASMSTART
	v_max_f32 v26, v25, v25 quad_perm:[2,3,0,1] row_mask:0xf bank_mask:0xf bound_ctrl:1
	;;#ASMEND
	;;#ASMSTART
	v_max_f32 v25, v26, v26 row_half_mirror row_mask:0xf bank_mask:0xf bound_ctrl:1
	;;#ASMEND
	;;#ASMSTART
	v_max_f32 v26, v25, v25 row_mirror row_mask:0xf bank_mask:0xf bound_ctrl:1
	;;#ASMEND
	v_permlanex16_b32 v25, v26, s9, 0xfedcba98 op_sel:[1,1]
	s_delay_alu instid0(VALU_DEP_1) | instskip(NEXT) | instid1(VALU_DEP_1)
	v_dual_max_f32 v26, v26, v26 :: v_dual_max_f32 v25, v25, v25
	v_max_f32_e32 v25, v26, v25
	s_delay_alu instid0(VALU_DEP_1) | instskip(SKIP_1) | instid1(VALU_DEP_2)
	v_cmp_eq_f32_e64 s3, v21, v25
	v_cndmask_b32_e32 v21, v23, v31, vcc_lo
	s_ctz_i32_b32 s11, s3
	s_cmp_lg_u32 s3, 0
	s_cselect_b32 s3, s11, 0
	s_add_i32 s10, s10, -1
	v_readlane_b32 s3, v24, s3
	s_delay_alu instid0(VALU_DEP_1)
	v_cmp_eq_u32_e32 vcc_lo, s3, v22
	s_and_b32 vcc_lo, s2, vcc_lo
	s_and_b32 s2, s3, 31
	v_cndmask_b32_e32 v21, 0, v21, vcc_lo
	v_add_co_ci_u32_e32 v7, vcc_lo, 0, v7, vcc_lo
	s_cmp_eq_u32 s10, 0
	s_delay_alu instid0(VALU_DEP_2) | instskip(SKIP_2) | instid1(VALU_DEP_3)
	v_readlane_b32 s11, v21, s2
	v_cmp_eq_u32_e64 s2, 0, v20
	v_add_nc_u32_e32 v20, -1, v20
	v_add_f32_e32 v6, s11, v6
	s_delay_alu instid0(VALU_DEP_3)
	v_cndmask_b32_e64 v2, v2, s11, s2
	v_cndmask_b32_e64 v1, v1, s3, s2
	s_cbranch_scc0 .LBB177_137
; %bb.138:
	s_mov_b32 s2, exec_lo
	v_cmpx_gt_i32_e64 s8, v0
	s_cbranch_execz .LBB177_140
.LBB177_139:
	s_load_b32 s2, s[0:1], 0x30
	v_max_f32_e32 v3, v6, v6
	s_load_b64 s[0:1], s[0:1], 0x20
	s_ashr_i32 s3, s15, 31
	s_delay_alu instid0(VALU_DEP_1) | instskip(SKIP_1) | instid1(VALU_DEP_1)
	v_dual_max_f32 v3, 0x1e3ce508, v3 :: v_dual_lshlrev_b32 v0, 2, v0
	s_waitcnt lgkmcnt(0)
	v_div_scale_f32 v4, null, v3, v3, s2
	v_div_scale_f32 v7, vcc_lo, s2, v3, s2
	s_mul_i32 s1, s15, s1
	s_delay_alu instid0(VALU_DEP_2)
	v_rcp_f32_e32 v5, v4
	s_mul_hi_u32 s8, s15, s0
	s_mul_i32 s3, s3, s0
	s_add_i32 s1, s8, s1
	s_mul_i32 s0, s15, s0
	s_add_i32 s1, s1, s3
	s_delay_alu instid0(SALU_CYCLE_1) | instskip(SKIP_2) | instid1(VALU_DEP_1)
	s_lshl_b64 s[0:1], s[0:1], 2
	s_waitcnt_depctr 0xfff
	v_fma_f32 v6, -v4, v5, 1.0
	v_fmac_f32_e32 v5, v6, v5
	s_delay_alu instid0(VALU_DEP_1) | instskip(NEXT) | instid1(VALU_DEP_1)
	v_mul_f32_e32 v6, v7, v5
	v_fma_f32 v8, -v4, v6, v7
	s_delay_alu instid0(VALU_DEP_1) | instskip(NEXT) | instid1(VALU_DEP_1)
	v_fmac_f32_e32 v6, v8, v5
	v_fma_f32 v4, -v4, v6, v7
	s_delay_alu instid0(VALU_DEP_1) | instskip(NEXT) | instid1(VALU_DEP_1)
	v_div_fmas_f32 v4, v4, v5, v6
	v_div_fixup_f32 v3, v4, v3, s2
	s_add_u32 s2, s4, s0
	s_addc_u32 s3, s5, s1
	s_add_u32 s0, s6, s0
	s_addc_u32 s1, s7, s1
	v_mul_f32_e32 v2, v2, v3
	s_clause 0x1
	global_store_b32 v0, v2, s[2:3]
	global_store_b32 v0, v1, s[0:1]
.LBB177_140:
	s_endpgm
.LBB177_141:
	v_dual_mov_b32 v1, 0 :: v_dual_mov_b32 v2, 0
	s_mov_b32 s2, exec_lo
	v_cmpx_gt_i32_e64 s8, v0
	s_cbranch_execnz .LBB177_139
	s_branch .LBB177_140
	.section	.rodata,"a",@progbits
	.p2align	6, 0x0
	.amdhsa_kernel _ZN5aiter24topk_softplus_kernel_optI6__half12hip_bfloat16Li384ELb1ELi1EEEvPKT_PKT0_PfPimiif
		.amdhsa_group_segment_fixed_size 0
		.amdhsa_private_segment_fixed_size 196
		.amdhsa_kernarg_size 52
		.amdhsa_user_sgpr_count 15
		.amdhsa_user_sgpr_dispatch_ptr 0
		.amdhsa_user_sgpr_queue_ptr 0
		.amdhsa_user_sgpr_kernarg_segment_ptr 1
		.amdhsa_user_sgpr_dispatch_id 0
		.amdhsa_user_sgpr_private_segment_size 0
		.amdhsa_wavefront_size32 1
		.amdhsa_uses_dynamic_stack 0
		.amdhsa_enable_private_segment 1
		.amdhsa_system_sgpr_workgroup_id_x 1
		.amdhsa_system_sgpr_workgroup_id_y 0
		.amdhsa_system_sgpr_workgroup_id_z 0
		.amdhsa_system_sgpr_workgroup_info 0
		.amdhsa_system_vgpr_workitem_id 0
		.amdhsa_next_free_vgpr 183
		.amdhsa_next_free_sgpr 16
		.amdhsa_reserve_vcc 1
		.amdhsa_float_round_mode_32 0
		.amdhsa_float_round_mode_16_64 0
		.amdhsa_float_denorm_mode_32 3
		.amdhsa_float_denorm_mode_16_64 3
		.amdhsa_dx10_clamp 1
		.amdhsa_ieee_mode 1
		.amdhsa_fp16_overflow 0
		.amdhsa_workgroup_processor_mode 1
		.amdhsa_memory_ordered 1
		.amdhsa_forward_progress 0
		.amdhsa_shared_vgpr_count 0
		.amdhsa_exception_fp_ieee_invalid_op 0
		.amdhsa_exception_fp_denorm_src 0
		.amdhsa_exception_fp_ieee_div_zero 0
		.amdhsa_exception_fp_ieee_overflow 0
		.amdhsa_exception_fp_ieee_underflow 0
		.amdhsa_exception_fp_ieee_inexact 0
		.amdhsa_exception_int_div_zero 0
	.end_amdhsa_kernel
	.section	.text._ZN5aiter24topk_softplus_kernel_optI6__half12hip_bfloat16Li384ELb1ELi1EEEvPKT_PKT0_PfPimiif,"axG",@progbits,_ZN5aiter24topk_softplus_kernel_optI6__half12hip_bfloat16Li384ELb1ELi1EEEvPKT_PKT0_PfPimiif,comdat
.Lfunc_end177:
	.size	_ZN5aiter24topk_softplus_kernel_optI6__half12hip_bfloat16Li384ELb1ELi1EEEvPKT_PKT0_PfPimiif, .Lfunc_end177-_ZN5aiter24topk_softplus_kernel_optI6__half12hip_bfloat16Li384ELb1ELi1EEEvPKT_PKT0_PfPimiif
                                        ; -- End function
	.section	.AMDGPU.csdata,"",@progbits
; Kernel info:
; codeLenInByte = 28148
; NumSgprs: 18
; NumVgprs: 183
; ScratchSize: 196
; MemoryBound: 0
; FloatMode: 240
; IeeeMode: 1
; LDSByteSize: 0 bytes/workgroup (compile time only)
; SGPRBlocks: 2
; VGPRBlocks: 22
; NumSGPRsForWavesPerEU: 18
; NumVGPRsForWavesPerEU: 183
; Occupancy: 8
; WaveLimiterHint : 0
; COMPUTE_PGM_RSRC2:SCRATCH_EN: 1
; COMPUTE_PGM_RSRC2:USER_SGPR: 15
; COMPUTE_PGM_RSRC2:TRAP_HANDLER: 0
; COMPUTE_PGM_RSRC2:TGID_X_EN: 1
; COMPUTE_PGM_RSRC2:TGID_Y_EN: 0
; COMPUTE_PGM_RSRC2:TGID_Z_EN: 0
; COMPUTE_PGM_RSRC2:TIDIG_COMP_CNT: 0
	.section	.text._ZN5aiter24topk_softplus_kernel_optI6__half12hip_bfloat16Li384ELb0ELi1EEEvPKT_PKT0_PfPimiif,"axG",@progbits,_ZN5aiter24topk_softplus_kernel_optI6__half12hip_bfloat16Li384ELb0ELi1EEEvPKT_PKT0_PfPimiif,comdat
	.protected	_ZN5aiter24topk_softplus_kernel_optI6__half12hip_bfloat16Li384ELb0ELi1EEEvPKT_PKT0_PfPimiif ; -- Begin function _ZN5aiter24topk_softplus_kernel_optI6__half12hip_bfloat16Li384ELb0ELi1EEEvPKT_PKT0_PfPimiif
	.globl	_ZN5aiter24topk_softplus_kernel_optI6__half12hip_bfloat16Li384ELb0ELi1EEEvPKT_PKT0_PfPimiif
	.p2align	8
	.type	_ZN5aiter24topk_softplus_kernel_optI6__half12hip_bfloat16Li384ELb0ELi1EEEvPKT_PKT0_PfPimiif,@function
_ZN5aiter24topk_softplus_kernel_optI6__half12hip_bfloat16Li384ELb0ELi1EEEvPKT_PKT0_PfPimiif: ; @_ZN5aiter24topk_softplus_kernel_optI6__half12hip_bfloat16Li384ELb0ELi1EEEvPKT_PKT0_PfPimiif
; %bb.0:
	s_load_b128 s[4:7], s[0:1], 0x0
	s_mul_i32 s2, s15, 0x180
	v_lshlrev_b32_e32 v3, 1, v0
	s_ashr_i32 s3, s2, 31
	s_delay_alu instid0(SALU_CYCLE_1)
	s_lshl_b64 s[2:3], s[2:3], 1
	s_waitcnt lgkmcnt(0)
	s_add_u32 s4, s4, s2
	s_addc_u32 s5, s5, s3
	s_mov_b32 s3, 0xbfb8aa3b
	global_load_u16 v1, v3, s[4:5]
	s_cmp_lg_u64 s[6:7], 0
	s_cselect_b32 s2, -1, 0
	s_waitcnt vmcnt(0)
	v_cvt_f32_f16_e32 v2, v1
	s_delay_alu instid0(VALU_DEP_1) | instskip(NEXT) | instid1(VALU_DEP_1)
	v_mul_f32_e32 v2, 0xbfb8aa3b, v2
	v_cmp_gt_f32_e32 vcc_lo, 0xc2fc0000, v2
	v_cndmask_b32_e64 v2, 0, 0x42800000, vcc_lo
	s_delay_alu instid0(VALU_DEP_1) | instskip(SKIP_2) | instid1(VALU_DEP_2)
	v_fma_mix_f32 v1, v1, s3, v2 op_sel_hi:[1,0,0]
	v_cndmask_b32_e64 v2, 1.0, 0x1f800000, vcc_lo
	s_and_b32 vcc_lo, exec_lo, s2
	v_exp_f32_e32 v1, v1
	s_waitcnt_depctr 0xfff
	v_fma_f32 v1, v1, v2, 1.0
	s_delay_alu instid0(VALU_DEP_1) | instskip(SKIP_1) | instid1(VALU_DEP_1)
	v_rcp_f32_e32 v37, v1
	v_add_co_u32 v1, s4, s4, v3
	v_add_co_ci_u32_e64 v2, null, s5, 0, s4
	s_waitcnt_depctr 0xfff
	v_mov_b32_e32 v48, v37
	s_cbranch_vccz .LBB178_2
; %bb.1:
	global_load_u16 v4, v3, s[6:7]
	s_waitcnt vmcnt(0)
	v_lshlrev_b32_e32 v4, 16, v4
	s_delay_alu instid0(VALU_DEP_1)
	v_add_f32_e32 v48, v37, v4
.LBB178_2:
	global_load_u16 v4, v[1:2], off offset:64
	s_waitcnt vmcnt(0)
	v_cvt_f32_f16_e32 v5, v4
	s_delay_alu instid0(VALU_DEP_1) | instskip(NEXT) | instid1(VALU_DEP_1)
	v_mul_f32_e32 v5, 0xbfb8aa3b, v5
	v_cmp_gt_f32_e32 vcc_lo, 0xc2fc0000, v5
	v_cndmask_b32_e64 v6, 0, 0x42800000, vcc_lo
	v_cndmask_b32_e64 v5, 1.0, 0x1f800000, vcc_lo
	s_and_not1_b32 vcc_lo, exec_lo, s2
	s_delay_alu instid0(VALU_DEP_2) | instskip(NEXT) | instid1(VALU_DEP_1)
	v_fma_mix_f32 v4, v4, s3, v6 op_sel_hi:[1,0,0]
	v_exp_f32_e32 v4, v4
	s_waitcnt_depctr 0xfff
	v_fma_f32 v4, v4, v5, 1.0
	s_delay_alu instid0(VALU_DEP_1)
	v_rcp_f32_e32 v14, v4
	v_cndmask_b32_e64 v4, 0, 1, s2
	s_waitcnt_depctr 0xfff
	v_mov_b32_e32 v49, v14
	s_cbranch_vccnz .LBB178_4
; %bb.3:
	global_load_u16 v5, v3, s[6:7] offset:64
	s_waitcnt vmcnt(0)
	v_lshlrev_b32_e32 v5, 16, v5
	s_delay_alu instid0(VALU_DEP_1)
	v_add_f32_e32 v49, v14, v5
.LBB178_4:
	global_load_u16 v5, v[1:2], off offset:128
	s_mov_b32 s2, 0xbfb8aa3b
	s_waitcnt vmcnt(0)
	v_cvt_f32_f16_e32 v6, v5
	s_delay_alu instid0(VALU_DEP_1) | instskip(NEXT) | instid1(VALU_DEP_1)
	v_mul_f32_e32 v6, 0xbfb8aa3b, v6
	v_cmp_gt_f32_e32 vcc_lo, 0xc2fc0000, v6
	v_cndmask_b32_e64 v7, 0, 0x42800000, vcc_lo
	v_cndmask_b32_e64 v6, 1.0, 0x1f800000, vcc_lo
	v_cmp_ne_u32_e32 vcc_lo, 1, v4
	s_delay_alu instid0(VALU_DEP_3) | instskip(SKIP_1) | instid1(VALU_DEP_1)
	v_fma_mix_f32 v5, v5, s2, v7 op_sel_hi:[1,0,0]
	s_and_b32 vcc_lo, exec_lo, vcc_lo
	v_exp_f32_e32 v5, v5
	s_waitcnt_depctr 0xfff
	v_fma_f32 v5, v5, v6, 1.0
	s_delay_alu instid0(VALU_DEP_1)
	v_rcp_f32_e32 v15, v5
	s_waitcnt_depctr 0xfff
	v_mov_b32_e32 v50, v15
	s_cbranch_vccnz .LBB178_6
; %bb.5:
	global_load_u16 v5, v3, s[6:7] offset:128
	s_waitcnt vmcnt(0)
	v_lshlrev_b32_e32 v5, 16, v5
	s_delay_alu instid0(VALU_DEP_1)
	v_add_f32_e32 v50, v15, v5
.LBB178_6:
	global_load_u16 v5, v[1:2], off offset:192
	s_waitcnt vmcnt(0)
	v_cvt_f32_f16_e32 v6, v5
	s_delay_alu instid0(VALU_DEP_1) | instskip(NEXT) | instid1(VALU_DEP_1)
	v_mul_f32_e32 v6, 0xbfb8aa3b, v6
	v_cmp_gt_f32_e32 vcc_lo, 0xc2fc0000, v6
	v_cndmask_b32_e64 v7, 0, 0x42800000, vcc_lo
	v_cndmask_b32_e64 v6, 1.0, 0x1f800000, vcc_lo
	v_cmp_ne_u32_e32 vcc_lo, 1, v4
	s_delay_alu instid0(VALU_DEP_3) | instskip(SKIP_1) | instid1(VALU_DEP_1)
	v_fma_mix_f32 v5, v5, s2, v7 op_sel_hi:[1,0,0]
	s_and_b32 vcc_lo, exec_lo, vcc_lo
	v_exp_f32_e32 v5, v5
	s_waitcnt_depctr 0xfff
	v_fma_f32 v5, v5, v6, 1.0
	s_delay_alu instid0(VALU_DEP_1)
	v_rcp_f32_e32 v16, v5
	s_waitcnt_depctr 0xfff
	v_mov_b32_e32 v51, v16
	s_cbranch_vccnz .LBB178_8
; %bb.7:
	global_load_u16 v5, v3, s[6:7] offset:192
	s_waitcnt vmcnt(0)
	v_lshlrev_b32_e32 v5, 16, v5
	s_delay_alu instid0(VALU_DEP_1)
	v_add_f32_e32 v51, v16, v5
.LBB178_8:
	global_load_u16 v5, v[1:2], off offset:256
	;; [unrolled: 27-line block ×9, first 2 shown]
	s_waitcnt vmcnt(0)
	v_cvt_f32_f16_e32 v2, v1
	s_delay_alu instid0(VALU_DEP_1) | instskip(NEXT) | instid1(VALU_DEP_1)
	v_mul_f32_e32 v2, 0xbfb8aa3b, v2
	v_cmp_gt_f32_e32 vcc_lo, 0xc2fc0000, v2
	v_cndmask_b32_e64 v5, 0, 0x42800000, vcc_lo
	v_cndmask_b32_e64 v2, 1.0, 0x1f800000, vcc_lo
	v_cmp_ne_u32_e32 vcc_lo, 1, v4
	s_delay_alu instid0(VALU_DEP_3) | instskip(NEXT) | instid1(VALU_DEP_1)
	v_fma_mix_f32 v1, v1, s2, v5 op_sel_hi:[1,0,0]
	v_exp_f32_e32 v1, v1
	s_waitcnt_depctr 0xfff
	v_fma_f32 v1, v1, v2, 1.0
	s_delay_alu instid0(VALU_DEP_1)
	v_rcp_f32_e32 v24, v1
	s_cbranch_vccnz .LBB178_24
; %bb.23:
	global_load_u16 v1, v3, s[6:7] offset:704
	s_waitcnt vmcnt(0)
	v_lshlrev_b32_e32 v1, 16, v1
	s_delay_alu instid0(VALU_DEP_1)
	v_add_f32_e32 v59, v24, v1
	s_branch .LBB178_25
.LBB178_24:
	s_waitcnt_depctr 0xfff
	v_mov_b32_e32 v59, v24
.LBB178_25:
	v_dual_mov_b32 v1, v48 :: v_dual_add_nc_u32 v26, 32, v0
	v_dual_mov_b32 v2, v49 :: v_dual_add_nc_u32 v27, 64, v0
	;; [unrolled: 1-line block ×11, first 2 shown]
	v_dual_mov_b32 v12, v59 :: v_dual_mov_b32 v13, v37
	v_mov_b32_e32 v25, v0
	s_mov_b32 s2, exec_lo
	v_cmpx_lt_f32_e32 v48, v49
	s_xor_b32 s2, exec_lo, s2
; %bb.26:
	v_dual_mov_b32 v1, v49 :: v_dual_mov_b32 v2, v48
	v_dual_mov_b32 v3, v50 :: v_dual_mov_b32 v4, v51
	;; [unrolled: 1-line block ×6, first 2 shown]
	v_mov_b32_e32 v49, v48
	v_dual_mov_b32 v13, v14 :: v_dual_mov_b32 v14, v37
	v_dual_mov_b32 v25, v26 :: v_dual_mov_b32 v26, v0
; %bb.27:
	s_or_b32 exec_lo, exec_lo, s2
	v_dual_mov_b32 v122, v24 :: v_dual_mov_b32 v119, v21
	v_dual_mov_b32 v86, v24 :: v_dual_mov_b32 v85, v23
	;; [unrolled: 1-line block ×37, first 2 shown]
	s_clause 0x8
	scratch_store_b128 off, v[13:16], off
	scratch_store_b128 off, v[17:20], off offset:16
	scratch_store_b128 off, v[21:24], off offset:32
	;; [unrolled: 1-line block ×8, first 2 shown]
	v_dual_mov_b32 v72, v34 :: v_dual_mov_b32 v69, v31
	v_dual_mov_b32 v70, v32 :: v_dual_mov_b32 v67, v29
	;; [unrolled: 1-line block ×29, first 2 shown]
	v_mov_b32_e32 v160, v26
	s_clause 0x2
	scratch_store_b128 off, v[25:28], off offset:144
	scratch_store_b128 off, v[29:32], off offset:160
	scratch_store_b128 off, v[33:36], off offset:176
	s_mov_b32 s2, exec_lo
	v_dual_mov_b32 v182, v36 :: v_dual_mov_b32 v179, v33
	v_dual_mov_b32 v181, v35 :: v_dual_mov_b32 v180, v34
	;; [unrolled: 1-line block ×6, first 2 shown]
	v_cmpx_lt_f32_e32 v49, v3
	s_cbranch_execz .LBB178_29
; %bb.28:
	v_dual_mov_b32 v182, v36 :: v_dual_mov_b32 v179, v33
	v_dual_mov_b32 v174, v28 :: v_dual_mov_b32 v171, v25
	;; [unrolled: 1-line block ×3, first 2 shown]
	v_mov_b32_e32 v172, v26
	v_dual_mov_b32 v62, v49 :: v_dual_mov_b32 v181, v35
	v_dual_mov_b32 v180, v34 :: v_dual_mov_b32 v177, v31
	;; [unrolled: 1-line block ×11, first 2 shown]
	v_mov_b32_e32 v125, v14
	v_dual_mov_b32 v162, v174 :: v_dual_mov_b32 v163, v175
	v_dual_mov_b32 v164, v176 :: v_dual_mov_b32 v165, v177
	;; [unrolled: 1-line block ×5, first 2 shown]
	v_mov_b32_e32 v162, v28
	v_dual_mov_b32 v170, v182 :: v_dual_mov_b32 v37, v159
	s_clause 0x2
	scratch_store_b128 off, v[123:126], off offset:96
	scratch_store_b128 off, v[127:130], off offset:112
	;; [unrolled: 1-line block ×3, first 2 shown]
	v_dual_mov_b32 v42, v164 :: v_dual_mov_b32 v47, v169
	v_dual_mov_b32 v126, v16 :: v_dual_mov_b32 v45, v167
	;; [unrolled: 1-line block ×5, first 2 shown]
	v_mov_b32_e32 v38, v160
	v_mov_b32_e32 v40, v162
	s_clause 0x2
	scratch_store_b128 off, v[37:40], off offset:144
	scratch_store_b128 off, v[41:44], off offset:160
	;; [unrolled: 1-line block ×3, first 2 shown]
	v_dual_mov_b32 v2, v3 :: v_dual_mov_b32 v3, v49
	v_mov_b32_e32 v147, v159
	v_mov_b32_e32 v127, v17
	;; [unrolled: 1-line block ×3, first 2 shown]
	v_dual_mov_b32 v151, v163 :: v_dual_mov_b32 v148, v160
	v_dual_mov_b32 v153, v165 :: v_dual_mov_b32 v152, v164
	;; [unrolled: 1-line block ×3, first 2 shown]
	v_mov_b32_e32 v158, v170
	v_dual_mov_b32 v150, v162 :: v_dual_mov_b32 v155, v167
	v_mov_b32_e32 v156, v168
	v_mov_b32_e32 v152, v30
	v_mov_b32_e32 v15, v14
	v_dual_mov_b32 v27, v26 :: v_dual_mov_b32 v42, v128
	v_mov_b32_e32 v37, v123
	v_dual_mov_b32 v43, v129 :: v_dual_mov_b32 v44, v130
	v_mov_b32_e32 v39, v125
	v_dual_mov_b32 v45, v131 :: v_dual_mov_b32 v46, v132
	v_dual_mov_b32 v47, v133 :: v_dual_mov_b32 v48, v134
	v_mov_b32_e32 v38, v124
	v_mov_b32_e32 v40, v126
	s_clause 0x2
	scratch_store_b128 off, v[37:40], off offset:48
	scratch_store_b128 off, v[41:44], off offset:64
	;; [unrolled: 1-line block ×3, first 2 shown]
	v_mov_b32_e32 v37, v123
	v_mov_b32_e32 v39, v125
	v_dual_mov_b32 v41, v127 :: v_dual_mov_b32 v38, v124
	v_mov_b32_e32 v99, v147
	v_mov_b32_e32 v105, v153
	v_dual_mov_b32 v105, v31 :: v_dual_mov_b32 v106, v154
	v_dual_mov_b32 v40, v126 :: v_dual_mov_b32 v101, v149
	;; [unrolled: 1-line block ×3, first 2 shown]
	v_mov_b32_e32 v110, v158
	v_mov_b32_e32 v50, v123
	v_dual_mov_b32 v100, v148 :: v_dual_mov_b32 v107, v155
	v_dual_mov_b32 v102, v150 :: v_dual_mov_b32 v109, v157
	;; [unrolled: 1-line block ×7, first 2 shown]
	v_mov_b32_e32 v58, v131
	v_mov_b32_e32 v56, v19
	s_clause 0x2
	scratch_store_b128 off, v[37:40], off
	scratch_store_b128 off, v[41:44], off offset:16
	scratch_store_b128 off, v[45:48], off offset:32
	v_dual_mov_b32 v60, v133 :: v_dual_mov_b32 v55, v128
	v_mov_b32_e32 v37, v99
	v_mov_b32_e32 v41, v103
	;; [unrolled: 1-line block ×3, first 2 shown]
	v_dual_mov_b32 v43, v105 :: v_dual_mov_b32 v48, v110
	v_dual_mov_b32 v38, v100 :: v_dual_mov_b32 v45, v107
	v_mov_b32_e32 v44, v106
	v_dual_mov_b32 v122, v61 :: v_dual_mov_b32 v113, v52
	v_dual_mov_b32 v40, v102 :: v_dual_mov_b32 v47, v109
	;; [unrolled: 1-line block ×7, first 2 shown]
	v_mov_b32_e32 v114, v53
	v_mov_b32_e32 v116, v55
	;; [unrolled: 1-line block ×4, first 2 shown]
	v_dual_mov_b32 v98, v48 :: v_dual_mov_b32 v95, v45
	v_mov_b32_e32 v95, v33
	v_mov_b32_e32 v93, v43
	v_mov_b32_e32 v91, v41
	v_mov_b32_e32 v89, v39
	v_dual_mov_b32 v87, v37 :: v_dual_mov_b32 v146, v122
	v_dual_mov_b32 v137, v113 :: v_dual_mov_b32 v96, v46
	;; [unrolled: 1-line block ×3, first 2 shown]
	v_mov_b32_e32 v135, v111
	v_dual_mov_b32 v97, v47 :: v_dual_mov_b32 v94, v44
	v_dual_mov_b32 v92, v42 :: v_dual_mov_b32 v143, v119
	;; [unrolled: 1-line block ×4, first 2 shown]
	v_mov_b32_e32 v138, v114
	v_dual_mov_b32 v142, v118 :: v_dual_mov_b32 v143, v21
	v_dual_mov_b32 v140, v116 :: v_dual_mov_b32 v63, v87
	v_dual_mov_b32 v136, v112 :: v_dual_mov_b32 v67, v91
	v_dual_mov_b32 v65, v89 :: v_dual_mov_b32 v72, v96
	v_dual_mov_b32 v75, v135 :: v_dual_mov_b32 v68, v92
	v_dual_mov_b32 v73, v97 :: v_dual_mov_b32 v74, v98
	v_dual_mov_b32 v77, v137 :: v_dual_mov_b32 v78, v138
	v_dual_mov_b32 v85, v145 :: v_dual_mov_b32 v84, v144
	v_mov_b32_e32 v86, v146
	v_dual_mov_b32 v64, v88 :: v_dual_mov_b32 v69, v93
	v_dual_mov_b32 v66, v90 :: v_dual_mov_b32 v71, v95
	;; [unrolled: 1-line block ×7, first 2 shown]
	v_mov_b32_e32 v82, v142
	v_mov_b32_e32 v84, v22
	;; [unrolled: 1-line block ×3, first 2 shown]
.LBB178_29:
	s_or_b32 exec_lo, exec_lo, s2
	v_mov_b32_e32 v13, v4
	s_mov_b32 s2, exec_lo
	v_cmpx_lt_f32_e32 v62, v4
	s_cbranch_execz .LBB178_31
; %bb.30:
	s_clause 0x2
	scratch_load_b128 v[37:40], off, off offset:96
	scratch_load_b128 v[41:44], off, off offset:112
	;; [unrolled: 1-line block ×3, first 2 shown]
	v_dual_mov_b32 v173, v28 :: v_dual_mov_b32 v28, v27
	v_mov_b32_e32 v3, v4
	s_waitcnt vmcnt(0)
	v_dual_mov_b32 v13, v62 :: v_dual_mov_b32 v134, v48
	v_dual_mov_b32 v133, v47 :: v_dual_mov_b32 v124, v38
	;; [unrolled: 1-line block ×3, first 2 shown]
	v_mov_b32_e32 v125, v16
	v_dual_mov_b32 v159, v171 :: v_dual_mov_b32 v160, v172
	s_delay_alu instid0(VALU_DEP_3) | instskip(NEXT) | instid1(VALU_DEP_3)
	v_dual_mov_b32 v162, v174 :: v_dual_mov_b32 v37, v123
	v_dual_mov_b32 v38, v124 :: v_dual_mov_b32 v39, v125
	;; [unrolled: 1-line block ×5, first 2 shown]
	v_mov_b32_e32 v126, v15
	s_clause 0x2
	scratch_store_b128 off, v[37:40], off offset:96
	scratch_store_b128 off, v[41:44], off offset:112
	;; [unrolled: 1-line block ×3, first 2 shown]
	v_dual_mov_b32 v161, v173 :: v_dual_mov_b32 v164, v176
	v_dual_mov_b32 v167, v179 :: v_dual_mov_b32 v170, v182
	;; [unrolled: 1-line block ×5, first 2 shown]
	s_delay_alu instid0(VALU_DEP_2) | instskip(SKIP_2) | instid1(VALU_DEP_4)
	v_dual_mov_b32 v42, v164 :: v_dual_mov_b32 v43, v165
	v_dual_mov_b32 v48, v170 :: v_dual_mov_b32 v37, v159
	;; [unrolled: 1-line block ×6, first 2 shown]
	s_clause 0x2
	scratch_store_b128 off, v[37:40], off offset:144
	scratch_store_b128 off, v[41:44], off offset:160
	;; [unrolled: 1-line block ×3, first 2 shown]
	v_dual_mov_b32 v42, v128 :: v_dual_mov_b32 v43, v129
	v_dual_mov_b32 v48, v134 :: v_dual_mov_b32 v37, v123
	;; [unrolled: 1-line block ×6, first 2 shown]
	s_clause 0x2
	scratch_store_b128 off, v[37:40], off offset:48
	scratch_store_b128 off, v[41:44], off offset:64
	;; [unrolled: 1-line block ×3, first 2 shown]
	v_dual_mov_b32 v147, v159 :: v_dual_mov_b32 v148, v160
	v_dual_mov_b32 v151, v163 :: v_dual_mov_b32 v152, v164
	;; [unrolled: 1-line block ×10, first 2 shown]
	s_delay_alu instid0(VALU_DEP_4)
	v_dual_mov_b32 v106, v154 :: v_dual_mov_b32 v107, v155
	v_mov_b32_e32 v110, v158
	v_dual_mov_b32 v100, v148 :: v_dual_mov_b32 v101, v149
	v_dual_mov_b32 v104, v152 :: v_dual_mov_b32 v105, v153
	;; [unrolled: 1-line block ×5, first 2 shown]
	v_mov_b32_e32 v61, v134
	s_clause 0x2
	scratch_store_b128 off, v[37:40], off
	scratch_store_b128 off, v[41:44], off offset:16
	scratch_store_b128 off, v[45:48], off offset:32
	v_dual_mov_b32 v54, v127 :: v_dual_mov_b32 v55, v128
	v_dual_mov_b32 v56, v129 :: v_dual_mov_b32 v57, v130
	;; [unrolled: 1-line block ×8, first 2 shown]
	v_mov_b32_e32 v48, v110
	v_mov_b32_e32 v44, v32
	v_dual_mov_b32 v42, v104 :: v_dual_mov_b32 v43, v105
	v_dual_mov_b32 v46, v108 :: v_dual_mov_b32 v47, v109
	;; [unrolled: 1-line block ×9, first 2 shown]
	v_mov_b32_e32 v114, v53
	v_mov_b32_e32 v112, v51
	v_dual_mov_b32 v98, v48 :: v_dual_mov_b32 v91, v41
	v_dual_mov_b32 v94, v44 :: v_dual_mov_b32 v87, v37
	;; [unrolled: 1-line block ×3, first 2 shown]
	v_mov_b32_e32 v89, v39
	v_mov_b32_e32 v95, v45
	v_dual_mov_b32 v93, v43 :: v_dual_mov_b32 v146, v122
	v_dual_mov_b32 v143, v119 :: v_dual_mov_b32 v140, v116
	;; [unrolled: 1-line block ×15, first 2 shown]
	v_mov_b32_e32 v86, v146
	v_dual_mov_b32 v64, v88 :: v_dual_mov_b32 v65, v89
	v_dual_mov_b32 v66, v90 :: v_dual_mov_b32 v67, v91
	;; [unrolled: 1-line block ×8, first 2 shown]
	v_mov_b32_e32 v84, v22
	v_mov_b32_e32 v86, v24
.LBB178_31:
	s_or_b32 exec_lo, exec_lo, s2
	v_mov_b32_e32 v14, v5
	s_mov_b32 s2, exec_lo
	v_cmpx_lt_f32_e32 v13, v5
	s_cbranch_execz .LBB178_33
; %bb.32:
	s_clause 0x2
	scratch_load_b128 v[37:40], off, off offset:96
	scratch_load_b128 v[41:44], off, off offset:112
	;; [unrolled: 1-line block ×3, first 2 shown]
	v_mov_b32_e32 v174, v29
	v_mov_b32_e32 v14, v13
	;; [unrolled: 1-line block ×3, first 2 shown]
	v_dual_mov_b32 v17, v16 :: v_dual_mov_b32 v4, v5
	v_mov_b32_e32 v29, v28
	s_waitcnt vmcnt(0)
	v_dual_mov_b32 v73, v48 :: v_dual_mov_b32 v64, v39
	v_dual_mov_b32 v70, v45 :: v_dual_mov_b32 v69, v44
	;; [unrolled: 1-line block ×18, first 2 shown]
	v_mov_b32_e32 v127, v16
	v_dual_mov_b32 v147, v159 :: v_dual_mov_b32 v148, v160
	v_dual_mov_b32 v149, v161 :: v_dual_mov_b32 v152, v164
	;; [unrolled: 1-line block ×19, first 2 shown]
	v_mov_b32_e32 v61, v134
	s_clause 0x2
	scratch_store_b128 off, v[37:40], off
	scratch_store_b128 off, v[41:44], off offset:16
	scratch_store_b128 off, v[45:48], off offset:32
	v_dual_mov_b32 v53, v126 :: v_dual_mov_b32 v54, v127
	v_dual_mov_b32 v101, v149 :: v_dual_mov_b32 v102, v150
	;; [unrolled: 1-line block ×10, first 2 shown]
	v_mov_b32_e32 v46, v108
	v_dual_mov_b32 v122, v61 :: v_dual_mov_b32 v121, v60
	v_dual_mov_b32 v43, v105 :: v_dual_mov_b32 v44, v106
	;; [unrolled: 1-line block ×8, first 2 shown]
	v_mov_b32_e32 v112, v51
	v_mov_b32_e32 v118, v20
	v_dual_mov_b32 v98, v48 :: v_dual_mov_b32 v93, v43
	v_dual_mov_b32 v92, v42 :: v_dual_mov_b32 v87, v37
	v_mov_b32_e32 v97, v47
	v_dual_mov_b32 v95, v45 :: v_dual_mov_b32 v146, v122
	v_dual_mov_b32 v143, v119 :: v_dual_mov_b32 v138, v114
	;; [unrolled: 1-line block ×7, first 2 shown]
	v_mov_b32_e32 v89, v39
	s_clause 0x5
	scratch_store_b128 off, v[62:65], off offset:48
	scratch_store_b128 off, v[66:69], off offset:64
	;; [unrolled: 1-line block ×6, first 2 shown]
	v_dual_mov_b32 v142, v118 :: v_dual_mov_b32 v139, v115
	v_dual_mov_b32 v140, v116 :: v_dual_mov_b32 v137, v113
	;; [unrolled: 1-line block ×17, first 2 shown]
	v_mov_b32_e32 v84, v22
	v_mov_b32_e32 v86, v24
.LBB178_33:
	s_or_b32 exec_lo, exec_lo, s2
	v_mov_b32_e32 v13, v6
	s_mov_b32 s2, exec_lo
	v_cmpx_lt_f32_e32 v14, v6
	s_cbranch_execz .LBB178_35
; %bb.34:
	s_clause 0x2
	scratch_load_b128 v[37:40], off, off offset:144
	scratch_load_b128 v[41:44], off, off offset:160
	;; [unrolled: 1-line block ×3, first 2 shown]
	v_mov_b32_e32 v5, v6
	s_waitcnt vmcnt(0)
	v_dual_mov_b32 v13, v14 :: v_dual_mov_b32 v170, v48
	v_dual_mov_b32 v169, v47 :: v_dual_mov_b32 v162, v40
	v_dual_mov_b32 v159, v37 :: v_dual_mov_b32 v168, v46
	v_dual_mov_b32 v167, v45 :: v_dual_mov_b32 v166, v44
	v_dual_mov_b32 v165, v43 :: v_dual_mov_b32 v164, v42
	v_dual_mov_b32 v161, v39 :: v_dual_mov_b32 v160, v38
	s_clause 0x2
	scratch_load_b128 v[37:40], off, off offset:48
	scratch_load_b128 v[41:44], off, off offset:64
	;; [unrolled: 1-line block ×3, first 2 shown]
	v_dual_mov_b32 v163, v30 :: v_dual_mov_b32 v30, v29
	s_waitcnt vmcnt(0)
	v_dual_mov_b32 v73, v48 :: v_dual_mov_b32 v72, v47
	v_dual_mov_b32 v65, v40 :: v_dual_mov_b32 v62, v37
	v_mov_b32_e32 v63, v38
	v_dual_mov_b32 v67, v42 :: v_dual_mov_b32 v64, v39
	v_dual_mov_b32 v71, v46 :: v_dual_mov_b32 v70, v45
	;; [unrolled: 1-line block ×4, first 2 shown]
	v_mov_b32_e32 v148, v160
	v_dual_mov_b32 v134, v73 :: v_dual_mov_b32 v133, v72
	v_dual_mov_b32 v124, v63 :: v_dual_mov_b32 v123, v62
	;; [unrolled: 1-line block ×11, first 2 shown]
	v_mov_b32_e32 v128, v17
	v_mov_b32_e32 v152, v29
	v_dual_mov_b32 v50, v123 :: v_dual_mov_b32 v51, v124
	v_mov_b32_e32 v99, v147
	s_delay_alu instid0(VALU_DEP_3)
	v_dual_mov_b32 v53, v126 :: v_dual_mov_b32 v104, v152
	v_dual_mov_b32 v105, v153 :: v_dual_mov_b32 v100, v148
	;; [unrolled: 1-line block ×7, first 2 shown]
	v_mov_b32_e32 v57, v130
	v_dual_mov_b32 v102, v150 :: v_dual_mov_b32 v103, v151
	v_dual_mov_b32 v108, v156 :: v_dual_mov_b32 v109, v157
	;; [unrolled: 1-line block ×3, first 2 shown]
	v_mov_b32_e32 v58, v131
	v_mov_b32_e32 v56, v19
	v_dual_mov_b32 v37, v99 :: v_dual_mov_b32 v38, v100
	v_mov_b32_e32 v39, v101
	v_dual_mov_b32 v43, v105 :: v_dual_mov_b32 v48, v110
	s_delay_alu instid0(VALU_DEP_4)
	v_dual_mov_b32 v122, v61 :: v_dual_mov_b32 v117, v56
	v_dual_mov_b32 v42, v104 :: v_dual_mov_b32 v45, v107
	;; [unrolled: 1-line block ×9, first 2 shown]
	v_mov_b32_e32 v118, v20
	v_mov_b32_e32 v44, v32
	;; [unrolled: 1-line block ×3, first 2 shown]
	v_dual_mov_b32 v98, v48 :: v_dual_mov_b32 v95, v45
	v_dual_mov_b32 v146, v122 :: v_dual_mov_b32 v145, v121
	s_delay_alu instid0(VALU_DEP_4)
	v_dual_mov_b32 v94, v44 :: v_dual_mov_b32 v87, v37
	v_dual_mov_b32 v97, v47 :: v_dual_mov_b32 v144, v120
	v_dual_mov_b32 v135, v111 :: v_dual_mov_b32 v96, v46
	v_dual_mov_b32 v89, v39 :: v_dual_mov_b32 v92, v42
	v_dual_mov_b32 v143, v119 :: v_dual_mov_b32 v6, v14
	v_mov_b32_e32 v93, v43
	v_dual_mov_b32 v91, v41 :: v_dual_mov_b32 v90, v40
	v_dual_mov_b32 v141, v117 :: v_dual_mov_b32 v88, v38
	;; [unrolled: 1-line block ×6, first 2 shown]
	s_clause 0x2
	scratch_store_b128 off, v[62:65], off
	scratch_store_b128 off, v[66:69], off offset:16
	scratch_store_b128 off, v[70:73], off offset:32
	v_dual_mov_b32 v63, v87 :: v_dual_mov_b32 v74, v98
	v_dual_mov_b32 v75, v135 :: v_dual_mov_b32 v72, v96
	;; [unrolled: 1-line block ×14, first 2 shown]
	v_mov_b32_e32 v84, v22
	v_mov_b32_e32 v86, v24
	;; [unrolled: 1-line block ×3, first 2 shown]
.LBB178_35:
	s_or_b32 exec_lo, exec_lo, s2
	v_mov_b32_e32 v14, v7
	s_mov_b32 s2, exec_lo
	v_cmpx_lt_f32_e32 v13, v7
	s_cbranch_execz .LBB178_37
; %bb.36:
	s_clause 0x2
	scratch_load_b128 v[37:40], off, off
	scratch_load_b128 v[41:44], off, off offset:16
	scratch_load_b128 v[45:48], off, off offset:32
	v_mov_b32_e32 v164, v31
	v_dual_mov_b32 v14, v13 :: v_dual_mov_b32 v31, v30
	s_waitcnt vmcnt(0)
	v_dual_mov_b32 v134, v48 :: v_dual_mov_b32 v133, v47
	v_dual_mov_b32 v130, v44 :: v_dual_mov_b32 v127, v41
	;; [unrolled: 1-line block ×5, first 2 shown]
	v_mov_b32_e32 v125, v39
	v_dual_mov_b32 v99, v159 :: v_dual_mov_b32 v100, v160
	v_dual_mov_b32 v128, v19 :: v_dual_mov_b32 v101, v161
	v_mov_b32_e32 v110, v170
	v_dual_mov_b32 v50, v123 :: v_dual_mov_b32 v53, v126
	v_dual_mov_b32 v106, v166 :: v_dual_mov_b32 v107, v167
	v_dual_mov_b32 v58, v131 :: v_dual_mov_b32 v61, v134
	v_dual_mov_b32 v104, v164 :: v_dual_mov_b32 v105, v165
	v_dual_mov_b32 v54, v127 :: v_dual_mov_b32 v57, v130
	v_dual_mov_b32 v60, v133 :: v_dual_mov_b32 v105, v30
	v_dual_mov_b32 v102, v162 :: v_dual_mov_b32 v103, v163
	v_dual_mov_b32 v108, v168 :: v_dual_mov_b32 v109, v169
	v_dual_mov_b32 v56, v129 :: v_dual_mov_b32 v59, v132
	v_dual_mov_b32 v51, v124 :: v_dual_mov_b32 v56, v18
	v_dual_mov_b32 v37, v99 :: v_dual_mov_b32 v52, v125
	v_dual_mov_b32 v55, v128 :: v_dual_mov_b32 v48, v110
	v_dual_mov_b32 v44, v106 :: v_dual_mov_b32 v45, v107
	v_dual_mov_b32 v122, v61 :: v_dual_mov_b32 v119, v58
	v_dual_mov_b32 v42, v104 :: v_dual_mov_b32 v43, v105
	v_dual_mov_b32 v121, v60 :: v_dual_mov_b32 v118, v57
	v_dual_mov_b32 v115, v54 :: v_dual_mov_b32 v38, v100
	v_dual_mov_b32 v39, v101 :: v_dual_mov_b32 v40, v102
	v_dual_mov_b32 v41, v103 :: v_dual_mov_b32 v46, v108
	v_mov_b32_e32 v47, v109
	v_dual_mov_b32 v114, v53 :: v_dual_mov_b32 v111, v50
	v_mov_b32_e32 v118, v20
	v_dual_mov_b32 v120, v59 :: v_dual_mov_b32 v117, v56
	v_dual_mov_b32 v116, v55 :: v_dual_mov_b32 v113, v52
	v_mov_b32_e32 v44, v32
	v_mov_b32_e32 v112, v51
	v_dual_mov_b32 v98, v48 :: v_dual_mov_b32 v95, v45
	v_dual_mov_b32 v146, v122 :: v_dual_mov_b32 v145, v121
	;; [unrolled: 1-line block ×8, first 2 shown]
	v_mov_b32_e32 v89, v39
	v_dual_mov_b32 v93, v43 :: v_dual_mov_b32 v88, v38
	v_dual_mov_b32 v141, v117 :: v_dual_mov_b32 v140, v116
	v_mov_b32_e32 v95, v33
	v_dual_mov_b32 v139, v115 :: v_dual_mov_b32 v138, v114
	v_dual_mov_b32 v143, v21 :: v_dual_mov_b32 v136, v112
	;; [unrolled: 1-line block ×24, first 2 shown]
	v_mov_b32_e32 v158, v170
.LBB178_37:
	s_or_b32 exec_lo, exec_lo, s2
	v_mov_b32_e32 v13, v8
	s_mov_b32 s2, exec_lo
	v_cmpx_lt_f32_e32 v14, v8
	s_cbranch_execz .LBB178_39
; %bb.38:
	v_mov_b32_e32 v129, v20
	v_mov_b32_e32 v153, v32
	v_dual_mov_b32 v111, v123 :: v_dual_mov_b32 v114, v126
	v_dual_mov_b32 v37, v147 :: v_dual_mov_b32 v38, v148
	v_dual_mov_b32 v45, v155 :: v_dual_mov_b32 v48, v158
	v_dual_mov_b32 v40, v150 :: v_dual_mov_b32 v117, v129
	v_dual_mov_b32 v122, v134 :: v_dual_mov_b32 v41, v151
	v_dual_mov_b32 v44, v154 :: v_dual_mov_b32 v47, v157
	v_dual_mov_b32 v112, v124 :: v_dual_mov_b32 v113, v125
	v_dual_mov_b32 v118, v130 :: v_dual_mov_b32 v39, v149
	v_dual_mov_b32 v42, v152 :: v_dual_mov_b32 v43, v153
	v_dual_mov_b32 v46, v156 :: v_dual_mov_b32 v115, v127
	v_mov_b32_e32 v120, v132
	v_dual_mov_b32 v116, v128 :: v_dual_mov_b32 v121, v133
	v_mov_b32_e32 v44, v31
	v_dual_mov_b32 v119, v131 :: v_dual_mov_b32 v98, v48
	v_dual_mov_b32 v118, v19 :: v_dual_mov_b32 v95, v45
	;; [unrolled: 1-line block ×13, first 2 shown]
	v_mov_b32_e32 v95, v33
	v_dual_mov_b32 v7, v8 :: v_dual_mov_b32 v8, v14
	v_mov_b32_e32 v143, v21
	v_dual_mov_b32 v63, v87 :: v_dual_mov_b32 v68, v92
	v_dual_mov_b32 v64, v88 :: v_dual_mov_b32 v75, v135
	v_dual_mov_b32 v80, v140 :: v_dual_mov_b32 v67, v91
	v_dual_mov_b32 v72, v96 :: v_dual_mov_b32 v69, v93
	v_dual_mov_b32 v74, v98 :: v_dual_mov_b32 v73, v97
	v_dual_mov_b32 v78, v138 :: v_dual_mov_b32 v79, v139
	v_dual_mov_b32 v84, v144 :: v_dual_mov_b32 v81, v141
	v_dual_mov_b32 v86, v146 :: v_dual_mov_b32 v85, v145
	v_mov_b32_e32 v74, v36
	v_dual_mov_b32 v50, v123 :: v_dual_mov_b32 v51, v124
	v_dual_mov_b32 v99, v147 :: v_dual_mov_b32 v100, v148
	v_dual_mov_b32 v65, v89 :: v_dual_mov_b32 v70, v94
	v_dual_mov_b32 v66, v90 :: v_dual_mov_b32 v71, v95
	v_dual_mov_b32 v76, v136 :: v_dual_mov_b32 v77, v137
	v_dual_mov_b32 v82, v142 :: v_dual_mov_b32 v83, v143
	v_dual_mov_b32 v72, v34 :: v_dual_mov_b32 v73, v35
	;; [unrolled: 9-line block ×3, first 2 shown]
	v_dual_mov_b32 v105, v153 :: v_dual_mov_b32 v106, v154
	v_dual_mov_b32 v107, v155 :: v_dual_mov_b32 v108, v156
	;; [unrolled: 1-line block ×4, first 2 shown]
	v_mov_b32_e32 v32, v31
.LBB178_39:
	s_or_b32 exec_lo, exec_lo, s2
	v_mov_b32_e32 v14, v9
	s_mov_b32 s2, exec_lo
	v_cmpx_lt_f32_e32 v13, v9
	s_cbranch_execz .LBB178_41
; %bb.40:
	v_mov_b32_e32 v57, v21
	v_mov_b32_e32 v106, v33
	v_dual_mov_b32 v146, v61 :: v_dual_mov_b32 v145, v60
	v_dual_mov_b32 v87, v99 :: v_dual_mov_b32 v90, v102
	v_mov_b32_e32 v88, v100
	v_dual_mov_b32 v136, v51 :: v_dual_mov_b32 v135, v50
	v_dual_mov_b32 v91, v103 :: v_dual_mov_b32 v94, v106
	;; [unrolled: 1-line block ×7, first 2 shown]
	v_mov_b32_e32 v139, v54
	v_dual_mov_b32 v89, v101 :: v_dual_mov_b32 v92, v104
	v_dual_mov_b32 v138, v53 :: v_dual_mov_b32 v137, v52
	;; [unrolled: 1-line block ×3, first 2 shown]
	v_mov_b32_e32 v143, v20
	s_delay_alu instid0(VALU_DEP_4)
	v_dual_mov_b32 v63, v87 :: v_dual_mov_b32 v68, v92
	v_dual_mov_b32 v66, v90 :: v_dual_mov_b32 v75, v135
	;; [unrolled: 1-line block ×8, first 2 shown]
	v_mov_b32_e32 v74, v36
	v_dual_mov_b32 v122, v61 :: v_dual_mov_b32 v121, v60
	v_dual_mov_b32 v37, v99 :: v_dual_mov_b32 v38, v100
	;; [unrolled: 1-line block ×20, first 2 shown]
	v_mov_b32_e32 v33, v32
.LBB178_41:
	s_or_b32 exec_lo, exec_lo, s2
	v_mov_b32_e32 v15, v10
	s_mov_b32 s2, exec_lo
	v_cmpx_lt_f32_e32 v14, v10
	s_cbranch_execz .LBB178_43
; %bb.42:
	v_mov_b32_e32 v45, v34
	v_dual_mov_b32 v9, v10 :: v_dual_mov_b32 v74, v48
	v_mov_b32_e32 v72, v46
	v_mov_b32_e32 v72, v33
	s_delay_alu instid0(VALU_DEP_4) | instskip(SKIP_4) | instid1(VALU_DEP_4)
	v_mov_b32_e32 v71, v45
	v_dual_mov_b32 v119, v22 :: v_dual_mov_b32 v70, v44
	v_dual_mov_b32 v75, v111 :: v_dual_mov_b32 v78, v114
	;; [unrolled: 1-line block ×27, first 2 shown]
	v_mov_b32_e32 v34, v33
.LBB178_43:
	s_or_b32 exec_lo, exec_lo, s2
	v_mov_b32_e32 v13, v11
	s_mov_b32 s2, exec_lo
	v_cmpx_lt_f32_e32 v15, v11
	s_cbranch_execz .LBB178_45
; %bb.44:
	v_dual_mov_b32 v144, v23 :: v_dual_mov_b32 v145, v22
	v_dual_mov_b32 v96, v35 :: v_dual_mov_b32 v97, v34
	v_mov_b32_e32 v146, v24
	v_mov_b32_e32 v10, v11
	v_dual_mov_b32 v11, v15 :: v_dual_mov_b32 v98, v36
	v_dual_mov_b32 v75, v135 :: v_dual_mov_b32 v84, v144
	;; [unrolled: 1-line block ×3, first 2 shown]
	v_mov_b32_e32 v79, v139
	v_dual_mov_b32 v77, v137 :: v_dual_mov_b32 v78, v138
	v_dual_mov_b32 v81, v141 :: v_dual_mov_b32 v80, v140
	;; [unrolled: 1-line block ×10, first 2 shown]
.LBB178_45:
	s_or_b32 exec_lo, exec_lo, s2
	s_delay_alu instid0(VALU_DEP_1)
	v_cmp_lt_f32_e32 vcc_lo, v13, v12
	v_cmp_lt_f32_e64 s2, v1, v2
	v_dual_mov_b32 v40, v76 :: v_dual_mov_b32 v41, v77
	v_dual_mov_b32 v43, v79 :: v_dual_mov_b32 v44, v80
	v_dual_cndmask_b32 v23, v12, v13 :: v_dual_mov_b32 v42, v78
	v_dual_cndmask_b32 v11, v11, v12 :: v_dual_cndmask_b32 v62, v74, v73
	s_delay_alu instid0(VALU_DEP_2) | instskip(SKIP_3) | instid1(VALU_DEP_4)
	v_dual_cndmask_b32 v49, v85, v86 :: v_dual_mov_b32 v12, v23
	v_dual_cndmask_b32 v61, v73, v74 :: v_dual_cndmask_b32 v50, v86, v85
	v_mov_b32_e32 v39, v75
	v_dual_mov_b32 v45, v81 :: v_dual_mov_b32 v48, v84
	v_dual_mov_b32 v38, v12 :: v_dual_mov_b32 v37, v11
	;; [unrolled: 1-line block ×13, first 2 shown]
	s_and_saveexec_b32 s3, s2
	s_delay_alu instid0(SALU_CYCLE_1)
	s_xor_b32 s2, exec_lo, s3
	s_cbranch_execz .LBB178_47
; %bb.46:
	v_dual_mov_b32 v12, v2 :: v_dual_mov_b32 v13, v1
	v_dual_mov_b32 v14, v3 :: v_dual_mov_b32 v15, v4
	;; [unrolled: 1-line block ×6, first 2 shown]
	s_delay_alu instid0(VALU_DEP_2) | instskip(NEXT) | instid1(VALU_DEP_2)
	v_dual_mov_b32 v38, v23 :: v_dual_mov_b32 v35, v20
	v_dual_mov_b32 v36, v21 :: v_dual_mov_b32 v37, v22
	;; [unrolled: 1-line block ×15, first 2 shown]
	v_mov_b32_e32 v58, v70
	v_mov_b32_e32 v60, v72
.LBB178_47:
	s_or_b32 exec_lo, exec_lo, s2
	v_dual_mov_b32 v1, v29 :: v_dual_mov_b32 v122, v50
	v_dual_mov_b32 v15, v39 :: v_dual_mov_b32 v16, v40
	;; [unrolled: 1-line block ×30, first 2 shown]
	v_mov_b32_e32 v135, v39
	s_clause 0x2
	scratch_store_b128 off, v[39:42], off offset:48
	scratch_store_b128 off, v[43:46], off offset:64
	;; [unrolled: 1-line block ×3, first 2 shown]
	v_dual_mov_b32 v3, v51 :: v_dual_mov_b32 v6, v54
	v_dual_mov_b32 v13, v61 :: v_dual_mov_b32 v74, v62
	;; [unrolled: 1-line block ×34, first 2 shown]
	v_mov_b32_e32 v159, v51
	s_mov_b32 s2, exec_lo
	v_dual_mov_b32 v73, v61 :: v_dual_mov_b32 v72, v60
	v_mov_b32_e32 v4, v52
	s_clause 0x2
	scratch_store_b128 off, v[51:54], off
	scratch_store_b128 off, v[55:58], off offset:16
	scratch_store_b128 off, v[59:62], off offset:32
	v_dual_mov_b32 v182, v50 :: v_dual_mov_b32 v181, v49
	v_dual_mov_b32 v180, v48 :: v_dual_mov_b32 v179, v47
	;; [unrolled: 1-line block ×6, first 2 shown]
	v_cmpx_lt_f32_e32 v2, v29
	s_cbranch_execz .LBB178_49
; %bb.48:
	v_dual_mov_b32 v170, v62 :: v_dual_mov_b32 v169, v61
	v_dual_mov_b32 v162, v54 :: v_dual_mov_b32 v161, v53
	;; [unrolled: 1-line block ×7, first 2 shown]
	s_clause 0x2
	scratch_store_b128 off, v[159:162], off
	scratch_store_b128 off, v[163:166], off offset:16
	scratch_store_b128 off, v[167:170], off offset:32
	v_dual_mov_b32 v182, v50 :: v_dual_mov_b32 v181, v49
	v_dual_mov_b32 v172, v40 :: v_dual_mov_b32 v171, v39
	;; [unrolled: 1-line block ×8, first 2 shown]
	s_delay_alu instid0(VALU_DEP_3)
	v_dual_mov_b32 v140, v176 :: v_dual_mov_b32 v141, v177
	v_dual_mov_b32 v138, v174 :: v_dual_mov_b32 v139, v175
	;; [unrolled: 1-line block ×3, first 2 shown]
	v_mov_b32_e32 v146, v182
	v_dual_mov_b32 v136, v172 :: v_dual_mov_b32 v137, v173
	v_mov_b32_e32 v138, v42
	v_dual_mov_b32 v142, v178 :: v_dual_mov_b32 v143, v179
	v_mov_b32_e32 v53, v52
	v_mov_b32_e32 v139, v43
	;; [unrolled: 1-line block ×3, first 2 shown]
	v_dual_mov_b32 v147, v159 :: v_dual_mov_b32 v148, v160
	v_mov_b32_e32 v151, v163
	v_dual_mov_b32 v149, v161 :: v_dual_mov_b32 v150, v162
	v_dual_mov_b32 v153, v165 :: v_dual_mov_b32 v152, v164
	;; [unrolled: 1-line block ×16, first 2 shown]
	v_mov_b32_e32 v122, v146
	v_dual_mov_b32 v114, v138 :: v_dual_mov_b32 v117, v141
	v_dual_mov_b32 v116, v140 :: v_dual_mov_b32 v119, v143
	;; [unrolled: 1-line block ×14, first 2 shown]
	v_mov_b32_e32 v82, v118
	v_dual_mov_b32 v76, v112 :: v_dual_mov_b32 v81, v117
	v_dual_mov_b32 v80, v116 :: v_dual_mov_b32 v85, v121
	;; [unrolled: 1-line block ×6, first 2 shown]
	v_mov_b32_e32 v81, v45
	v_dual_mov_b32 v65, v89 :: v_dual_mov_b32 v72, v96
	v_mov_b32_e32 v29, v2
	s_delay_alu instid0(VALU_DEP_3)
	v_dual_mov_b32 v110, v86 :: v_dual_mov_b32 v105, v81
	v_dual_mov_b32 v70, v94 :: v_dual_mov_b32 v73, v97
	;; [unrolled: 1-line block ×11, first 2 shown]
	v_mov_b32_e32 v106, v46
	s_clause 0x2
	scratch_store_b128 off, v[3:6], off offset:48
	scratch_store_b128 off, v[7:10], off offset:64
	;; [unrolled: 1-line block ×3, first 2 shown]
	v_dual_mov_b32 v100, v76 :: v_dual_mov_b32 v3, v63
	v_dual_mov_b32 v12, v72 :: v_dual_mov_b32 v5, v65
	;; [unrolled: 1-line block ×16, first 2 shown]
	v_mov_b32_e32 v26, v50
.LBB178_49:
	s_or_b32 exec_lo, exec_lo, s2
	v_mov_b32_e32 v2, v30
	s_mov_b32 s2, exec_lo
	v_cmpx_lt_f32_e32 v1, v30
	s_cbranch_execz .LBB178_51
; %bb.50:
	s_clause 0x2
	scratch_load_b128 v[2:5], off, off
	scratch_load_b128 v[6:9], off, off offset:16
	scratch_load_b128 v[10:13], off, off offset:32
	v_dual_mov_b32 v29, v30 :: v_dual_mov_b32 v30, v1
	v_dual_mov_b32 v161, v54 :: v_dual_mov_b32 v54, v53
	s_waitcnt vmcnt(0)
	v_dual_mov_b32 v170, v13 :: v_dual_mov_b32 v169, v12
	v_mov_b32_e32 v160, v3
	v_dual_mov_b32 v162, v5 :: v_dual_mov_b32 v159, v2
	v_dual_mov_b32 v173, v42 :: v_dual_mov_b32 v168, v11
	;; [unrolled: 1-line block ×3, first 2 shown]
	s_delay_alu instid0(VALU_DEP_3)
	v_dual_mov_b32 v165, v8 :: v_dual_mov_b32 v2, v159
	v_dual_mov_b32 v3, v160 :: v_dual_mov_b32 v4, v161
	;; [unrolled: 1-line block ×3, first 2 shown]
	s_clause 0x2
	scratch_store_b128 off, v[2:5], off
	scratch_store_b128 off, v[6:9], off offset:16
	scratch_store_b128 off, v[10:13], off offset:32
	v_dual_mov_b32 v162, v53 :: v_dual_mov_b32 v135, v171
	v_dual_mov_b32 v140, v176 :: v_dual_mov_b32 v141, v177
	;; [unrolled: 1-line block ×14, first 2 shown]
	v_mov_b32_e32 v137, v173
	v_dual_mov_b32 v123, v147 :: v_dual_mov_b32 v126, v150
	v_dual_mov_b32 v124, v148 :: v_dual_mov_b32 v111, v135
	s_delay_alu instid0(VALU_DEP_4)
	v_dual_mov_b32 v112, v136 :: v_dual_mov_b32 v125, v149
	v_dual_mov_b32 v128, v152 :: v_dual_mov_b32 v115, v139
	;; [unrolled: 1-line block ×7, first 2 shown]
	v_mov_b32_e32 v128, v56
	v_dual_mov_b32 v116, v44 :: v_dual_mov_b32 v87, v123
	v_dual_mov_b32 v113, v137 :: v_dual_mov_b32 v114, v138
	;; [unrolled: 1-line block ×21, first 2 shown]
	v_mov_b32_e32 v81, v45
	v_dual_mov_b32 v63, v87 :: v_dual_mov_b32 v66, v90
	v_mov_b32_e32 v64, v88
	v_dual_mov_b32 v110, v86 :: v_dual_mov_b32 v109, v85
	v_dual_mov_b32 v65, v89 :: v_dual_mov_b32 v68, v92
	;; [unrolled: 1-line block ×9, first 2 shown]
	v_mov_b32_e32 v102, v78
	v_dual_mov_b32 v42, v41 :: v_dual_mov_b32 v103, v79
	v_mov_b32_e32 v100, v76
	v_mov_b32_e32 v106, v46
	s_clause 0x2
	scratch_store_b128 off, v[2:5], off offset:48
	scratch_store_b128 off, v[6:9], off offset:64
	;; [unrolled: 1-line block ×3, first 2 shown]
	v_dual_mov_b32 v2, v1 :: v_dual_mov_b32 v107, v83
	v_mov_b32_e32 v3, v63
	v_mov_b32_e32 v5, v65
	v_dual_mov_b32 v7, v67 :: v_dual_mov_b32 v14, v74
	v_dual_mov_b32 v15, v99 :: v_dual_mov_b32 v6, v66
	v_dual_mov_b32 v11, v71 :: v_dual_mov_b32 v8, v68
	v_dual_mov_b32 v13, v73 :: v_dual_mov_b32 v12, v72
	v_dual_mov_b32 v13, v61 :: v_dual_mov_b32 v18, v102
	v_dual_mov_b32 v23, v107 :: v_dual_mov_b32 v20, v104
	v_dual_mov_b32 v25, v109 :: v_dual_mov_b32 v24, v108
	v_dual_mov_b32 v25, v49 :: v_dual_mov_b32 v26, v110
	v_dual_mov_b32 v4, v64 :: v_dual_mov_b32 v9, v69
	v_dual_mov_b32 v10, v70 :: v_dual_mov_b32 v11, v59
	v_dual_mov_b32 v12, v60 :: v_dual_mov_b32 v17, v101
	v_dual_mov_b32 v14, v62 :: v_dual_mov_b32 v19, v103
	v_dual_mov_b32 v16, v100 :: v_dual_mov_b32 v21, v105
	v_dual_mov_b32 v22, v106 :: v_dual_mov_b32 v23, v47
	v_mov_b32_e32 v24, v48
	v_mov_b32_e32 v26, v50
.LBB178_51:
	s_or_b32 exec_lo, exec_lo, s2
	v_mov_b32_e32 v1, v31
	s_mov_b32 s2, exec_lo
	v_cmpx_lt_f32_e32 v2, v31
	s_cbranch_execz .LBB178_53
; %bb.52:
	s_clause 0x2
	scratch_load_b128 v[3:6], off, off
	scratch_load_b128 v[7:10], off, off offset:16
	scratch_load_b128 v[11:14], off, off offset:32
	v_dual_mov_b32 v30, v31 :: v_dual_mov_b32 v31, v2
	v_mov_b32_e32 v1, v2
	s_waitcnt vmcnt(0)
	v_dual_mov_b32 v170, v14 :: v_dual_mov_b32 v169, v13
	v_dual_mov_b32 v161, v5 :: v_dual_mov_b32 v160, v4
	;; [unrolled: 1-line block ×5, first 2 shown]
	v_mov_b32_e32 v174, v43
	v_mov_b32_e32 v159, v3
	;; [unrolled: 1-line block ×3, first 2 shown]
	v_dual_mov_b32 v135, v171 :: v_dual_mov_b32 v136, v172
	v_mov_b32_e32 v137, v173
	s_delay_alu instid0(VALU_DEP_4) | instskip(NEXT) | instid1(VALU_DEP_4)
	v_dual_mov_b32 v147, v159 :: v_dual_mov_b32 v148, v160
	v_dual_mov_b32 v149, v161 :: v_dual_mov_b32 v150, v162
	;; [unrolled: 1-line block ×10, first 2 shown]
	v_mov_b32_e32 v139, v42
	v_mov_b32_e32 v151, v54
	v_dual_mov_b32 v146, v182 :: v_dual_mov_b32 v123, v147
	v_dual_mov_b32 v111, v135 :: v_dual_mov_b32 v112, v136
	v_dual_mov_b32 v133, v157 :: v_dual_mov_b32 v134, v158
	s_delay_alu instid0(VALU_DEP_4)
	v_dual_mov_b32 v124, v148 :: v_dual_mov_b32 v127, v151
	v_dual_mov_b32 v128, v152 :: v_dual_mov_b32 v131, v155
	;; [unrolled: 1-line block ×9, first 2 shown]
	v_mov_b32_e32 v120, v144
	v_dual_mov_b32 v116, v44 :: v_dual_mov_b32 v87, v123
	v_mov_b32_e32 v114, v138
	v_dual_mov_b32 v98, v134 :: v_dual_mov_b32 v75, v111
	v_dual_mov_b32 v88, v124 :: v_dual_mov_b32 v89, v125
	;; [unrolled: 1-line block ×3, first 2 shown]
	v_mov_b32_e32 v86, v122
	v_dual_mov_b32 v90, v126 :: v_dual_mov_b32 v91, v127
	v_dual_mov_b32 v92, v128 :: v_dual_mov_b32 v93, v129
	;; [unrolled: 1-line block ×8, first 2 shown]
	v_mov_b32_e32 v79, v115
	v_mov_b32_e32 v81, v45
	v_dual_mov_b32 v63, v87 :: v_dual_mov_b32 v66, v90
	v_dual_mov_b32 v64, v88 :: v_dual_mov_b32 v73, v97
	;; [unrolled: 1-line block ×9, first 2 shown]
	v_mov_b32_e32 v108, v84
	v_dual_mov_b32 v106, v46 :: v_dual_mov_b32 v3, v63
	v_dual_mov_b32 v105, v81 :: v_dual_mov_b32 v104, v80
	;; [unrolled: 1-line block ×19, first 2 shown]
	v_mov_b32_e32 v26, v50
	v_mov_b32_e32 v43, v42
	;; [unrolled: 1-line block ×3, first 2 shown]
	s_clause 0x2
	scratch_store_b128 off, v[171:174], off offset:48
	scratch_store_b128 off, v[175:178], off offset:64
	;; [unrolled: 1-line block ×3, first 2 shown]
.LBB178_53:
	s_or_b32 exec_lo, exec_lo, s2
	v_mov_b32_e32 v2, v32
	s_mov_b32 s2, exec_lo
	v_cmpx_lt_f32_e32 v1, v32
	s_cbranch_execz .LBB178_55
; %bb.54:
	s_clause 0x2
	scratch_load_b128 v[2:5], off, off offset:48
	scratch_load_b128 v[6:9], off, off offset:64
	;; [unrolled: 1-line block ×3, first 2 shown]
	v_dual_mov_b32 v163, v56 :: v_dual_mov_b32 v56, v55
	s_waitcnt vmcnt(0)
	v_dual_mov_b32 v31, v32 :: v_dual_mov_b32 v146, v13
	v_dual_mov_b32 v138, v5 :: v_dual_mov_b32 v137, v4
	;; [unrolled: 1-line block ×6, first 2 shown]
	v_mov_b32_e32 v139, v44
	v_dual_mov_b32 v123, v159 :: v_dual_mov_b32 v124, v160
	v_dual_mov_b32 v125, v161 :: v_dual_mov_b32 v128, v164
	;; [unrolled: 1-line block ×12, first 2 shown]
	v_mov_b32_e32 v120, v144
	v_mov_b32_e32 v116, v43
	v_dual_mov_b32 v87, v123 :: v_dual_mov_b32 v88, v124
	v_dual_mov_b32 v89, v125 :: v_dual_mov_b32 v98, v134
	;; [unrolled: 1-line block ×12, first 2 shown]
	v_mov_b32_e32 v79, v115
	v_mov_b32_e32 v81, v45
	v_dual_mov_b32 v63, v87 :: v_dual_mov_b32 v66, v90
	v_dual_mov_b32 v64, v88 :: v_dual_mov_b32 v73, v97
	;; [unrolled: 1-line block ×8, first 2 shown]
	v_mov_b32_e32 v70, v58
	v_dual_mov_b32 v106, v46 :: v_dual_mov_b32 v65, v89
	v_dual_mov_b32 v68, v92 :: v_dual_mov_b32 v105, v81
	;; [unrolled: 1-line block ×4, first 2 shown]
	v_mov_b32_e32 v100, v76
	v_dual_mov_b32 v32, v1 :: v_dual_mov_b32 v3, v63
	v_dual_mov_b32 v14, v74 :: v_dual_mov_b32 v15, v99
	v_mov_b32_e32 v26, v110
	v_dual_mov_b32 v10, v70 :: v_dual_mov_b32 v11, v71
	v_dual_mov_b32 v12, v72 :: v_dual_mov_b32 v13, v73
	;; [unrolled: 1-line block ×20, first 2 shown]
	v_mov_b32_e32 v2, v1
	v_mov_b32_e32 v44, v43
.LBB178_55:
	s_or_b32 exec_lo, exec_lo, s2
	v_mov_b32_e32 v1, v33
	s_mov_b32 s2, exec_lo
	v_cmpx_lt_f32_e32 v2, v33
	s_cbranch_execz .LBB178_57
; %bb.56:
	v_mov_b32_e32 v140, v45
	v_dual_mov_b32 v152, v57 :: v_dual_mov_b32 v75, v135
	v_dual_mov_b32 v87, v147 :: v_dual_mov_b32 v90, v150
	;; [unrolled: 1-line block ×3, first 2 shown]
	s_delay_alu instid0(VALU_DEP_3)
	v_dual_mov_b32 v92, v152 :: v_dual_mov_b32 v93, v153
	v_dual_mov_b32 v76, v136 :: v_dual_mov_b32 v79, v139
	;; [unrolled: 1-line block ×6, first 2 shown]
	v_mov_b32_e32 v93, v56
	v_dual_mov_b32 v84, v144 :: v_dual_mov_b32 v63, v87
	v_dual_mov_b32 v78, v138 :: v_dual_mov_b32 v81, v141
	;; [unrolled: 1-line block ×5, first 2 shown]
	s_delay_alu instid0(VALU_DEP_3) | instskip(SKIP_1) | instid1(VALU_DEP_4)
	v_dual_mov_b32 v110, v86 :: v_dual_mov_b32 v109, v85
	v_dual_mov_b32 v100, v76 :: v_dual_mov_b32 v99, v75
	;; [unrolled: 1-line block ×11, first 2 shown]
	v_mov_b32_e32 v106, v46
	v_dual_mov_b32 v70, v58 :: v_dual_mov_b32 v15, v99
	v_dual_mov_b32 v3, v63 :: v_dual_mov_b32 v24, v108
	;; [unrolled: 1-line block ×3, first 2 shown]
	s_delay_alu instid0(VALU_DEP_3)
	v_dual_mov_b32 v10, v70 :: v_dual_mov_b32 v11, v71
	v_dual_mov_b32 v12, v72 :: v_dual_mov_b32 v13, v73
	;; [unrolled: 1-line block ×26, first 2 shown]
	v_mov_b32_e32 v1, v2
	v_dual_mov_b32 v134, v158 :: v_dual_mov_b32 v45, v44
	v_mov_b32_e32 v57, v56
.LBB178_57:
	s_or_b32 exec_lo, exec_lo, s2
	v_mov_b32_e32 v2, v34
	s_mov_b32 s2, exec_lo
	v_cmpx_lt_f32_e32 v1, v34
	s_cbranch_execz .LBB178_59
; %bb.58:
	v_mov_b32_e32 v129, v58
	v_dual_mov_b32 v63, v123 :: v_dual_mov_b32 v70, v130
	v_dual_mov_b32 v70, v57 :: v_dual_mov_b32 v71, v131
	v_dual_mov_b32 v117, v46 :: v_dual_mov_b32 v64, v124
	v_dual_mov_b32 v99, v111 :: v_dual_mov_b32 v102, v114
	v_dual_mov_b32 v65, v125 :: v_dual_mov_b32 v68, v128
	v_dual_mov_b32 v66, v126 :: v_dual_mov_b32 v67, v127
	v_dual_mov_b32 v72, v132 :: v_dual_mov_b32 v69, v129
	v_dual_mov_b32 v74, v134 :: v_dual_mov_b32 v73, v133
	v_dual_mov_b32 v100, v112 :: v_dual_mov_b32 v103, v115
	v_dual_mov_b32 v106, v118 :: v_dual_mov_b32 v105, v117
	v_dual_mov_b32 v108, v120 :: v_dual_mov_b32 v107, v119
	v_dual_mov_b32 v110, v122 :: v_dual_mov_b32 v109, v121
	v_dual_mov_b32 v101, v113 :: v_dual_mov_b32 v104, v116
	v_dual_mov_b32 v106, v45 :: v_dual_mov_b32 v3, v63
	v_dual_mov_b32 v4, v64 :: v_dual_mov_b32 v15, v99
	v_dual_mov_b32 v16, v100 :: v_dual_mov_b32 v11, v71
	v_dual_mov_b32 v12, v72 :: v_dual_mov_b32 v13, v73
	v_dual_mov_b32 v14, v74 :: v_dual_mov_b32 v23, v107
	v_dual_mov_b32 v24, v108 :: v_dual_mov_b32 v25, v109
	v_dual_mov_b32 v26, v110 :: v_dual_mov_b32 v75, v111
	v_dual_mov_b32 v76, v112 :: v_dual_mov_b32 v87, v123
	v_dual_mov_b32 v88, v124 :: v_dual_mov_b32 v33, v34
	v_mov_b32_e32 v34, v1
	v_dual_mov_b32 v5, v65 :: v_dual_mov_b32 v6, v66
	v_dual_mov_b32 v7, v67 :: v_dual_mov_b32 v8, v68
	;; [unrolled: 1-line block ×20, first 2 shown]
	v_mov_b32_e32 v2, v1
	v_mov_b32_e32 v46, v45
	;; [unrolled: 1-line block ×3, first 2 shown]
.LBB178_59:
	s_or_b32 exec_lo, exec_lo, s2
	v_mov_b32_e32 v1, v35
	s_mov_b32 s2, exec_lo
	v_cmpx_lt_f32_e32 v2, v35
	s_cbranch_execz .LBB178_61
; %bb.60:
	v_mov_b32_e32 v94, v59
	v_dual_mov_b32 v34, v35 :: v_dual_mov_b32 v35, v2
	v_mov_b32_e32 v82, v47
	v_dual_mov_b32 v3, v87 :: v_dual_mov_b32 v4, v88
	v_dual_mov_b32 v12, v96 :: v_dual_mov_b32 v9, v93
	;; [unrolled: 1-line block ×13, first 2 shown]
	v_mov_b32_e32 v7, v91
	v_mov_b32_e32 v11, v58
	v_dual_mov_b32 v14, v62 :: v_dual_mov_b32 v17, v77
	v_dual_mov_b32 v16, v76 :: v_dual_mov_b32 v19, v79
	;; [unrolled: 1-line block ×14, first 2 shown]
	v_mov_b32_e32 v47, v46
	v_mov_b32_e32 v59, v58
	;; [unrolled: 1-line block ×3, first 2 shown]
.LBB178_61:
	s_or_b32 exec_lo, exec_lo, s2
	v_mov_b32_e32 v39, v36
	s_mov_b32 s2, exec_lo
	v_cmpx_lt_f32_e32 v1, v36
	s_cbranch_execz .LBB178_63
; %bb.62:
	v_dual_mov_b32 v71, v60 :: v_dual_mov_b32 v72, v59
	v_dual_mov_b32 v73, v61 :: v_dual_mov_b32 v108, v47
	v_dual_mov_b32 v107, v48 :: v_dual_mov_b32 v110, v50
	v_dual_mov_b32 v109, v49 :: v_dual_mov_b32 v74, v62
	v_dual_mov_b32 v15, v99 :: v_dual_mov_b32 v16, v100
	v_dual_mov_b32 v3, v63 :: v_dual_mov_b32 v4, v64
	v_dual_mov_b32 v35, v36 :: v_dual_mov_b32 v36, v1
	v_dual_mov_b32 v17, v101 :: v_dual_mov_b32 v18, v102
	v_dual_mov_b32 v19, v103 :: v_dual_mov_b32 v20, v104
	v_dual_mov_b32 v21, v105 :: v_dual_mov_b32 v22, v106
	v_dual_mov_b32 v23, v107 :: v_dual_mov_b32 v24, v108
	v_dual_mov_b32 v25, v109 :: v_dual_mov_b32 v26, v110
	v_dual_mov_b32 v5, v65 :: v_dual_mov_b32 v6, v66
	v_dual_mov_b32 v7, v67 :: v_dual_mov_b32 v8, v68
	v_dual_mov_b32 v9, v69 :: v_dual_mov_b32 v10, v70
	v_dual_mov_b32 v11, v71 :: v_dual_mov_b32 v12, v72
	v_dual_mov_b32 v13, v73 :: v_dual_mov_b32 v14, v74
	v_mov_b32_e32 v39, v1
.LBB178_63:
	s_or_b32 exec_lo, exec_lo, s2
	s_delay_alu instid0(VALU_DEP_1)
	v_cmp_lt_f32_e32 vcc_lo, v39, v37
	v_dual_mov_b32 v40, v28 :: v_dual_mov_b32 v43, v31
	v_dual_mov_b32 v42, v30 :: v_dual_mov_b32 v45, v33
	v_dual_cndmask_b32 v1, v25, v24 :: v_dual_cndmask_b32 v24, v24, v25
	v_cndmask_b32_e32 v2, v13, v12, vcc_lo
	v_dual_cndmask_b32 v12, v12, v13 :: v_dual_cndmask_b32 v49, v37, v39
	v_dual_cndmask_b32 v48, v36, v37 :: v_dual_mov_b32 v41, v29
	v_dual_mov_b32 v39, v27 :: v_dual_mov_b32 v44, v32
	v_dual_mov_b32 v47, v35 :: v_dual_mov_b32 v46, v34
	v_mov_b32_e32 v50, v38
	s_mov_b32 s2, exec_lo
	v_cmpx_lt_f32_e32 v27, v28
	s_cbranch_execz .LBB178_65
; %bb.64:
	v_dual_mov_b32 v28, v40 :: v_dual_mov_b32 v29, v39
	v_dual_mov_b32 v38, v49 :: v_dual_mov_b32 v39, v50
	;; [unrolled: 1-line block ×6, first 2 shown]
	v_mov_b32_e32 v50, v39
	v_mov_b32_e32 v13, v15
	v_dual_mov_b32 v25, v3 :: v_dual_mov_b32 v44, v33
	v_swap_b32 v15, v16
	v_swap_b32 v3, v4
	v_dual_mov_b32 v49, v38 :: v_dual_mov_b32 v46, v35
	v_dual_mov_b32 v48, v37 :: v_dual_mov_b32 v47, v36
	;; [unrolled: 1-line block ×4, first 2 shown]
	v_mov_b32_e32 v41, v30
	v_dual_mov_b32 v39, v28 :: v_dual_mov_b32 v28, v27
.LBB178_65:
	s_or_b32 exec_lo, exec_lo, s2
	v_mov_b32_e32 v13, v2
	v_dual_mov_b32 v25, v1 :: v_dual_mov_b32 v62, v14
	v_dual_mov_b32 v74, v26 :: v_dual_mov_b32 v63, v15
	v_mov_b32_e32 v86, v26
	v_dual_mov_b32 v72, v24 :: v_dual_mov_b32 v75, v15
	v_dual_mov_b32 v110, v26 :: v_dual_mov_b32 v53, v5
	v_dual_mov_b32 v98, v14 :: v_dual_mov_b32 v99, v15
	v_dual_mov_b32 v134, v26 :: v_dual_mov_b32 v89, v5
	v_dual_mov_b32 v122, v14 :: v_dual_mov_b32 v123, v15
	v_dual_mov_b32 v170, v26 :: v_dual_mov_b32 v113, v5
	v_dual_mov_b32 v146, v14 :: v_dual_mov_b32 v159, v15
	v_dual_mov_b32 v182, v26 :: v_dual_mov_b32 v137, v5
	v_dual_mov_b32 v158, v14 :: v_dual_mov_b32 v73, v25
	v_dual_mov_b32 v71, v23 :: v_dual_mov_b32 v70, v22
	v_dual_mov_b32 v69, v21 :: v_dual_mov_b32 v68, v20
	v_dual_mov_b32 v67, v19 :: v_dual_mov_b32 v66, v18
	v_dual_mov_b32 v65, v17 :: v_dual_mov_b32 v64, v16
	v_dual_mov_b32 v81, v21 :: v_dual_mov_b32 v80, v20
	v_dual_mov_b32 v79, v19 :: v_dual_mov_b32 v78, v18
	v_dual_mov_b32 v77, v17 :: v_dual_mov_b32 v76, v16
	v_dual_mov_b32 v109, v25 :: v_dual_mov_b32 v108, v24
	v_dual_mov_b32 v107, v23 :: v_dual_mov_b32 v106, v22
	v_dual_mov_b32 v105, v21 :: v_dual_mov_b32 v104, v20
	v_dual_mov_b32 v103, v19 :: v_dual_mov_b32 v102, v18
	v_dual_mov_b32 v101, v17 :: v_dual_mov_b32 v100, v16
	v_dual_mov_b32 v133, v25 :: v_dual_mov_b32 v132, v24
	v_dual_mov_b32 v131, v23 :: v_dual_mov_b32 v130, v22
	v_dual_mov_b32 v129, v21 :: v_dual_mov_b32 v128, v20
	v_dual_mov_b32 v127, v19 :: v_dual_mov_b32 v126, v18
	v_dual_mov_b32 v125, v17 :: v_dual_mov_b32 v124, v16
	v_dual_mov_b32 v169, v25 :: v_dual_mov_b32 v168, v24
	v_dual_mov_b32 v167, v23 :: v_dual_mov_b32 v166, v22
	v_dual_mov_b32 v165, v21 :: v_dual_mov_b32 v164, v20
	v_dual_mov_b32 v163, v19 :: v_dual_mov_b32 v162, v18
	v_dual_mov_b32 v161, v17 :: v_dual_mov_b32 v160, v16
	v_dual_mov_b32 v181, v25 :: v_dual_mov_b32 v180, v24
	v_dual_mov_b32 v179, v23 :: v_dual_mov_b32 v178, v22
	v_dual_mov_b32 v177, v21 :: v_dual_mov_b32 v176, v20
	v_dual_mov_b32 v175, v19 :: v_dual_mov_b32 v174, v18
	v_dual_mov_b32 v173, v17 :: v_dual_mov_b32 v172, v16
	v_dual_mov_b32 v171, v15 :: v_dual_mov_b32 v60, v12
	v_dual_mov_b32 v61, v13 :: v_dual_mov_b32 v58, v10
	v_dual_mov_b32 v59, v11 :: v_dual_mov_b32 v56, v8
	v_dual_mov_b32 v57, v9 :: v_dual_mov_b32 v54, v6
	v_dual_mov_b32 v55, v7 :: v_dual_mov_b32 v52, v4
	v_dual_mov_b32 v51, v3 :: v_dual_mov_b32 v96, v12
	v_dual_mov_b32 v97, v13 :: v_dual_mov_b32 v94, v10
	v_dual_mov_b32 v95, v11 :: v_dual_mov_b32 v92, v8
	v_dual_mov_b32 v93, v9 :: v_dual_mov_b32 v90, v6
	v_dual_mov_b32 v91, v7 :: v_dual_mov_b32 v88, v4
	v_dual_mov_b32 v87, v3 :: v_dual_mov_b32 v120, v12
	v_dual_mov_b32 v121, v13 :: v_dual_mov_b32 v118, v10
	v_dual_mov_b32 v119, v11 :: v_dual_mov_b32 v116, v8
	v_dual_mov_b32 v117, v9 :: v_dual_mov_b32 v114, v6
	v_dual_mov_b32 v115, v7 :: v_dual_mov_b32 v112, v4
	v_dual_mov_b32 v111, v3 :: v_dual_mov_b32 v144, v12
	v_dual_mov_b32 v145, v13 :: v_dual_mov_b32 v142, v10
	v_dual_mov_b32 v143, v11 :: v_dual_mov_b32 v140, v8
	v_dual_mov_b32 v141, v9 :: v_dual_mov_b32 v138, v6
	v_dual_mov_b32 v139, v7 :: v_dual_mov_b32 v136, v4
	v_dual_mov_b32 v135, v3 :: v_dual_mov_b32 v156, v12
	v_dual_mov_b32 v157, v13 :: v_dual_mov_b32 v154, v10
	v_dual_mov_b32 v155, v11 :: v_dual_mov_b32 v152, v8
	v_dual_mov_b32 v153, v9 :: v_dual_mov_b32 v150, v6
	v_dual_mov_b32 v151, v7 :: v_dual_mov_b32 v148, v4
	v_mov_b32_e32 v149, v5
	v_mov_b32_e32 v147, v3
	v_mov_b32_e32 v13, v41
	s_mov_b32 s2, exec_lo
	v_dual_mov_b32 v85, v25 :: v_dual_mov_b32 v84, v24
	v_dual_mov_b32 v83, v23 :: v_dual_mov_b32 v82, v22
	s_clause 0x2
	scratch_store_b128 off, v[3:6], off
	scratch_store_b128 off, v[7:10], off offset:16
	scratch_store_b128 off, v[11:14], off offset:32
	v_cmpx_lt_f32_e32 v28, v41
	s_cbranch_execz .LBB178_67
; %bb.66:
	v_dual_mov_b32 v158, v14 :: v_dual_mov_b32 v157, v13
	v_dual_mov_b32 v150, v6 :: v_dual_mov_b32 v149, v5
	;; [unrolled: 1-line block ×7, first 2 shown]
	s_clause 0x2
	scratch_store_b128 off, v[147:150], off
	scratch_store_b128 off, v[151:154], off offset:16
	scratch_store_b128 off, v[155:158], off offset:32
	v_dual_mov_b32 v182, v26 :: v_dual_mov_b32 v181, v25
	v_dual_mov_b32 v172, v16 :: v_dual_mov_b32 v171, v15
	;; [unrolled: 1-line block ×8, first 2 shown]
	s_delay_alu instid0(VALU_DEP_4) | instskip(SKIP_1) | instid1(VALU_DEP_4)
	v_dual_mov_b32 v160, v172 :: v_dual_mov_b32 v161, v173
	v_dual_mov_b32 v162, v174 :: v_dual_mov_b32 v163, v175
	;; [unrolled: 1-line block ×4, first 2 shown]
	v_mov_b32_e32 v170, v182
	v_dual_mov_b32 v166, v178 :: v_dual_mov_b32 v167, v179
	v_mov_b32_e32 v162, v18
	v_dual_mov_b32 v40, v41 :: v_dual_mov_b32 v41, v28
	v_mov_b32_e32 v5, v4
	v_mov_b32_e32 v17, v16
	;; [unrolled: 1-line block ×3, first 2 shown]
	v_dual_mov_b32 v137, v149 :: v_dual_mov_b32 v144, v156
	v_dual_mov_b32 v123, v159 :: v_dual_mov_b32 v136, v148
	;; [unrolled: 1-line block ×12, first 2 shown]
	v_mov_b32_e32 v133, v169
	v_dual_mov_b32 v111, v135 :: v_dual_mov_b32 v112, v136
	v_dual_mov_b32 v99, v123 :: v_dual_mov_b32 v100, v124
	;; [unrolled: 1-line block ×12, first 2 shown]
	v_mov_b32_e32 v104, v20
	v_dual_mov_b32 v116, v8 :: v_dual_mov_b32 v75, v99
	v_mov_b32_e32 v87, v111
	v_dual_mov_b32 v93, v117 :: v_dual_mov_b32 v78, v102
	s_delay_alu instid0(VALU_DEP_3)
	v_dual_mov_b32 v81, v105 :: v_dual_mov_b32 v92, v116
	v_dual_mov_b32 v90, v114 :: v_dual_mov_b32 v91, v115
	;; [unrolled: 1-line block ×11, first 2 shown]
	v_mov_b32_e32 v51, v87
	v_dual_mov_b32 v63, v75 :: v_dual_mov_b32 v66, v78
	v_dual_mov_b32 v55, v91 :: v_dual_mov_b32 v58, v94
	;; [unrolled: 1-line block ×14, first 2 shown]
	v_mov_b32_e32 v72, v24
	v_dual_mov_b32 v62, v14 :: v_dual_mov_b32 v71, v23
	v_dual_mov_b32 v70, v22 :: v_dual_mov_b32 v73, v1
	v_mov_b32_e32 v74, v26
.LBB178_67:
	s_or_b32 exec_lo, exec_lo, s2
	v_mov_b32_e32 v3, v42
	v_cmp_lt_f32_e32 vcc_lo, v13, v42
	s_mov_b32 s2, exec_lo
	s_clause 0x2
	scratch_load_b128 v[27:30], off, off
	scratch_load_b128 v[31:34], off, off offset:16
	scratch_load_b128 v[35:38], off, off offset:32
	s_and_b32 s3, s2, vcc_lo
	s_delay_alu instid0(SALU_CYCLE_1)
	s_mov_b32 exec_lo, s3
	s_cbranch_execz .LBB178_69
; %bb.68:
	v_mov_b32_e32 v173, v18
	s_waitcnt vmcnt(2)
	v_mov_b32_e32 v29, v6
	v_dual_mov_b32 v159, v171 :: v_dual_mov_b32 v160, v172
	s_waitcnt vmcnt(0)
	v_dual_mov_b32 v158, v38 :: v_dual_mov_b32 v157, v37
	v_dual_mov_b32 v156, v36 :: v_dual_mov_b32 v147, v27
	;; [unrolled: 1-line block ×6, first 2 shown]
	v_mov_b32_e32 v168, v180
	v_dual_mov_b32 v164, v176 :: v_dual_mov_b32 v165, v177
	v_dual_mov_b32 v170, v182 :: v_dual_mov_b32 v155, v35
	;; [unrolled: 1-line block ×4, first 2 shown]
	v_mov_b32_e32 v150, v5
	v_mov_b32_e32 v169, v181
	v_dual_mov_b32 v162, v17 :: v_dual_mov_b32 v135, v147
	v_dual_mov_b32 v136, v148 :: v_dual_mov_b32 v123, v159
	;; [unrolled: 1-line block ×13, first 2 shown]
	v_mov_b32_e32 v139, v7
	v_dual_mov_b32 v99, v123 :: v_dual_mov_b32 v100, v124
	v_dual_mov_b32 v111, v135 :: v_dual_mov_b32 v114, v138
	;; [unrolled: 1-line block ×4, first 2 shown]
	v_mov_b32_e32 v120, v144
	v_dual_mov_b32 v104, v128 :: v_dual_mov_b32 v105, v129
	v_dual_mov_b32 v110, v134 :: v_dual_mov_b32 v115, v139
	;; [unrolled: 1-line block ×21, first 2 shown]
	v_mov_b32_e32 v93, v9
	v_dual_mov_b32 v63, v75 :: v_dual_mov_b32 v64, v76
	v_dual_mov_b32 v51, v87 :: v_dual_mov_b32 v54, v90
	;; [unrolled: 1-line block ×3, first 2 shown]
	s_delay_alu instid0(VALU_DEP_4)
	v_dual_mov_b32 v58, v94 :: v_dual_mov_b32 v57, v93
	v_dual_mov_b32 v60, v96 :: v_dual_mov_b32 v59, v95
	;; [unrolled: 1-line block ×9, first 2 shown]
	v_mov_b32_e32 v42, v13
	v_dual_mov_b32 v53, v89 :: v_dual_mov_b32 v56, v92
	v_dual_mov_b32 v68, v80 :: v_dual_mov_b32 v59, v11
	v_mov_b32_e32 v62, v14
	v_dual_mov_b32 v61, v2 :: v_dual_mov_b32 v72, v24
	v_dual_mov_b32 v70, v22 :: v_dual_mov_b32 v71, v23
	;; [unrolled: 1-line block ×3, first 2 shown]
	v_mov_b32_e32 v3, v13
	v_mov_b32_e32 v18, v17
	;; [unrolled: 1-line block ×3, first 2 shown]
.LBB178_69:
	s_or_b32 exec_lo, exec_lo, s2
	v_mov_b32_e32 v4, v43
	s_mov_b32 s2, exec_lo
	v_cmpx_lt_f32_e32 v3, v43
	s_cbranch_execz .LBB178_71
; %bb.70:
	v_mov_b32_e32 v174, v19
	s_waitcnt vmcnt(2)
	v_mov_b32_e32 v30, v7
	v_mov_b32_e32 v123, v171
	s_waitcnt vmcnt(0)
	v_dual_mov_b32 v125, v173 :: v_dual_mov_b32 v146, v38
	s_delay_alu instid0(VALU_DEP_3)
	v_dual_mov_b32 v143, v35 :: v_dual_mov_b32 v138, v30
	v_mov_b32_e32 v135, v27
	v_dual_mov_b32 v145, v37 :: v_dual_mov_b32 v142, v34
	v_dual_mov_b32 v139, v31 :: v_dual_mov_b32 v136, v28
	;; [unrolled: 1-line block ×6, first 2 shown]
	v_mov_b32_e32 v139, v6
	v_dual_mov_b32 v127, v18 :: v_dual_mov_b32 v124, v172
	v_dual_mov_b32 v126, v174 :: v_dual_mov_b32 v129, v177
	;; [unrolled: 1-line block ×15, first 2 shown]
	v_mov_b32_e32 v110, v134
	v_mov_b32_e32 v104, v20
	v_dual_mov_b32 v116, v8 :: v_dual_mov_b32 v75, v99
	v_mov_b32_e32 v87, v111
	v_dual_mov_b32 v93, v117 :: v_dual_mov_b32 v78, v102
	s_delay_alu instid0(VALU_DEP_3)
	v_dual_mov_b32 v81, v105 :: v_dual_mov_b32 v92, v116
	v_dual_mov_b32 v80, v104 :: v_dual_mov_b32 v83, v107
	;; [unrolled: 1-line block ×11, first 2 shown]
	v_mov_b32_e32 v63, v75
	s_delay_alu instid0(VALU_DEP_3)
	v_dual_mov_b32 v51, v87 :: v_dual_mov_b32 v54, v90
	v_dual_mov_b32 v71, v83 :: v_dual_mov_b32 v72, v84
	;; [unrolled: 1-line block ×14, first 2 shown]
	v_mov_b32_e32 v68, v80
	v_dual_mov_b32 v58, v10 :: v_dual_mov_b32 v59, v11
	v_dual_mov_b32 v60, v12 :: v_dual_mov_b32 v61, v2
	;; [unrolled: 1-line block ×14, first 2 shown]
	v_mov_b32_e32 v150, v30
	v_dual_mov_b32 v148, v28 :: v_dual_mov_b32 v19, v18
	v_dual_mov_b32 v4, v3 :: v_dual_mov_b32 v7, v6
.LBB178_71:
	s_or_b32 exec_lo, exec_lo, s2
	v_mov_b32_e32 v3, v44
	s_mov_b32 s2, exec_lo
	s_delay_alu instid0(VALU_DEP_2)
	v_cmpx_lt_f32_e32 v4, v44
	s_cbranch_execz .LBB178_73
; %bb.72:
	v_mov_b32_e32 v163, v20
	v_mov_b32_e32 v151, v8
	v_dual_mov_b32 v99, v159 :: v_dual_mov_b32 v102, v162
	v_dual_mov_b32 v111, v147 :: v_dual_mov_b32 v112, v148
	;; [unrolled: 1-line block ×10, first 2 shown]
	v_mov_b32_e32 v108, v168
	v_dual_mov_b32 v104, v164 :: v_dual_mov_b32 v109, v169
	v_mov_b32_e32 v116, v7
	v_mov_b32_e32 v107, v167
	;; [unrolled: 1-line block ×3, first 2 shown]
	v_dual_mov_b32 v87, v111 :: v_dual_mov_b32 v90, v114
	v_dual_mov_b32 v88, v112 :: v_dual_mov_b32 v89, v113
	v_dual_mov_b32 v75, v99 :: v_dual_mov_b32 v76, v100
	v_dual_mov_b32 v93, v117 :: v_dual_mov_b32 v94, v118
	v_dual_mov_b32 v81, v105 :: v_dual_mov_b32 v82, v106
	v_dual_mov_b32 v91, v115 :: v_dual_mov_b32 v92, v116
	v_dual_mov_b32 v95, v119 :: v_dual_mov_b32 v96, v120
	v_dual_mov_b32 v97, v121 :: v_dual_mov_b32 v98, v122
	v_dual_mov_b32 v77, v101 :: v_dual_mov_b32 v78, v102
	v_dual_mov_b32 v79, v103 :: v_dual_mov_b32 v80, v104
	v_dual_mov_b32 v83, v107 :: v_dual_mov_b32 v84, v108
	v_dual_mov_b32 v85, v109 :: v_dual_mov_b32 v86, v110
	v_mov_b32_e32 v93, v9
	v_mov_b32_e32 v43, v44
	v_dual_mov_b32 v44, v4 :: v_dual_mov_b32 v81, v21
	v_dual_mov_b32 v51, v87 :: v_dual_mov_b32 v56, v92
	;; [unrolled: 1-line block ×15, first 2 shown]
	v_mov_b32_e32 v136, v148
	v_dual_mov_b32 v54, v90 :: v_dual_mov_b32 v59, v11
	v_mov_b32_e32 v62, v14
	v_dual_mov_b32 v61, v2 :: v_dual_mov_b32 v72, v24
	v_dual_mov_b32 v70, v22 :: v_dual_mov_b32 v71, v23
	;; [unrolled: 1-line block ×14, first 2 shown]
	v_mov_b32_e32 v8, v7
.LBB178_73:
	s_or_b32 exec_lo, exec_lo, s2
	v_mov_b32_e32 v4, v45
	s_mov_b32 s2, exec_lo
	v_cmpx_lt_f32_e32 v3, v45
	s_cbranch_execz .LBB178_75
; %bb.74:
	v_mov_b32_e32 v140, v9
	v_dual_mov_b32 v128, v21 :: v_dual_mov_b32 v87, v135
	v_mov_b32_e32 v93, v141
	v_dual_mov_b32 v93, v8 :: v_dual_mov_b32 v94, v142
	v_dual_mov_b32 v96, v144 :: v_dual_mov_b32 v97, v145
	v_mov_b32_e32 v98, v146
	v_dual_mov_b32 v44, v45 :: v_dual_mov_b32 v75, v123
	v_dual_mov_b32 v84, v132 :: v_dual_mov_b32 v85, v133
	v_dual_mov_b32 v88, v136 :: v_dual_mov_b32 v89, v137
	v_dual_mov_b32 v90, v138 :: v_dual_mov_b32 v91, v139
	v_dual_mov_b32 v92, v140 :: v_dual_mov_b32 v95, v143
	v_dual_mov_b32 v45, v3 :: v_dual_mov_b32 v80, v128
	v_dual_mov_b32 v81, v129 :: v_dual_mov_b32 v82, v130
	v_dual_mov_b32 v83, v131 :: v_dual_mov_b32 v86, v134
	v_mov_b32_e32 v81, v20
	v_dual_mov_b32 v51, v87 :: v_dual_mov_b32 v52, v88
	v_dual_mov_b32 v76, v124 :: v_dual_mov_b32 v77, v125
	;; [unrolled: 1-line block ×30, first 2 shown]
	v_mov_b32_e32 v120, v144
	v_dual_mov_b32 v122, v146 :: v_dual_mov_b32 v21, v20
	v_dual_mov_b32 v4, v3 :: v_dual_mov_b32 v9, v8
.LBB178_75:
	s_or_b32 exec_lo, exec_lo, s2
	v_mov_b32_e32 v3, v46
	s_mov_b32 s2, exec_lo
	s_delay_alu instid0(VALU_DEP_2)
	v_cmpx_lt_f32_e32 v4, v46
	s_cbranch_execz .LBB178_77
; %bb.76:
	v_mov_b32_e32 v117, v10
	v_dual_mov_b32 v45, v46 :: v_dual_mov_b32 v46, v4
	v_mov_b32_e32 v105, v22
	v_dual_mov_b32 v51, v111 :: v_dual_mov_b32 v54, v114
	v_dual_mov_b32 v56, v116 :: v_dual_mov_b32 v63, v99
	;; [unrolled: 1-line block ×6, first 2 shown]
	v_mov_b32_e32 v58, v9
	v_dual_mov_b32 v61, v121 :: v_dual_mov_b32 v60, v12
	v_dual_mov_b32 v67, v103 :: v_dual_mov_b32 v70, v106
	;; [unrolled: 1-line block ×8, first 2 shown]
	v_mov_b32_e32 v62, v14
	v_dual_mov_b32 v61, v2 :: v_dual_mov_b32 v64, v100
	v_dual_mov_b32 v65, v101 :: v_dual_mov_b32 v68, v104
	;; [unrolled: 1-line block ×15, first 2 shown]
	v_mov_b32_e32 v98, v122
.LBB178_77:
	s_or_b32 exec_lo, exec_lo, s2
	v_mov_b32_e32 v4, v47
	s_mov_b32 s2, exec_lo
	v_cmpx_lt_f32_e32 v3, v47
	s_cbranch_execz .LBB178_79
; %bb.78:
	v_dual_mov_b32 v84, v24 :: v_dual_mov_b32 v85, v1
	v_dual_mov_b32 v94, v11 :: v_dual_mov_b32 v95, v10
	;; [unrolled: 1-line block ×4, first 2 shown]
	v_mov_b32_e32 v86, v26
	v_mov_b32_e32 v46, v47
	v_dual_mov_b32 v47, v3 :: v_dual_mov_b32 v98, v14
	v_dual_mov_b32 v63, v75 :: v_dual_mov_b32 v72, v84
	;; [unrolled: 1-line block ×3, first 2 shown]
	v_mov_b32_e32 v67, v79
	v_dual_mov_b32 v65, v77 :: v_dual_mov_b32 v66, v78
	v_dual_mov_b32 v69, v81 :: v_dual_mov_b32 v68, v80
	;; [unrolled: 1-line block ×9, first 2 shown]
	v_mov_b32_e32 v62, v98
	v_mov_b32_e32 v4, v3
.LBB178_79:
	s_or_b32 exec_lo, exec_lo, s2
	s_delay_alu instid0(VALU_DEP_1)
	v_cmp_lt_f32_e32 vcc_lo, v4, v48
	v_dual_mov_b32 v3, v41 :: v_dual_mov_b32 v8, v46
	v_dual_mov_b32 v5, v43 :: v_dual_mov_b32 v12, v50
	s_waitcnt vmcnt(0)
	v_cndmask_b32_e32 v37, v72, v71, vcc_lo
	v_dual_cndmask_b32 v71, v71, v72 :: v_dual_cndmask_b32 v38, v60, v59
	v_dual_cndmask_b32 v59, v59, v60 :: v_dual_mov_b32 v2, v40
	v_dual_cndmask_b32 v10, v48, v4 :: v_dual_mov_b32 v1, v39
	;; [unrolled: 1-line block ×3, first 2 shown]
	v_dual_mov_b32 v4, v42 :: v_dual_mov_b32 v7, v45
	v_mov_b32_e32 v11, v49
	s_mov_b32 s2, exec_lo
	v_cmpx_lt_f32_e32 v39, v40
	s_cbranch_execz .LBB178_81
; %bb.80:
	v_dual_mov_b32 v13, v2 :: v_dual_mov_b32 v14, v1
	v_dual_mov_b32 v15, v3 :: v_dual_mov_b32 v16, v4
	;; [unrolled: 1-line block ×6, first 2 shown]
	v_mov_b32_e32 v25, v63
	v_dual_mov_b32 v26, v51 :: v_dual_mov_b32 v1, v13
	v_swap_b32 v63, v64
	v_swap_b32 v51, v52
	v_dual_mov_b32 v2, v14 :: v_dual_mov_b32 v3, v15
	v_dual_mov_b32 v4, v16 :: v_dual_mov_b32 v5, v17
	;; [unrolled: 1-line block ×5, first 2 shown]
	v_mov_b32_e32 v12, v24
	v_mov_b32_e32 v40, v39
.LBB178_81:
	s_or_b32 exec_lo, exec_lo, s2
	v_mov_b32_e32 v60, v38
	v_dual_mov_b32 v72, v37 :: v_dual_mov_b32 v13, v51
	v_dual_mov_b32 v25, v63 :: v_dual_mov_b32 v98, v74
	;; [unrolled: 1-line block ×60, first 2 shown]
	s_mov_b32 s2, exec_lo
	v_dual_mov_b32 v96, v72 :: v_dual_mov_b32 v93, v69
	v_cmpx_lt_f32_e32 v40, v3
	s_cbranch_execz .LBB178_83
; %bb.82:
	v_dual_mov_b32 v134, v62 :: v_dual_mov_b32 v133, v61
	v_dual_mov_b32 v124, v52 :: v_dual_mov_b32 v123, v51
	v_mov_b32_e32 v124, v53
	v_dual_mov_b32 v128, v56 :: v_dual_mov_b32 v127, v55
	v_dual_mov_b32 v132, v60 :: v_dual_mov_b32 v131, v59
	v_dual_mov_b32 v126, v54 :: v_dual_mov_b32 v125, v53
	v_dual_mov_b32 v146, v74 :: v_dual_mov_b32 v145, v73
	v_dual_mov_b32 v125, v52 :: v_dual_mov_b32 v138, v66
	v_dual_mov_b32 v137, v65 :: v_dual_mov_b32 v136, v64
	v_dual_mov_b32 v135, v63 :: v_dual_mov_b32 v130, v58
	v_dual_mov_b32 v129, v57 :: v_dual_mov_b32 v140, v68
	v_dual_mov_b32 v139, v67 :: v_dual_mov_b32 v170, v134
	v_dual_mov_b32 v169, v133 :: v_dual_mov_b32 v144, v72
	v_dual_mov_b32 v143, v71 :: v_dual_mov_b32 v142, v70
	v_mov_b32_e32 v141, v69
	v_dual_mov_b32 v136, v65 :: v_dual_mov_b32 v137, v64
	v_dual_mov_b32 v160, v124 :: v_dual_mov_b32 v159, v123
	v_dual_mov_b32 v164, v128 :: v_dual_mov_b32 v163, v127
	v_dual_mov_b32 v168, v132 :: v_dual_mov_b32 v167, v131
	v_dual_mov_b32 v158, v146 :: v_dual_mov_b32 v155, v143
	v_dual_mov_b32 v162, v126 :: v_dual_mov_b32 v161, v125
	v_dual_mov_b32 v150, v138 :: v_dual_mov_b32 v147, v135
	v_dual_mov_b32 v152, v140 :: v_dual_mov_b32 v149, v137
	v_dual_mov_b32 v166, v130 :: v_dual_mov_b32 v165, v129
	v_dual_mov_b32 v162, v54 :: v_dual_mov_b32 v157, v145
	v_dual_mov_b32 v156, v144 :: v_dual_mov_b32 v153, v141
	v_dual_mov_b32 v154, v142 :: v_dual_mov_b32 v151, v139
	v_dual_mov_b32 v148, v136 :: v_dual_mov_b32 v111, v159
	v_dual_mov_b32 v150, v66 :: v_dual_mov_b32 v113, v161
	v_dual_mov_b32 v112, v160 :: v_dual_mov_b32 v115, v163
	v_dual_mov_b32 v116, v164 :: v_dual_mov_b32 v119, v167
	v_dual_mov_b32 v120, v168 :: v_dual_mov_b32 v115, v55
	v_dual_mov_b32 v122, v170 :: v_dual_mov_b32 v99, v147
	v_dual_mov_b32 v104, v152 :: v_dual_mov_b32 v105, v153
	v_dual_mov_b32 v114, v162 :: v_dual_mov_b32 v117, v165
	v_dual_mov_b32 v118, v166 :: v_dual_mov_b32 v121, v169
	v_dual_mov_b32 v102, v150 :: v_dual_mov_b32 v103, v151
	v_dual_mov_b32 v106, v154 :: v_dual_mov_b32 v107, v155
	v_dual_mov_b32 v108, v156 :: v_dual_mov_b32 v109, v157
	v_dual_mov_b32 v110, v158 :: v_dual_mov_b32 v103, v67
	v_dual_mov_b32 v100, v148 :: v_dual_mov_b32 v101, v149
	v_dual_mov_b32 v75, v111 :: v_dual_mov_b32 v76, v112
	v_dual_mov_b32 v79, v115 :: v_dual_mov_b32 v80, v116
	v_dual_mov_b32 v83, v119 :: v_dual_mov_b32 v84, v120
	v_dual_mov_b32 v80, v56 :: v_dual_mov_b32 v87, v99
	v_dual_mov_b32 v77, v113 :: v_dual_mov_b32 v78, v114
	v_dual_mov_b32 v92, v104 :: v_dual_mov_b32 v93, v105
	v_dual_mov_b32 v81, v117 :: v_dual_mov_b32 v82, v118
	v_dual_mov_b32 v85, v121 :: v_dual_mov_b32 v86, v122
	v_dual_mov_b32 v90, v102 :: v_dual_mov_b32 v91, v103
	v_dual_mov_b32 v94, v106 :: v_dual_mov_b32 v95, v107
	v_dual_mov_b32 v96, v108 :: v_dual_mov_b32 v97, v109
	v_dual_mov_b32 v98, v110 :: v_dual_mov_b32 v13, v75
	v_dual_mov_b32 v92, v68 :: v_dual_mov_b32 v15, v77
	v_dual_mov_b32 v88, v100 :: v_dual_mov_b32 v89, v101
	v_mov_b32_e32 v22, v84
	v_dual_mov_b32 v22, v38 :: v_dual_mov_b32 v25, v87
	v_dual_mov_b32 v16, v78 :: v_dual_mov_b32 v19, v81
	;; [unrolled: 1-line block ×16, first 2 shown]
	v_mov_b32_e32 v35, v73
	v_dual_mov_b32 v34, v37 :: v_dual_mov_b32 v39, v40
	v_dual_mov_b32 v36, v74 :: v_dual_mov_b32 v65, v64
	v_mov_b32_e32 v53, v52
.LBB178_83:
	s_or_b32 exec_lo, exec_lo, s2
	v_mov_b32_e32 v40, v4
	s_mov_b32 s2, exec_lo
	v_cmpx_lt_f32_e32 v39, v4
	s_cbranch_execz .LBB178_85
; %bb.84:
	v_mov_b32_e32 v137, v66
	v_mov_b32_e32 v125, v54
	;; [unrolled: 1-line block ×4, first 2 shown]
	v_dual_mov_b32 v170, v134 :: v_dual_mov_b32 v169, v133
	v_dual_mov_b32 v168, v132 :: v_dual_mov_b32 v159, v123
	;; [unrolled: 1-line block ×9, first 2 shown]
	v_mov_b32_e32 v157, v145
	v_dual_mov_b32 v155, v143 :: v_dual_mov_b32 v152, v140
	v_mov_b32_e32 v162, v53
	v_mov_b32_e32 v149, v137
	v_dual_mov_b32 v150, v65 :: v_dual_mov_b32 v111, v159
	v_dual_mov_b32 v112, v160 :: v_dual_mov_b32 v99, v147
	;; [unrolled: 1-line block ×13, first 2 shown]
	v_mov_b32_e32 v115, v55
	v_dual_mov_b32 v87, v99 :: v_dual_mov_b32 v88, v100
	v_dual_mov_b32 v75, v111 :: v_dual_mov_b32 v78, v114
	;; [unrolled: 1-line block ×3, first 2 shown]
	s_delay_alu instid0(VALU_DEP_4)
	v_dual_mov_b32 v80, v116 :: v_dual_mov_b32 v79, v115
	v_dual_mov_b32 v82, v118 :: v_dual_mov_b32 v81, v117
	;; [unrolled: 1-line block ×6, first 2 shown]
	v_mov_b32_e32 v96, v108
	v_dual_mov_b32 v92, v104 :: v_dual_mov_b32 v93, v105
	v_dual_mov_b32 v98, v110 :: v_dual_mov_b32 v95, v107
	;; [unrolled: 1-line block ×21, first 2 shown]
	v_mov_b32_e32 v34, v37
	v_dual_mov_b32 v35, v73 :: v_dual_mov_b32 v36, v74
	v_mov_b32_e32 v40, v39
	v_mov_b32_e32 v66, v65
	;; [unrolled: 1-line block ×3, first 2 shown]
.LBB178_85:
	s_or_b32 exec_lo, exec_lo, s2
	v_mov_b32_e32 v39, v5
	s_mov_b32 s2, exec_lo
	v_cmpx_lt_f32_e32 v40, v5
	s_cbranch_execz .LBB178_87
; %bb.86:
	v_mov_b32_e32 v126, v55
	v_mov_b32_e32 v111, v123
	;; [unrolled: 1-line block ×3, first 2 shown]
	v_dual_mov_b32 v115, v54 :: v_dual_mov_b32 v116, v128
	v_dual_mov_b32 v138, v67 :: v_dual_mov_b32 v113, v125
	v_mov_b32_e32 v112, v124
	v_dual_mov_b32 v118, v130 :: v_dual_mov_b32 v119, v131
	v_dual_mov_b32 v120, v132 :: v_dual_mov_b32 v121, v133
	;; [unrolled: 1-line block ×24, first 2 shown]
	v_mov_b32_e32 v22, v84
	v_dual_mov_b32 v22, v38 :: v_dual_mov_b32 v25, v87
	v_dual_mov_b32 v16, v78 :: v_dual_mov_b32 v19, v81
	;; [unrolled: 1-line block ×18, first 2 shown]
	v_mov_b32_e32 v35, v73
	v_dual_mov_b32 v34, v37 :: v_dual_mov_b32 v155, v143
	v_dual_mov_b32 v36, v74 :: v_dual_mov_b32 v157, v145
	;; [unrolled: 1-line block ×12, first 2 shown]
	v_mov_b32_e32 v55, v54
.LBB178_87:
	s_or_b32 exec_lo, exec_lo, s2
	v_mov_b32_e32 v40, v6
	s_mov_b32 s2, exec_lo
	v_cmpx_lt_f32_e32 v39, v6
	s_cbranch_execz .LBB178_89
; %bb.88:
	v_mov_b32_e32 v163, v56
	v_dual_mov_b32 v75, v159 :: v_dual_mov_b32 v80, v164
	v_dual_mov_b32 v80, v55 :: v_dual_mov_b32 v81, v165
	;; [unrolled: 1-line block ×7, first 2 shown]
	v_mov_b32_e32 v85, v169
	v_dual_mov_b32 v89, v149 :: v_dual_mov_b32 v92, v152
	v_dual_mov_b32 v91, v151 :: v_dual_mov_b32 v94, v154
	;; [unrolled: 1-line block ×6, first 2 shown]
	v_mov_b32_e32 v88, v148
	v_mov_b32_e32 v6, v39
	s_delay_alu instid0(VALU_DEP_3) | instskip(NEXT) | instid1(VALU_DEP_3)
	v_dual_mov_b32 v13, v75 :: v_dual_mov_b32 v14, v76
	v_dual_mov_b32 v25, v87 :: v_dual_mov_b32 v26, v88
	;; [unrolled: 1-line block ×30, first 2 shown]
	v_mov_b32_e32 v40, v39
	v_mov_b32_e32 v68, v67
	;; [unrolled: 1-line block ×3, first 2 shown]
.LBB178_89:
	s_or_b32 exec_lo, exec_lo, s2
	v_mov_b32_e32 v39, v7
	s_mov_b32 s2, exec_lo
	v_cmpx_lt_f32_e32 v40, v7
	s_cbranch_execz .LBB178_91
; %bb.90:
	v_mov_b32_e32 v116, v57
	v_dual_mov_b32 v6, v7 :: v_dual_mov_b32 v7, v40
	v_dual_mov_b32 v104, v69 :: v_dual_mov_b32 v13, v111
	v_mov_b32_e32 v22, v120
	v_dual_mov_b32 v22, v38 :: v_dual_mov_b32 v25, v99
	v_mov_b32_e32 v34, v108
	v_dual_mov_b32 v34, v37 :: v_dual_mov_b32 v87, v99
	v_dual_mov_b32 v16, v114 :: v_dual_mov_b32 v19, v117
	;; [unrolled: 1-line block ×12, first 2 shown]
	v_mov_b32_e32 v23, v61
	v_dual_mov_b32 v21, v59 :: v_dual_mov_b32 v24, v62
	v_dual_mov_b32 v27, v101 :: v_dual_mov_b32 v26, v100
	;; [unrolled: 1-line block ×3, first 2 shown]
	v_mov_b32_e32 v35, v73
	v_dual_mov_b32 v33, v71 :: v_dual_mov_b32 v36, v74
	v_dual_mov_b32 v89, v101 :: v_dual_mov_b32 v88, v100
	;; [unrolled: 1-line block ×9, first 2 shown]
	v_mov_b32_e32 v39, v40
	v_mov_b32_e32 v69, v68
	v_dual_mov_b32 v57, v56 :: v_dual_mov_b32 v94, v106
	v_dual_mov_b32 v97, v109 :: v_dual_mov_b32 v82, v118
	;; [unrolled: 1-line block ×3, first 2 shown]
.LBB178_91:
	s_or_b32 exec_lo, exec_lo, s2
	v_mov_b32_e32 v40, v8
	s_mov_b32 s2, exec_lo
	v_cmpx_lt_f32_e32 v39, v8
	s_cbranch_execz .LBB178_93
; %bb.92:
	v_dual_mov_b32 v81, v58 :: v_dual_mov_b32 v82, v57
	v_dual_mov_b32 v83, v59 :: v_dual_mov_b32 v84, v38
	;; [unrolled: 1-line block ×19, first 2 shown]
	v_mov_b32_e32 v40, v39
.LBB178_93:
	s_or_b32 exec_lo, exec_lo, s2
	s_delay_alu instid0(VALU_DEP_1)
	v_cmp_lt_f32_e32 vcc_lo, v40, v9
	v_dual_mov_b32 v38, v2 :: v_dual_mov_b32 v41, v5
	v_dual_mov_b32 v42, v6 :: v_dual_mov_b32 v47, v11
	v_dual_cndmask_b32 v145, v33, v32 :: v_dual_cndmask_b32 v32, v32, v33
	v_dual_cndmask_b32 v146, v21, v20 :: v_dual_mov_b32 v39, v3
	v_dual_cndmask_b32 v20, v20, v21 :: v_dual_cndmask_b32 v45, v9, v40
	v_dual_cndmask_b32 v44, v8, v9 :: v_dual_mov_b32 v37, v1
	v_dual_mov_b32 v40, v4 :: v_dual_mov_b32 v43, v7
	v_mov_b32_e32 v46, v10
	v_mov_b32_e32 v48, v12
	s_mov_b32 s2, exec_lo
	v_cmpx_lt_f32_e32 v1, v2
	s_cbranch_execz .LBB178_95
; %bb.94:
	v_dual_mov_b32 v49, v38 :: v_dual_mov_b32 v50, v37
	v_dual_mov_b32 v51, v39 :: v_dual_mov_b32 v52, v40
	v_dual_mov_b32 v53, v41 :: v_dual_mov_b32 v54, v42
	v_dual_mov_b32 v55, v43 :: v_dual_mov_b32 v56, v44
	v_dual_mov_b32 v57, v45 :: v_dual_mov_b32 v58, v46
	v_dual_mov_b32 v59, v47 :: v_dual_mov_b32 v60, v48
	v_mov_b32_e32 v3, v25
	v_mov_b32_e32 v4, v13
	v_dual_mov_b32 v37, v49 :: v_dual_mov_b32 v40, v52
	v_swap_b32 v25, v26
	v_swap_b32 v13, v14
	v_dual_mov_b32 v38, v50 :: v_dual_mov_b32 v39, v51
	v_dual_mov_b32 v41, v53 :: v_dual_mov_b32 v42, v54
	;; [unrolled: 1-line block ×5, first 2 shown]
	v_mov_b32_e32 v2, v1
.LBB178_95:
	s_or_b32 exec_lo, exec_lo, s2
	v_mov_b32_e32 v21, v146
	v_dual_mov_b32 v33, v145 :: v_dual_mov_b32 v60, v24
	v_dual_mov_b32 v72, v36 :: v_dual_mov_b32 v61, v25
	;; [unrolled: 1-line block ×43, first 2 shown]
	v_mov_b32_e32 v97, v13
	v_mov_b32_e32 v1, v39
	s_mov_b32 s2, exec_lo
	v_dual_mov_b32 v95, v35 :: v_dual_mov_b32 v94, v34
	v_dual_mov_b32 v93, v33 :: v_dual_mov_b32 v92, v32
	;; [unrolled: 1-line block ×5, first 2 shown]
	v_cmpx_lt_f32_e32 v2, v39
	s_cbranch_execz .LBB178_97
; %bb.96:
	v_dual_mov_b32 v108, v24 :: v_dual_mov_b32 v107, v23
	v_dual_mov_b32 v98, v14 :: v_dual_mov_b32 v97, v13
	v_mov_b32_e32 v98, v15
	v_dual_mov_b32 v104, v20 :: v_dual_mov_b32 v103, v19
	v_dual_mov_b32 v100, v16 :: v_dual_mov_b32 v99, v15
	;; [unrolled: 1-line block ×26, first 2 shown]
	v_mov_b32_e32 v84, v144
	v_dual_mov_b32 v74, v134 :: v_dual_mov_b32 v77, v137
	v_mov_b32_e32 v75, v135
	v_dual_mov_b32 v38, v39 :: v_dual_mov_b32 v85, v121
	v_dual_mov_b32 v76, v136 :: v_dual_mov_b32 v79, v139
	v_dual_mov_b32 v78, v138 :: v_dual_mov_b32 v81, v141
	v_dual_mov_b32 v82, v142 :: v_dual_mov_b32 v77, v17
	v_dual_mov_b32 v88, v124 :: v_dual_mov_b32 v89, v125
	v_dual_mov_b32 v90, v126 :: v_dual_mov_b32 v91, v127
	v_dual_mov_b32 v92, v128 :: v_dual_mov_b32 v93, v129
	v_dual_mov_b32 v94, v130 :: v_dual_mov_b32 v95, v131
	v_dual_mov_b32 v96, v132 :: v_dual_mov_b32 v89, v29
	v_dual_mov_b32 v86, v122 :: v_dual_mov_b32 v87, v123
	v_mov_b32_e32 v39, v2
	v_dual_mov_b32 v49, v73 :: v_dual_mov_b32 v50, v74
	v_dual_mov_b32 v59, v83 :: v_dual_mov_b32 v60, v84
	;; [unrolled: 1-line block ×18, first 2 shown]
	v_mov_b32_e32 v70, v34
	v_dual_mov_b32 v72, v36 :: v_dual_mov_b32 v1, v2
	v_mov_b32_e32 v27, v26
	v_mov_b32_e32 v15, v14
.LBB178_97:
	s_or_b32 exec_lo, exec_lo, s2
	v_mov_b32_e32 v2, v40
	s_mov_b32 s2, exec_lo
	v_cmpx_lt_f32_e32 v1, v40
	s_cbranch_execz .LBB178_99
; %bb.98:
	v_mov_b32_e32 v99, v16
	v_mov_b32_e32 v144, v108
	;; [unrolled: 1-line block ×3, first 2 shown]
	v_dual_mov_b32 v136, v15 :: v_dual_mov_b32 v111, v28
	v_dual_mov_b32 v142, v106 :: v_dual_mov_b32 v133, v97
	;; [unrolled: 1-line block ×4, first 2 shown]
	v_mov_b32_e32 v135, v99
	v_dual_mov_b32 v125, v113 :: v_dual_mov_b32 v124, v112
	v_mov_b32_e32 v143, v107
	v_dual_mov_b32 v141, v105 :: v_dual_mov_b32 v140, v104
	v_dual_mov_b32 v139, v103 :: v_dual_mov_b32 v138, v102
	;; [unrolled: 1-line block ×18, first 2 shown]
	v_mov_b32_e32 v95, v131
	v_dual_mov_b32 v89, v29 :: v_dual_mov_b32 v88, v124
	v_dual_mov_b32 v49, v73 :: v_dual_mov_b32 v54, v78
	v_mov_b32_e32 v50, v74
	v_dual_mov_b32 v52, v76 :: v_dual_mov_b32 v61, v85
	s_delay_alu instid0(VALU_DEP_4)
	v_dual_mov_b32 v64, v88 :: v_dual_mov_b32 v51, v75
	v_dual_mov_b32 v56, v80 :: v_dual_mov_b32 v53, v77
	;; [unrolled: 1-line block ×12, first 2 shown]
	v_mov_b32_e32 v58, v22
	v_dual_mov_b32 v57, v146 :: v_dual_mov_b32 v60, v24
	v_dual_mov_b32 v59, v23 :: v_dual_mov_b32 v62, v86
	;; [unrolled: 1-line block ×5, first 2 shown]
	v_mov_b32_e32 v2, v1
	v_mov_b32_e32 v28, v27
	;; [unrolled: 1-line block ×3, first 2 shown]
.LBB178_99:
	s_or_b32 exec_lo, exec_lo, s2
	v_mov_b32_e32 v1, v41
	s_mov_b32 s2, exec_lo
	v_cmpx_lt_f32_e32 v2, v41
	s_cbranch_execz .LBB178_101
; %bb.100:
	v_mov_b32_e32 v100, v17
	v_mov_b32_e32 v73, v97
	;; [unrolled: 1-line block ×3, first 2 shown]
	v_dual_mov_b32 v77, v16 :: v_dual_mov_b32 v78, v102
	v_dual_mov_b32 v112, v29 :: v_dual_mov_b32 v75, v99
	;; [unrolled: 1-line block ×3, first 2 shown]
	v_mov_b32_e32 v84, v108
	v_dual_mov_b32 v74, v98 :: v_dual_mov_b32 v85, v109
	v_mov_b32_e32 v86, v110
	v_dual_mov_b32 v76, v100 :: v_dual_mov_b32 v79, v103
	v_dual_mov_b32 v80, v104 :: v_dual_mov_b32 v81, v105
	;; [unrolled: 1-line block ×8, first 2 shown]
	v_mov_b32_e32 v49, v73
	v_dual_mov_b32 v89, v28 :: v_dual_mov_b32 v50, v74
	v_dual_mov_b32 v59, v83 :: v_dual_mov_b32 v60, v84
	;; [unrolled: 1-line block ×32, first 2 shown]
	v_mov_b32_e32 v17, v16
.LBB178_101:
	s_or_b32 exec_lo, exec_lo, s2
	v_mov_b32_e32 v2, v42
	s_mov_b32 s2, exec_lo
	v_cmpx_lt_f32_e32 v1, v42
	s_cbranch_execz .LBB178_103
; %bb.102:
	v_mov_b32_e32 v137, v18
	v_mov_b32_e32 v125, v30
	v_dual_mov_b32 v41, v42 :: v_dual_mov_b32 v42, v1
	v_dual_mov_b32 v49, v133 :: v_dual_mov_b32 v50, v134
	;; [unrolled: 1-line block ×13, first 2 shown]
	v_mov_b32_e32 v66, v29
	v_dual_mov_b32 v85, v121 :: v_dual_mov_b32 v86, v122
	v_dual_mov_b32 v73, v133 :: v_dual_mov_b32 v74, v134
	;; [unrolled: 1-line block ×4, first 2 shown]
	v_mov_b32_e32 v64, v124
	v_dual_mov_b32 v58, v22 :: v_dual_mov_b32 v59, v23
	v_dual_mov_b32 v67, v31 :: v_dual_mov_b32 v68, v32
	;; [unrolled: 1-line block ×8, first 2 shown]
	v_mov_b32_e32 v2, v1
	v_mov_b32_e32 v30, v29
	v_dual_mov_b32 v18, v17 :: v_dual_mov_b32 v91, v127
	v_dual_mov_b32 v92, v128 :: v_dual_mov_b32 v93, v129
	;; [unrolled: 1-line block ×6, first 2 shown]
	v_mov_b32_e32 v84, v144
.LBB178_103:
	s_or_b32 exec_lo, exec_lo, s2
	v_mov_b32_e32 v1, v43
	s_mov_b32 s2, exec_lo
	v_cmpx_lt_f32_e32 v2, v43
	s_cbranch_execz .LBB178_105
; %bb.104:
	v_dual_mov_b32 v94, v34 :: v_dual_mov_b32 v95, v35
	v_dual_mov_b32 v78, v19 :: v_dual_mov_b32 v79, v18
	;; [unrolled: 1-line block ×6, first 2 shown]
	v_mov_b32_e32 v96, v36
	v_dual_mov_b32 v42, v43 :: v_dual_mov_b32 v43, v2
	v_dual_mov_b32 v84, v24 :: v_dual_mov_b32 v61, v85
	;; [unrolled: 1-line block ×14, first 2 shown]
.LBB178_105:
	s_or_b32 exec_lo, exec_lo, s2
	s_delay_alu instid0(VALU_DEP_1)
	v_cmp_lt_f32_e32 vcc_lo, v1, v44
	v_dual_mov_b32 v3, v39 :: v_dual_mov_b32 v10, v46
	v_dual_mov_b32 v5, v41 :: v_dual_mov_b32 v12, v48
	v_dual_cndmask_b32 v121, v68, v67 :: v_dual_mov_b32 v2, v38
	v_dual_cndmask_b32 v67, v67, v68 :: v_dual_cndmask_b32 v122, v56, v55
	v_dual_cndmask_b32 v55, v55, v56 :: v_dual_cndmask_b32 v8, v44, v1
	v_dual_cndmask_b32 v7, v43, v44 :: v_dual_mov_b32 v4, v40
	v_dual_mov_b32 v1, v37 :: v_dual_mov_b32 v6, v42
	v_mov_b32_e32 v9, v45
	v_mov_b32_e32 v11, v47
	s_mov_b32 s2, exec_lo
	v_cmpx_lt_f32_e32 v37, v38
	s_cbranch_execz .LBB178_107
; %bb.106:
	v_dual_mov_b32 v13, v2 :: v_dual_mov_b32 v14, v1
	v_dual_mov_b32 v15, v3 :: v_dual_mov_b32 v16, v4
	;; [unrolled: 1-line block ×6, first 2 shown]
	v_mov_b32_e32 v25, v61
	v_mov_b32_e32 v26, v49
	v_dual_mov_b32 v1, v13 :: v_dual_mov_b32 v4, v16
	v_swap_b32 v61, v62
	v_swap_b32 v49, v50
	v_dual_mov_b32 v2, v14 :: v_dual_mov_b32 v3, v15
	v_dual_mov_b32 v5, v17 :: v_dual_mov_b32 v6, v18
	;; [unrolled: 1-line block ×5, first 2 shown]
	v_mov_b32_e32 v38, v37
.LBB178_107:
	s_or_b32 exec_lo, exec_lo, s2
	v_mov_b32_e32 v56, v122
	v_mov_b32_e32 v68, v121
	;; [unrolled: 1-line block ×3, first 2 shown]
	v_dual_mov_b32 v27, v51 :: v_dual_mov_b32 v84, v72
	v_mov_b32_e32 v81, v69
	v_dual_mov_b32 v83, v71 :: v_dual_mov_b32 v96, v60
	v_dual_mov_b32 v91, v55 :: v_dual_mov_b32 v120, v72
	;; [unrolled: 1-line block ×31, first 2 shown]
	v_mov_b32_e32 v24, v60
	s_mov_b32 s2, exec_lo
	v_dual_mov_b32 v118, v70 :: v_dual_mov_b32 v115, v67
	v_dual_mov_b32 v116, v68 :: v_dual_mov_b32 v113, v65
	;; [unrolled: 1-line block ×3, first 2 shown]
	v_cmpx_lt_f32_e32 v38, v3
	s_cbranch_execz .LBB178_109
; %bb.108:
	v_dual_mov_b32 v13, v49 :: v_dual_mov_b32 v14, v50
	v_dual_mov_b32 v23, v59 :: v_dual_mov_b32 v24, v60
	;; [unrolled: 1-line block ×30, first 2 shown]
	v_mov_b32_e32 v112, v64
	v_dual_mov_b32 v34, v94 :: v_dual_mov_b32 v35, v95
	v_dual_mov_b32 v35, v59 :: v_dual_mov_b32 v34, v58
	;; [unrolled: 1-line block ×15, first 2 shown]
	v_mov_b32_e32 v81, v69
	v_dual_mov_b32 v80, v121 :: v_dual_mov_b32 v83, v71
	v_mov_b32_e32 v82, v70
	v_dual_mov_b32 v84, v72 :: v_dual_mov_b32 v37, v38
	v_mov_b32_e32 v63, v62
	v_mov_b32_e32 v51, v50
.LBB178_109:
	s_or_b32 exec_lo, exec_lo, s2
	v_mov_b32_e32 v38, v4
	s_mov_b32 s2, exec_lo
	v_cmpx_lt_f32_e32 v37, v4
	s_cbranch_execz .LBB178_111
; %bb.110:
	v_mov_b32_e32 v15, v52
	v_mov_b32_e32 v96, v24
	;; [unrolled: 1-line block ×3, first 2 shown]
	v_dual_mov_b32 v88, v51 :: v_dual_mov_b32 v99, v64
	v_dual_mov_b32 v94, v22 :: v_dual_mov_b32 v85, v13
	;; [unrolled: 1-line block ×3, first 2 shown]
	v_mov_b32_e32 v95, v23
	v_dual_mov_b32 v93, v21 :: v_dual_mov_b32 v92, v20
	v_dual_mov_b32 v91, v19 :: v_dual_mov_b32 v90, v18
	;; [unrolled: 1-line block ×7, first 2 shown]
	v_mov_b32_e32 v87, v15
	v_dual_mov_b32 v111, v99 :: v_dual_mov_b32 v110, v98
	v_dual_mov_b32 v112, v63 :: v_dual_mov_b32 v25, v85
	;; [unrolled: 1-line block ×3, first 2 shown]
	s_delay_alu instid0(VALU_DEP_3)
	v_dual_mov_b32 v74, v110 :: v_dual_mov_b32 v29, v89
	v_dual_mov_b32 v30, v90 :: v_dual_mov_b32 v31, v91
	;; [unrolled: 1-line block ×8, first 2 shown]
	v_mov_b32_e32 v84, v120
	v_dual_mov_b32 v3, v4 :: v_dual_mov_b32 v4, v37
	v_dual_mov_b32 v27, v87 :: v_dual_mov_b32 v28, v88
	v_dual_mov_b32 v29, v53 :: v_dual_mov_b32 v30, v54
	v_dual_mov_b32 v31, v55 :: v_dual_mov_b32 v32, v122
	v_dual_mov_b32 v33, v57 :: v_dual_mov_b32 v34, v58
	v_dual_mov_b32 v35, v59 :: v_dual_mov_b32 v36, v60
	v_dual_mov_b32 v75, v111 :: v_dual_mov_b32 v76, v112
	v_dual_mov_b32 v77, v65 :: v_dual_mov_b32 v78, v66
	v_dual_mov_b32 v79, v67 :: v_dual_mov_b32 v80, v121
	v_dual_mov_b32 v81, v69 :: v_dual_mov_b32 v82, v70
	v_dual_mov_b32 v83, v71 :: v_dual_mov_b32 v84, v72
	v_mov_b32_e32 v38, v37
	v_mov_b32_e32 v64, v63
	;; [unrolled: 1-line block ×3, first 2 shown]
.LBB178_111:
	s_or_b32 exec_lo, exec_lo, s2
	v_mov_b32_e32 v16, v5
	s_mov_b32 s2, exec_lo
	v_cmpx_lt_f32_e32 v38, v5
	s_cbranch_execz .LBB178_113
; %bb.112:
	v_mov_b32_e32 v100, v65
	v_mov_b32_e32 v16, v53
	v_dual_mov_b32 v4, v5 :: v_dual_mov_b32 v5, v38
	v_dual_mov_b32 v36, v24 :: v_dual_mov_b32 v33, v21
	;; [unrolled: 1-line block ×3, first 2 shown]
	v_mov_b32_e32 v31, v19
	v_dual_mov_b32 v35, v59 :: v_dual_mov_b32 v34, v58
	v_dual_mov_b32 v73, v97 :: v_dual_mov_b32 v32, v20
	;; [unrolled: 1-line block ×8, first 2 shown]
	v_mov_b32_e32 v77, v64
	v_dual_mov_b32 v84, v108 :: v_dual_mov_b32 v79, v67
	v_dual_mov_b32 v120, v108 :: v_dual_mov_b32 v115, v103
	;; [unrolled: 1-line block ×19, first 2 shown]
	v_mov_b32_e32 v88, v16
	v_dual_mov_b32 v86, v14 :: v_dual_mov_b32 v65, v64
	v_dual_mov_b32 v16, v38 :: v_dual_mov_b32 v53, v52
	;; [unrolled: 1-line block ×3, first 2 shown]
.LBB178_113:
	s_or_b32 exec_lo, exec_lo, s2
	v_mov_b32_e32 v13, v6
	s_mov_b32 s2, exec_lo
	v_cmpx_lt_f32_e32 v16, v6
	s_cbranch_execz .LBB178_115
; %bb.114:
	v_dual_mov_b32 v89, v54 :: v_dual_mov_b32 v90, v53
	v_dual_mov_b32 v91, v55 :: v_dual_mov_b32 v92, v122
	;; [unrolled: 1-line block ×21, first 2 shown]
	v_mov_b32_e32 v13, v16
.LBB178_115:
	s_or_b32 exec_lo, exec_lo, s2
	s_delay_alu instid0(VALU_DEP_1)
	v_cmp_lt_f32_e32 vcc_lo, v13, v7
	v_dual_mov_b32 v14, v2 :: v_dual_mov_b32 v17, v5
	v_dual_mov_b32 v16, v4 :: v_dual_mov_b32 v21, v9
	v_dual_cndmask_b32 v37, v79, v78 :: v_dual_cndmask_b32 v78, v78, v79
	v_cndmask_b32_e32 v38, v31, v30, vcc_lo
	v_dual_cndmask_b32 v30, v30, v31 :: v_dual_cndmask_b32 v19, v7, v13
	v_dual_cndmask_b32 v18, v6, v7 :: v_dual_mov_b32 v15, v3
	v_dual_mov_b32 v13, v1 :: v_dual_mov_b32 v20, v8
	v_dual_mov_b32 v23, v11 :: v_dual_mov_b32 v22, v10
	v_mov_b32_e32 v24, v12
	s_mov_b32 s2, exec_lo
	v_cmpx_lt_f32_e32 v1, v2
	s_cbranch_execz .LBB178_117
; %bb.116:
	v_dual_mov_b32 v2, v14 :: v_dual_mov_b32 v3, v13
	v_dual_mov_b32 v12, v23 :: v_dual_mov_b32 v13, v24
	;; [unrolled: 1-line block ×6, first 2 shown]
	v_mov_b32_e32 v24, v13
	v_mov_b32_e32 v31, v73
	v_dual_mov_b32 v39, v25 :: v_dual_mov_b32 v18, v7
	v_swap_b32 v73, v74
	v_swap_b32 v25, v26
	v_dual_mov_b32 v23, v12 :: v_dual_mov_b32 v20, v9
	v_dual_mov_b32 v22, v11 :: v_dual_mov_b32 v21, v10
	;; [unrolled: 1-line block ×4, first 2 shown]
	v_mov_b32_e32 v15, v4
	v_dual_mov_b32 v13, v2 :: v_dual_mov_b32 v2, v1
.LBB178_117:
	s_or_b32 exec_lo, exec_lo, s2
	v_mov_b32_e32 v31, v38
	v_dual_mov_b32 v79, v37 :: v_dual_mov_b32 v50, v36
	v_dual_mov_b32 v51, v73 :: v_dual_mov_b32 v52, v74
	;; [unrolled: 1-line block ×24, first 2 shown]
	v_mov_b32_e32 v85, v25
	v_mov_b32_e32 v1, v15
	s_mov_b32 s2, exec_lo
	v_cmpx_lt_f32_e32 v2, v15
	s_cbranch_execz .LBB178_119
; %bb.118:
	v_dual_mov_b32 v96, v36 :: v_dual_mov_b32 v95, v35
	v_dual_mov_b32 v86, v26 :: v_dual_mov_b32 v85, v25
	;; [unrolled: 1-line block ×8, first 2 shown]
	v_mov_b32_e32 v105, v81
	v_dual_mov_b32 v43, v89 :: v_dual_mov_b32 v44, v90
	v_dual_mov_b32 v100, v76 :: v_dual_mov_b32 v97, v73
	;; [unrolled: 1-line block ×6, first 2 shown]
	v_mov_b32_e32 v98, v74
	v_dual_mov_b32 v98, v75 :: v_dual_mov_b32 v99, v74
	v_dual_mov_b32 v49, v95 :: v_dual_mov_b32 v50, v96
	;; [unrolled: 1-line block ×12, first 2 shown]
	v_mov_b32_e32 v40, v86
	v_dual_mov_b32 v42, v28 :: v_dual_mov_b32 v43, v29
	v_dual_mov_b32 v45, v38 :: v_dual_mov_b32 v46, v32
	;; [unrolled: 1-line block ×9, first 2 shown]
	v_mov_b32_e32 v75, v74
	v_mov_b32_e32 v27, v26
.LBB178_119:
	s_or_b32 exec_lo, exec_lo, s2
	v_mov_b32_e32 v2, v16
	s_mov_b32 s2, exec_lo
	v_cmpx_lt_f32_e32 v1, v16
	s_cbranch_execz .LBB178_121
; %bb.120:
	v_mov_b32_e32 v87, v28
	v_mov_b32_e32 v99, v76
	v_dual_mov_b32 v15, v16 :: v_dual_mov_b32 v16, v1
	v_dual_mov_b32 v39, v85 :: v_dual_mov_b32 v42, v88
	;; [unrolled: 1-line block ×13, first 2 shown]
	v_mov_b32_e32 v56, v78
	v_mov_b32_e32 v40, v86
	v_dual_mov_b32 v42, v27 :: v_dual_mov_b32 v43, v29
	v_dual_mov_b32 v45, v38 :: v_dual_mov_b32 v46, v32
	;; [unrolled: 1-line block ×8, first 2 shown]
	v_mov_b32_e32 v2, v1
	v_mov_b32_e32 v76, v75
	;; [unrolled: 1-line block ×3, first 2 shown]
.LBB178_121:
	s_or_b32 exec_lo, exec_lo, s2
	v_mov_b32_e32 v1, v17
	s_mov_b32 s2, exec_lo
	v_cmpx_lt_f32_e32 v2, v17
	s_cbranch_execz .LBB178_123
; %bb.122:
	v_dual_mov_b32 v106, v82 :: v_dual_mov_b32 v107, v83
	v_dual_mov_b32 v88, v29 :: v_dual_mov_b32 v89, v28
	;; [unrolled: 1-line block ×8, first 2 shown]
	v_mov_b32_e32 v108, v84
	v_dual_mov_b32 v16, v17 :: v_dual_mov_b32 v17, v2
	v_dual_mov_b32 v96, v36 :: v_dual_mov_b32 v51, v97
	;; [unrolled: 1-line block ×14, first 2 shown]
.LBB178_123:
	s_or_b32 exec_lo, exec_lo, s2
	s_delay_alu instid0(VALU_DEP_1)
	v_cmp_lt_f32_e32 vcc_lo, v1, v18
	v_dual_mov_b32 v27, v13 :: v_dual_mov_b32 v34, v20
	v_dual_mov_b32 v29, v15 :: v_dual_mov_b32 v36, v22
	v_dual_cndmask_b32 v63, v56, v55 :: v_dual_cndmask_b32 v32, v18, v1
	v_dual_cndmask_b32 v55, v55, v56 :: v_dual_cndmask_b32 v64, v44, v43
	v_dual_cndmask_b32 v43, v43, v44 :: v_dual_mov_b32 v28, v14
	v_dual_cndmask_b32 v31, v17, v18 :: v_dual_mov_b32 v30, v16
	v_dual_mov_b32 v33, v19 :: v_dual_mov_b32 v38, v24
	v_mov_b32_e32 v35, v21
	v_mov_b32_e32 v37, v23
	s_mov_b32 s2, exec_lo
	v_cmpx_lt_f32_e32 v13, v14
	s_cbranch_execz .LBB178_125
; %bb.124:
	s_delay_alu instid0(VALU_DEP_2)
	v_dual_mov_b32 v11, v37 :: v_dual_mov_b32 v12, v38
	v_dual_mov_b32 v1, v28 :: v_dual_mov_b32 v2, v27
	;; [unrolled: 1-line block ×7, first 2 shown]
	s_delay_alu instid0(VALU_DEP_2)
	v_dual_mov_b32 v16, v39 :: v_dual_mov_b32 v35, v9
	v_swap_b32 v51, v52
	v_swap_b32 v39, v40
	v_dual_mov_b32 v37, v11 :: v_dual_mov_b32 v36, v10
	v_dual_mov_b32 v34, v8 :: v_dual_mov_b32 v33, v7
	;; [unrolled: 1-line block ×5, first 2 shown]
	v_mov_b32_e32 v14, v13
.LBB178_125:
	s_or_b32 exec_lo, exec_lo, s2
	v_mov_b32_e32 v44, v64
	v_mov_b32_e32 v56, v63
	;; [unrolled: 1-line block ×4, first 2 shown]
	v_dual_mov_b32 v15, v51 :: v_dual_mov_b32 v2, v40
	v_dual_mov_b32 v16, v52 :: v_dual_mov_b32 v17, v53
	;; [unrolled: 1-line block ×11, first 2 shown]
	v_mov_b32_e32 v12, v50
	s_mov_b32 s2, exec_lo
	v_cmpx_lt_f32_e32 v14, v29
	s_cbranch_execz .LBB178_127
; %bb.126:
	v_dual_mov_b32 v1, v39 :: v_dual_mov_b32 v2, v40
	v_dual_mov_b32 v11, v49 :: v_dual_mov_b32 v12, v50
	;; [unrolled: 1-line block ×25, first 2 shown]
	v_mov_b32_e32 v41, v40
.LBB178_127:
	s_or_b32 exec_lo, exec_lo, s2
	v_mov_b32_e32 v39, v30
	s_mov_b32 s2, exec_lo
	v_cmpx_lt_f32_e32 v13, v30
	s_cbranch_execz .LBB178_129
; %bb.128:
	v_dual_mov_b32 v29, v30 :: v_dual_mov_b32 v30, v13
	v_dual_mov_b32 v3, v42 :: v_dual_mov_b32 v4, v41
	;; [unrolled: 1-line block ×11, first 2 shown]
	v_mov_b32_e32 v39, v13
.LBB178_129:
	s_or_b32 exec_lo, exec_lo, s2
	s_delay_alu instid0(VALU_DEP_1)
	v_cmp_lt_f32_e32 vcc_lo, v39, v31
	v_dual_mov_b32 v40, v28 :: v_dual_mov_b32 v45, v33
	v_dual_mov_b32 v44, v32 :: v_dual_mov_b32 v47, v35
	v_dual_cndmask_b32 v13, v19, v18 :: v_dual_cndmask_b32 v18, v18, v19
	v_dual_cndmask_b32 v14, v5, v4 :: v_dual_cndmask_b32 v43, v31, v39
	v_dual_cndmask_b32 v4, v4, v5 :: v_dual_mov_b32 v39, v27
	v_dual_cndmask_b32 v42, v30, v31 :: v_dual_mov_b32 v41, v29
	v_dual_mov_b32 v46, v34 :: v_dual_mov_b32 v49, v37
	v_mov_b32_e32 v48, v36
	v_mov_b32_e32 v50, v38
	s_mov_b32 s2, exec_lo
	v_cmpx_lt_f32_e32 v27, v28
	s_cbranch_execz .LBB178_131
; %bb.130:
	v_dual_mov_b32 v28, v40 :: v_dual_mov_b32 v29, v39
	v_dual_mov_b32 v38, v49 :: v_dual_mov_b32 v39, v50
	;; [unrolled: 1-line block ×7, first 2 shown]
	v_mov_b32_e32 v5, v15
	v_swap_b32 v15, v16
	s_delay_alu instid0(VALU_DEP_4)
	v_mov_b32_e32 v48, v37
	v_swap_b32 v1, v2
	v_dual_mov_b32 v49, v38 :: v_dual_mov_b32 v46, v35
	v_dual_mov_b32 v47, v36 :: v_dual_mov_b32 v44, v33
	;; [unrolled: 1-line block ×4, first 2 shown]
	v_mov_b32_e32 v41, v30
	v_dual_mov_b32 v39, v28 :: v_dual_mov_b32 v28, v27
.LBB178_131:
	s_or_b32 exec_lo, exec_lo, s2
	v_mov_b32_e32 v5, v14
	v_mov_b32_e32 v19, v13
	;; [unrolled: 1-line block ×3, first 2 shown]
	s_mov_b32 s2, exec_lo
	v_cmpx_lt_f32_e32 v28, v41
	s_cbranch_execz .LBB178_133
; %bb.132:
	v_dual_mov_b32 v74, v26 :: v_dual_mov_b32 v73, v25
	v_dual_mov_b32 v62, v12 :: v_dual_mov_b32 v61, v11
	;; [unrolled: 1-line block ×22, first 2 shown]
	v_mov_b32_e32 v74, v26
	v_dual_mov_b32 v40, v41 :: v_dual_mov_b32 v41, v28
	v_dual_mov_b32 v62, v12 :: v_dual_mov_b32 v15, v63
	v_dual_mov_b32 v24, v72 :: v_dual_mov_b32 v1, v51
	v_dual_mov_b32 v16, v64 :: v_dual_mov_b32 v17, v65
	v_dual_mov_b32 v18, v66 :: v_dual_mov_b32 v21, v69
	v_dual_mov_b32 v19, v67 :: v_dual_mov_b32 v20, v68
	v_dual_mov_b32 v23, v71 :: v_dual_mov_b32 v22, v70
	v_dual_mov_b32 v25, v73 :: v_dual_mov_b32 v26, v74
	v_dual_mov_b32 v3, v53 :: v_dual_mov_b32 v2, v52
	v_dual_mov_b32 v5, v55 :: v_dual_mov_b32 v4, v54
	v_dual_mov_b32 v7, v57 :: v_dual_mov_b32 v6, v56
	v_dual_mov_b32 v9, v59 :: v_dual_mov_b32 v8, v58
	v_dual_mov_b32 v11, v61 :: v_dual_mov_b32 v10, v60
	v_dual_mov_b32 v12, v62 :: v_dual_mov_b32 v27, v28
.LBB178_133:
	s_or_b32 exec_lo, exec_lo, s2
	s_delay_alu instid0(VALU_DEP_1)
	v_cmp_lt_f32_e32 vcc_lo, v27, v42
	v_dual_mov_b32 v28, v23 :: v_dual_mov_b32 v29, v24
	v_dual_mov_b32 v30, v25 :: v_dual_mov_b32 v31, v26
	v_dual_cndmask_b32 v13, v18, v17 :: v_dual_cndmask_b32 v14, v4, v3
	v_dual_cndmask_b32 v51, v17, v18 :: v_dual_cndmask_b32 v56, v3, v4
	;; [unrolled: 1-line block ×3, first 2 shown]
	v_cmp_lt_f32_e32 vcc_lo, v39, v40
	v_dual_mov_b32 v4, v19 :: v_dual_mov_b32 v17, v20
	v_dual_mov_b32 v18, v21 :: v_dual_mov_b32 v27, v22
	;; [unrolled: 1-line block ×10, first 2 shown]
	v_mov_b32_e32 v59, v50
	s_and_saveexec_b32 s2, vcc_lo
	s_cbranch_execz .LBB178_135
; %bb.134:
	v_dual_mov_b32 v42, v40 :: v_dual_mov_b32 v27, v22
	v_dual_mov_b32 v4, v15 :: v_dual_mov_b32 v17, v20
	;; [unrolled: 1-line block ×3, first 2 shown]
	v_swap_b32 v15, v16
	v_swap_b32 v1, v2
	v_dual_mov_b32 v40, v39 :: v_dual_mov_b32 v29, v24
	v_dual_mov_b32 v4, v19 :: v_dual_mov_b32 v31, v26
	;; [unrolled: 1-line block ×11, first 2 shown]
	v_mov_b32_e32 v54, v46
	v_mov_b32_e32 v58, v49
.LBB178_135:
	s_or_b32 exec_lo, exec_lo, s2
	s_clause 0x1
	s_load_b32 s8, s[0:1], 0x28
	s_load_b128 s[4:7], s[0:1], 0x10
	s_waitcnt lgkmcnt(0)
	s_cmp_lt_i32 s8, 1
	s_cbranch_scc1 .LBB178_141
; %bb.136:
	v_cmp_lt_f32_e32 vcc_lo, v40, v60
	v_dual_mov_b32 v7, 0 :: v_dual_mov_b32 v6, 0
	s_mov_b32 s9, 0x76543210
	s_mov_b32 s10, s8
	v_dual_cndmask_b32 v5, v56, v2 :: v_dual_cndmask_b32 v12, v61, v60
	v_dual_cndmask_b32 v10, v2, v56 :: v_dual_cndmask_b32 v19, v16, v51
	v_cndmask_b32_e32 v2, v60, v40, vcc_lo
	v_cndmask_b32_e32 v8, v51, v16, vcc_lo
	s_delay_alu instid0(VALU_DEP_4) | instskip(NEXT) | instid1(VALU_DEP_1)
	v_cmp_lt_f32_e64 s2, v39, v12
	v_cndmask_b32_e64 v9, v10, v1, s2
	v_cndmask_b32_e64 v10, v1, v10, s2
	;; [unrolled: 1-line block ×6, first 2 shown]
	v_mov_b32_e32 v19, v0
	v_mov_b32_e32 v1, 0
.LBB178_137:                            ; =>This Inner Loop Header: Depth=1
	v_cmp_eq_u32_e32 vcc_lo, 1, v7
	v_cmp_eq_u32_e64 s2, 2, v7
	v_cmp_gt_u32_e64 s3, 12, v7
	v_dual_cndmask_b32 v20, v12, v11 :: v_dual_cndmask_b32 v21, v10, v9
	s_delay_alu instid0(VALU_DEP_1) | instskip(NEXT) | instid1(VALU_DEP_2)
	v_cndmask_b32_e64 v20, v20, v2, s2
	v_cndmask_b32_e64 v21, v21, v5, s2
	v_cndmask_b32_e32 v22, v15, v16, vcc_lo
	v_cmp_eq_u32_e32 vcc_lo, 3, v7
	s_delay_alu instid0(VALU_DEP_3) | instskip(NEXT) | instid1(VALU_DEP_3)
	v_cndmask_b32_e32 v21, v21, v14, vcc_lo
	v_cndmask_b32_e64 v22, v22, v8, s2
	v_cmp_eq_u32_e64 s2, 4, v7
	s_delay_alu instid0(VALU_DEP_2) | instskip(NEXT) | instid1(VALU_DEP_2)
	v_cndmask_b32_e32 v22, v22, v13, vcc_lo
	v_cndmask_b32_e64 v21, v21, v32, s2
	v_cndmask_b32_e32 v20, v20, v3, vcc_lo
	v_cmp_eq_u32_e32 vcc_lo, 5, v7
	s_delay_alu instid0(VALU_DEP_4) | instskip(NEXT) | instid1(VALU_DEP_4)
	v_cndmask_b32_e64 v22, v22, v4, s2
	v_cndmask_b32_e32 v21, v21, v33, vcc_lo
	s_delay_alu instid0(VALU_DEP_4) | instskip(SKIP_1) | instid1(VALU_DEP_4)
	v_cndmask_b32_e64 v20, v20, v42, s2
	v_cmp_eq_u32_e64 s2, 6, v7
	v_cndmask_b32_e32 v22, v22, v17, vcc_lo
	s_delay_alu instid0(VALU_DEP_3) | instskip(SKIP_1) | instid1(VALU_DEP_4)
	v_cndmask_b32_e32 v20, v20, v52, vcc_lo
	v_cmp_eq_u32_e32 vcc_lo, 7, v7
	v_cndmask_b32_e64 v21, v21, v34, s2
	s_delay_alu instid0(VALU_DEP_4) | instskip(NEXT) | instid1(VALU_DEP_4)
	v_cndmask_b32_e64 v22, v22, v18, s2
	v_cndmask_b32_e64 v20, v20, v53, s2
	v_cmp_eq_u32_e64 s2, 8, v7
	s_delay_alu instid0(VALU_DEP_4) | instskip(NEXT) | instid1(VALU_DEP_4)
	v_cndmask_b32_e32 v21, v21, v35, vcc_lo
	v_cndmask_b32_e32 v22, v22, v27, vcc_lo
	s_delay_alu instid0(VALU_DEP_4) | instskip(SKIP_1) | instid1(VALU_DEP_4)
	v_cndmask_b32_e32 v20, v20, v54, vcc_lo
	v_cmp_eq_u32_e32 vcc_lo, 9, v7
	v_cndmask_b32_e64 v21, v21, v36, s2
	s_delay_alu instid0(VALU_DEP_4) | instskip(NEXT) | instid1(VALU_DEP_4)
	v_cndmask_b32_e64 v22, v22, v28, s2
	v_cndmask_b32_e64 v20, v20, v55, s2
	v_cmp_eq_u32_e64 s2, 10, v7
	s_delay_alu instid0(VALU_DEP_4) | instskip(NEXT) | instid1(VALU_DEP_4)
	v_cndmask_b32_e32 v21, v21, v37, vcc_lo
	v_cndmask_b32_e32 v22, v22, v29, vcc_lo
	s_delay_alu instid0(VALU_DEP_4) | instskip(SKIP_1) | instid1(VALU_DEP_4)
	v_cndmask_b32_e32 v20, v20, v57, vcc_lo
	v_cmp_eq_u32_e32 vcc_lo, 11, v7
	v_cndmask_b32_e64 v21, v21, v38, s2
	s_delay_alu instid0(VALU_DEP_3) | instskip(NEXT) | instid1(VALU_DEP_1)
	v_cndmask_b32_e64 v20, v20, v58, s2
	v_dual_cndmask_b32 v21, v21, v41 :: v_dual_cndmask_b32 v20, v20, v59
	s_delay_alu instid0(VALU_DEP_1)
	v_cndmask_b32_e64 v20, 0xff800000, v20, s3
	;;#ASMSTART
	v_max_f32 v23, v20, v20 quad_perm:[1,0,3,2] row_mask:0xf bank_mask:0xf bound_ctrl:1
	;;#ASMEND
	;;#ASMSTART
	v_max_f32 v24, v23, v23 quad_perm:[2,3,0,1] row_mask:0xf bank_mask:0xf bound_ctrl:1
	;;#ASMEND
	;;#ASMSTART
	v_max_f32 v23, v24, v24 row_half_mirror row_mask:0xf bank_mask:0xf bound_ctrl:1
	;;#ASMEND
	;;#ASMSTART
	v_max_f32 v24, v23, v23 row_mirror row_mask:0xf bank_mask:0xf bound_ctrl:1
	;;#ASMEND
	v_permlanex16_b32 v23, v24, s9, 0xfedcba98 op_sel:[1,1]
	s_delay_alu instid0(VALU_DEP_1) | instskip(NEXT) | instid1(VALU_DEP_1)
	v_dual_max_f32 v24, v24, v24 :: v_dual_max_f32 v23, v23, v23
	v_max_f32_e32 v23, v24, v23
	v_cndmask_b32_e64 v22, v22, v30, s2
	s_delay_alu instid0(VALU_DEP_2) | instskip(SKIP_1) | instid1(VALU_DEP_2)
	v_cmp_eq_f32_e64 s2, v20, v23
	v_cndmask_b32_e64 v20, 0, v21, s3
	s_ctz_i32_b32 s11, s2
	s_cmp_lg_u32 s2, 0
	s_cselect_b32 s2, s11, 0
	s_add_i32 s10, s10, -1
	v_readlane_b32 s11, v20, s2
	v_cndmask_b32_e32 v20, v22, v31, vcc_lo
	s_delay_alu instid0(VALU_DEP_2)
	v_cmp_eq_u32_e32 vcc_lo, s11, v21
	s_and_b32 s2, s11, 31
	s_and_b32 vcc_lo, s3, vcc_lo
	s_cmp_eq_u32 s10, 0
	v_cndmask_b32_e32 v20, 0, v20, vcc_lo
	v_add_co_ci_u32_e32 v7, vcc_lo, 0, v7, vcc_lo
	s_delay_alu instid0(VALU_DEP_2) | instskip(SKIP_2) | instid1(VALU_DEP_2)
	v_readlane_b32 s3, v20, s2
	v_cmp_eq_u32_e64 s2, 0, v19
	v_add_nc_u32_e32 v19, -1, v19
	v_cndmask_b32_e64 v6, v6, s3, s2
	v_cndmask_b32_e64 v1, v1, s11, s2
	s_cbranch_scc0 .LBB178_137
; %bb.138:
	s_mov_b32 s2, exec_lo
	v_cmpx_gt_i32_e64 s8, v0
	s_cbranch_execz .LBB178_140
.LBB178_139:
	s_clause 0x1
	s_load_b64 s[2:3], s[0:1], 0x20
	s_load_b32 s8, s[0:1], 0x30
	s_ashr_i32 s0, s15, 31
	v_lshlrev_b32_e32 v0, 2, v0
	s_waitcnt lgkmcnt(0)
	s_mul_i32 s1, s15, s3
	s_mul_hi_u32 s3, s15, s2
	s_mul_i32 s0, s0, s2
	s_add_i32 s1, s3, s1
	v_mul_f32_e32 v2, s8, v6
	s_add_i32 s1, s1, s0
	s_mul_i32 s0, s15, s2
	s_delay_alu instid0(SALU_CYCLE_1) | instskip(NEXT) | instid1(SALU_CYCLE_1)
	s_lshl_b64 s[0:1], s[0:1], 2
	s_add_u32 s2, s4, s0
	s_addc_u32 s3, s5, s1
	s_add_u32 s0, s6, s0
	s_addc_u32 s1, s7, s1
	s_clause 0x1
	global_store_b32 v0, v2, s[2:3]
	global_store_b32 v0, v1, s[0:1]
.LBB178_140:
	s_endpgm
.LBB178_141:
	v_dual_mov_b32 v1, 0 :: v_dual_mov_b32 v6, 0
	s_mov_b32 s2, exec_lo
	v_cmpx_gt_i32_e64 s8, v0
	s_cbranch_execnz .LBB178_139
	s_branch .LBB178_140
	.section	.rodata,"a",@progbits
	.p2align	6, 0x0
	.amdhsa_kernel _ZN5aiter24topk_softplus_kernel_optI6__half12hip_bfloat16Li384ELb0ELi1EEEvPKT_PKT0_PfPimiif
		.amdhsa_group_segment_fixed_size 0
		.amdhsa_private_segment_fixed_size 196
		.amdhsa_kernarg_size 52
		.amdhsa_user_sgpr_count 15
		.amdhsa_user_sgpr_dispatch_ptr 0
		.amdhsa_user_sgpr_queue_ptr 0
		.amdhsa_user_sgpr_kernarg_segment_ptr 1
		.amdhsa_user_sgpr_dispatch_id 0
		.amdhsa_user_sgpr_private_segment_size 0
		.amdhsa_wavefront_size32 1
		.amdhsa_uses_dynamic_stack 0
		.amdhsa_enable_private_segment 1
		.amdhsa_system_sgpr_workgroup_id_x 1
		.amdhsa_system_sgpr_workgroup_id_y 0
		.amdhsa_system_sgpr_workgroup_id_z 0
		.amdhsa_system_sgpr_workgroup_info 0
		.amdhsa_system_vgpr_workitem_id 0
		.amdhsa_next_free_vgpr 183
		.amdhsa_next_free_sgpr 16
		.amdhsa_reserve_vcc 1
		.amdhsa_float_round_mode_32 0
		.amdhsa_float_round_mode_16_64 0
		.amdhsa_float_denorm_mode_32 3
		.amdhsa_float_denorm_mode_16_64 3
		.amdhsa_dx10_clamp 1
		.amdhsa_ieee_mode 1
		.amdhsa_fp16_overflow 0
		.amdhsa_workgroup_processor_mode 1
		.amdhsa_memory_ordered 1
		.amdhsa_forward_progress 0
		.amdhsa_shared_vgpr_count 0
		.amdhsa_exception_fp_ieee_invalid_op 0
		.amdhsa_exception_fp_denorm_src 0
		.amdhsa_exception_fp_ieee_div_zero 0
		.amdhsa_exception_fp_ieee_overflow 0
		.amdhsa_exception_fp_ieee_underflow 0
		.amdhsa_exception_fp_ieee_inexact 0
		.amdhsa_exception_int_div_zero 0
	.end_amdhsa_kernel
	.section	.text._ZN5aiter24topk_softplus_kernel_optI6__half12hip_bfloat16Li384ELb0ELi1EEEvPKT_PKT0_PfPimiif,"axG",@progbits,_ZN5aiter24topk_softplus_kernel_optI6__half12hip_bfloat16Li384ELb0ELi1EEEvPKT_PKT0_PfPimiif,comdat
.Lfunc_end178:
	.size	_ZN5aiter24topk_softplus_kernel_optI6__half12hip_bfloat16Li384ELb0ELi1EEEvPKT_PKT0_PfPimiif, .Lfunc_end178-_ZN5aiter24topk_softplus_kernel_optI6__half12hip_bfloat16Li384ELb0ELi1EEEvPKT_PKT0_PfPimiif
                                        ; -- End function
	.section	.AMDGPU.csdata,"",@progbits
; Kernel info:
; codeLenInByte = 28024
; NumSgprs: 18
; NumVgprs: 183
; ScratchSize: 196
; MemoryBound: 0
; FloatMode: 240
; IeeeMode: 1
; LDSByteSize: 0 bytes/workgroup (compile time only)
; SGPRBlocks: 2
; VGPRBlocks: 22
; NumSGPRsForWavesPerEU: 18
; NumVGPRsForWavesPerEU: 183
; Occupancy: 8
; WaveLimiterHint : 0
; COMPUTE_PGM_RSRC2:SCRATCH_EN: 1
; COMPUTE_PGM_RSRC2:USER_SGPR: 15
; COMPUTE_PGM_RSRC2:TRAP_HANDLER: 0
; COMPUTE_PGM_RSRC2:TGID_X_EN: 1
; COMPUTE_PGM_RSRC2:TGID_Y_EN: 0
; COMPUTE_PGM_RSRC2:TGID_Z_EN: 0
; COMPUTE_PGM_RSRC2:TIDIG_COMP_CNT: 0
	.section	.text._ZN5aiter20topk_softplus_kernelI6__half12hip_bfloat16Dv4_fLb1ELi1EEEvPKT_PKT0_PfPimiiif,"axG",@progbits,_ZN5aiter20topk_softplus_kernelI6__half12hip_bfloat16Dv4_fLb1ELi1EEEvPKT_PKT0_PfPimiiif,comdat
	.protected	_ZN5aiter20topk_softplus_kernelI6__half12hip_bfloat16Dv4_fLb1ELi1EEEvPKT_PKT0_PfPimiiif ; -- Begin function _ZN5aiter20topk_softplus_kernelI6__half12hip_bfloat16Dv4_fLb1ELi1EEEvPKT_PKT0_PfPimiiif
	.globl	_ZN5aiter20topk_softplus_kernelI6__half12hip_bfloat16Dv4_fLb1ELi1EEEvPKT_PKT0_PfPimiiif
	.p2align	8
	.type	_ZN5aiter20topk_softplus_kernelI6__half12hip_bfloat16Dv4_fLb1ELi1EEEvPKT_PKT0_PfPimiiif,@function
_ZN5aiter20topk_softplus_kernelI6__half12hip_bfloat16Dv4_fLb1ELi1EEEvPKT_PKT0_PfPimiiif: ; @_ZN5aiter20topk_softplus_kernelI6__half12hip_bfloat16Dv4_fLb1ELi1EEEvPKT_PKT0_PfPimiiif
; %bb.0:
	s_clause 0x1
	s_load_b64 s[12:13], s[0:1], 0x28
	s_load_b256 s[4:11], s[0:1], 0x0
	v_lshlrev_b32_e32 v11, 2, v0
	v_lshl_add_u32 v12, v0, 4, 0
	s_waitcnt lgkmcnt(0)
	s_ashr_i32 s2, s12, 31
	s_mul_i32 s16, s15, s12
	s_lshr_b32 s2, s2, 30
	s_ashr_i32 s17, s16, 31
	s_add_i32 s2, s12, s2
	s_delay_alu instid0(SALU_CYCLE_1) | instskip(NEXT) | instid1(SALU_CYCLE_1)
	s_ashr_i32 s14, s2, 2
	v_cmp_gt_i32_e64 s2, s14, v0
	s_delay_alu instid0(VALU_DEP_1)
	s_and_saveexec_b32 s18, s2
	s_cbranch_execz .LBB179_11
; %bb.1:
	s_load_b32 s3, s[0:1], 0x44
	s_cmp_lg_u64 s[6:7], 0
	v_dual_mov_b32 v6, 0 :: v_dual_lshlrev_b32 v1, 3, v0
	s_cselect_b32 s20, -1, 0
	v_dual_mov_b32 v14, v0 :: v_dual_lshlrev_b32 v5, 2, v0
	v_lshl_add_u32 v13, v0, 4, 0
	s_mov_b32 s19, 0
	s_mov_b32 s31, 0xbfb8aa3b
	s_waitcnt lgkmcnt(0)
	s_and_b32 s21, s3, 0xffff
	s_add_u32 s22, s6, 2
	s_addc_u32 s23, s7, 0
	s_add_u32 s24, s6, 4
	s_addc_u32 s25, s7, 0
	;; [unrolled: 2-line block ×3, first 2 shown]
	s_lshl_b64 s[28:29], s[16:17], 1
	s_delay_alu instid0(SALU_CYCLE_1) | instskip(SKIP_2) | instid1(VALU_DEP_1)
	s_add_u32 s3, s4, s28
	s_addc_u32 s29, s5, s29
	v_add_co_u32 v7, s3, s3, v1
	v_add_co_ci_u32_e64 v8, null, s29, 0, s3
	s_lshl_b32 s28, s21, 3
	s_lshl_b32 s29, s21, 2
	;; [unrolled: 1-line block ×3, first 2 shown]
	s_branch .LBB179_3
.LBB179_2:                              ;   in Loop: Header=BB179_3 Depth=1
	v_add_nc_u32_e32 v14, s21, v14
	v_add_co_u32 v7, s3, v7, s28
	ds_store_b128 v13, v[1:4]
	v_add_co_ci_u32_e64 v8, s3, 0, v8, s3
	v_cmp_le_i32_e32 vcc_lo, s14, v14
	v_add_nc_u32_e32 v5, s29, v5
	v_add_nc_u32_e32 v13, s30, v13
	s_or_b32 s19, vcc_lo, s19
	s_delay_alu instid0(SALU_CYCLE_1)
	s_and_not1_b32 exec_lo, exec_lo, s19
	s_cbranch_execz .LBB179_11
.LBB179_3:                              ; =>This Inner Loop Header: Depth=1
	global_load_b64 v[3:4], v[7:8], off
	v_lshlrev_b64 v[9:10], 1, v[5:6]
	s_waitcnt vmcnt(0)
	v_cvt_f32_f16_e32 v1, v3
	s_delay_alu instid0(VALU_DEP_1) | instskip(NEXT) | instid1(VALU_DEP_1)
	v_mul_f32_e32 v1, 0xbfb8aa3b, v1
	v_cmp_gt_f32_e32 vcc_lo, 0xc2fc0000, v1
	v_cndmask_b32_e64 v2, 0, 0x42800000, vcc_lo
	v_cndmask_b32_e64 v1, 1.0, 0x1f800000, vcc_lo
	s_and_not1_b32 vcc_lo, exec_lo, s20
	s_delay_alu instid0(VALU_DEP_2) | instskip(NEXT) | instid1(VALU_DEP_1)
	v_fma_mix_f32 v2, v3, s31, v2 op_sel_hi:[1,0,0]
	v_exp_f32_e32 v2, v2
	s_waitcnt_depctr 0xfff
	v_fma_f32 v1, v2, v1, 1.0
	s_delay_alu instid0(VALU_DEP_1)
	v_rcp_f32_e32 v1, v1
	s_cbranch_vccnz .LBB179_5
; %bb.4:                                ;   in Loop: Header=BB179_3 Depth=1
	v_add_co_u32 v15, vcc_lo, s6, v9
	v_add_co_ci_u32_e32 v16, vcc_lo, s7, v10, vcc_lo
	global_load_u16 v2, v[15:16], off
	s_waitcnt vmcnt(0)
	v_lshlrev_b32_e32 v2, 16, v2
	s_delay_alu instid0(VALU_DEP_1)
	v_add_f32_e32 v1, v1, v2
.LBB179_5:                              ;   in Loop: Header=BB179_3 Depth=1
	v_lshrrev_b32_e32 v2, 16, v3
	s_delay_alu instid0(VALU_DEP_1) | instskip(NEXT) | instid1(VALU_DEP_1)
	v_cvt_f32_f16_e32 v2, v2
	v_mul_f32_e32 v2, 0xbfb8aa3b, v2
	s_delay_alu instid0(VALU_DEP_1) | instskip(SKIP_3) | instid1(VALU_DEP_2)
	v_cmp_gt_f32_e32 vcc_lo, 0xc2fc0000, v2
	v_cndmask_b32_e64 v15, 0, 0x42800000, vcc_lo
	v_cndmask_b32_e64 v2, 1.0, 0x1f800000, vcc_lo
	s_and_not1_b32 vcc_lo, exec_lo, s20
	v_fma_mix_f32 v3, v3, s31, v15 op_sel:[1,0,0] op_sel_hi:[1,0,0]
	s_delay_alu instid0(VALU_DEP_1) | instskip(SKIP_2) | instid1(VALU_DEP_1)
	v_exp_f32_e32 v3, v3
	s_waitcnt_depctr 0xfff
	v_fma_f32 v2, v3, v2, 1.0
	v_rcp_f32_e32 v2, v2
	s_cbranch_vccnz .LBB179_7
; %bb.6:                                ;   in Loop: Header=BB179_3 Depth=1
	v_add_co_u32 v15, vcc_lo, s22, v9
	v_add_co_ci_u32_e32 v16, vcc_lo, s23, v10, vcc_lo
	global_load_u16 v3, v[15:16], off
	s_waitcnt vmcnt(0)
	v_lshlrev_b32_e32 v3, 16, v3
	s_delay_alu instid0(VALU_DEP_1)
	v_add_f32_e32 v2, v2, v3
.LBB179_7:                              ;   in Loop: Header=BB179_3 Depth=1
	v_cvt_f32_f16_e32 v3, v4
	s_delay_alu instid0(VALU_DEP_1) | instskip(NEXT) | instid1(VALU_DEP_1)
	v_mul_f32_e32 v3, 0xbfb8aa3b, v3
	v_cmp_gt_f32_e32 vcc_lo, 0xc2fc0000, v3
	v_cndmask_b32_e64 v15, 0, 0x42800000, vcc_lo
	v_cndmask_b32_e64 v3, 1.0, 0x1f800000, vcc_lo
	s_and_not1_b32 vcc_lo, exec_lo, s20
	s_delay_alu instid0(VALU_DEP_2) | instskip(NEXT) | instid1(VALU_DEP_1)
	v_fma_mix_f32 v15, v4, s31, v15 op_sel_hi:[1,0,0]
	v_exp_f32_e32 v15, v15
	s_waitcnt_depctr 0xfff
	v_fma_f32 v3, v15, v3, 1.0
	s_delay_alu instid0(VALU_DEP_1)
	v_rcp_f32_e32 v3, v3
	s_cbranch_vccnz .LBB179_9
; %bb.8:                                ;   in Loop: Header=BB179_3 Depth=1
	v_add_co_u32 v15, vcc_lo, s24, v9
	v_add_co_ci_u32_e32 v16, vcc_lo, s25, v10, vcc_lo
	global_load_u16 v15, v[15:16], off
	s_waitcnt vmcnt(0)
	v_lshlrev_b32_e32 v15, 16, v15
	s_delay_alu instid0(VALU_DEP_1)
	v_add_f32_e32 v3, v3, v15
.LBB179_9:                              ;   in Loop: Header=BB179_3 Depth=1
	v_lshrrev_b32_e32 v15, 16, v4
	s_delay_alu instid0(VALU_DEP_1) | instskip(NEXT) | instid1(VALU_DEP_1)
	v_cvt_f32_f16_e32 v15, v15
	v_mul_f32_e32 v15, 0xbfb8aa3b, v15
	s_delay_alu instid0(VALU_DEP_1) | instskip(SKIP_3) | instid1(VALU_DEP_2)
	v_cmp_gt_f32_e32 vcc_lo, 0xc2fc0000, v15
	v_cndmask_b32_e64 v16, 0, 0x42800000, vcc_lo
	v_cndmask_b32_e64 v15, 1.0, 0x1f800000, vcc_lo
	s_and_not1_b32 vcc_lo, exec_lo, s20
	v_fma_mix_f32 v4, v4, s31, v16 op_sel:[1,0,0] op_sel_hi:[1,0,0]
	s_delay_alu instid0(VALU_DEP_1) | instskip(SKIP_2) | instid1(VALU_DEP_1)
	v_exp_f32_e32 v4, v4
	s_waitcnt_depctr 0xfff
	v_fma_f32 v4, v4, v15, 1.0
	v_rcp_f32_e32 v4, v4
	s_cbranch_vccnz .LBB179_2
; %bb.10:                               ;   in Loop: Header=BB179_3 Depth=1
	v_add_co_u32 v9, vcc_lo, s26, v9
	v_add_co_ci_u32_e32 v10, vcc_lo, s27, v10, vcc_lo
	global_load_u16 v9, v[9:10], off
	s_waitcnt vmcnt(0)
	v_lshlrev_b32_e32 v9, 16, v9
	s_delay_alu instid0(VALU_DEP_1)
	v_add_f32_e32 v4, v4, v9
	s_branch .LBB179_2
.LBB179_11:
	s_or_b32 exec_lo, exec_lo, s18
	v_lshl_add_u32 v1, s14, 2, v0
	s_mov_b32 s3, exec_lo
	s_delay_alu instid0(VALU_DEP_1)
	v_cmpx_gt_i32_e64 s12, v1
	s_cbranch_execz .LBB179_16
; %bb.12:
	s_load_b32 s18, s[0:1], 0x44
	s_lshl_b64 s[16:17], s[16:17], 1
	v_lshlrev_b32_e32 v2, 2, v0
	s_add_u32 s4, s4, s16
	s_addc_u32 s5, s5, s17
	s_cmp_lg_u64 s[6:7], 0
	s_mov_b32 s20, 0xbfb8aa3b
	s_cselect_b32 s16, -1, 0
	s_lshl_b32 s17, s14, 4
	s_delay_alu instid0(SALU_CYCLE_1)
	v_add3_u32 v4, 0, s17, v2
	s_waitcnt lgkmcnt(0)
	s_and_b32 s17, s18, 0xffff
	s_mov_b32 s18, 0
	s_lshl_b32 s19, s17, 2
	s_set_inst_prefetch_distance 0x1
	s_branch .LBB179_14
	.p2align	6
.LBB179_13:                             ;   in Loop: Header=BB179_14 Depth=1
	v_add_nc_u32_e32 v1, s17, v1
	v_add_nc_u32_e32 v4, s19, v4
	s_delay_alu instid0(VALU_DEP_2) | instskip(SKIP_1) | instid1(SALU_CYCLE_1)
	v_cmp_le_i32_e32 vcc_lo, s12, v1
	s_or_b32 s18, vcc_lo, s18
	s_and_not1_b32 exec_lo, exec_lo, s18
	s_cbranch_execz .LBB179_16
.LBB179_14:                             ; =>This Inner Loop Header: Depth=1
	v_ashrrev_i32_e32 v2, 31, v1
	s_delay_alu instid0(VALU_DEP_1) | instskip(NEXT) | instid1(VALU_DEP_1)
	v_lshlrev_b64 v[2:3], 1, v[1:2]
	v_add_co_u32 v5, vcc_lo, s4, v2
	s_delay_alu instid0(VALU_DEP_2) | instskip(SKIP_3) | instid1(VALU_DEP_1)
	v_add_co_ci_u32_e32 v6, vcc_lo, s5, v3, vcc_lo
	global_load_u16 v5, v[5:6], off
	s_waitcnt vmcnt(0)
	v_cvt_f32_f16_e32 v6, v5
	v_mul_f32_e32 v6, 0xbfb8aa3b, v6
	s_delay_alu instid0(VALU_DEP_1) | instskip(SKIP_1) | instid1(VALU_DEP_1)
	v_cmp_gt_f32_e32 vcc_lo, 0xc2fc0000, v6
	v_cndmask_b32_e64 v6, 0, 0x42800000, vcc_lo
	v_fma_mix_f32 v5, v5, s20, v6 op_sel_hi:[1,0,0]
	v_cndmask_b32_e64 v6, 1.0, 0x1f800000, vcc_lo
	s_and_not1_b32 vcc_lo, exec_lo, s16
	s_delay_alu instid0(VALU_DEP_2) | instskip(SKIP_2) | instid1(VALU_DEP_1)
	v_exp_f32_e32 v5, v5
	s_waitcnt_depctr 0xfff
	v_fma_f32 v5, v5, v6, 1.0
	v_rcp_f32_e32 v5, v5
	ds_store_b32 v4, v5
	s_cbranch_vccnz .LBB179_13
; %bb.15:                               ;   in Loop: Header=BB179_14 Depth=1
	v_add_co_u32 v2, vcc_lo, s6, v2
	v_add_co_ci_u32_e32 v3, vcc_lo, s7, v3, vcc_lo
	global_load_u16 v2, v[2:3], off
	s_waitcnt vmcnt(0)
	v_lshlrev_b32_e32 v2, 16, v2
	s_delay_alu instid0(VALU_DEP_1)
	v_add_f32_e32 v2, v5, v2
	ds_store_b32 v4, v2
	s_branch .LBB179_13
.LBB179_16:
	s_set_inst_prefetch_distance 0x2
	s_or_b32 exec_lo, exec_lo, s3
	v_mov_b32_e32 v2, 0
	s_cmp_lt_i32 s13, 1
	s_waitcnt lgkmcnt(0)
	s_barrier
	buffer_gl0_inv
	s_cbranch_scc1 .LBB179_25
; %bb.17:
	s_add_u32 s4, s0, 56
	s_addc_u32 s5, s1, 0
	v_dual_mov_b32 v2, 0 :: v_dual_mov_b32 v5, 0xff800000
	v_dual_mov_b32 v4, 0 :: v_dual_mov_b32 v1, 0
	v_mov_b32_e32 v3, 0
	s_cmp_lg_u64 s[6:7], 0
	s_mov_b32 s18, 0
	s_cselect_b32 s12, -1, 0
	s_mov_b32 s19, 0x76543210
	s_branch .LBB179_19
.LBB179_18:                             ;   in Loop: Header=BB179_19 Depth=1
	v_cmp_eq_u32_e32 vcc_lo, s18, v0
	s_delay_alu instid0(VALU_DEP_2)
	s_lshl_b32 s3, s16, 2
	s_add_i32 s18, s18, 1
	s_add_i32 s3, s3, 0
	v_add_f32_e32 v3, v3, v8
	v_cndmask_b32_e64 v1, v1, s16, vcc_lo
	v_mov_b32_e32 v6, s3
	v_cndmask_b32_e32 v2, v2, v8, vcc_lo
	s_cmp_eq_u32 s18, s13
	ds_store_b32 v6, v5
	s_cbranch_scc1 .LBB179_26
.LBB179_19:                             ; =>This Loop Header: Depth=1
                                        ;     Child Loop BB179_21 Depth 2
	v_dual_mov_b32 v6, s18 :: v_dual_mov_b32 v7, 0xff800000
	s_and_saveexec_b32 s16, s2
	s_cbranch_execz .LBB179_23
; %bb.20:                               ;   in Loop: Header=BB179_19 Depth=1
	s_load_b32 s3, s[4:5], 0xc
	v_dual_mov_b32 v6, s18 :: v_dual_mov_b32 v7, 0xff800000
	v_dual_mov_b32 v8, v12 :: v_dual_mov_b32 v9, v11
	v_mov_b32_e32 v10, v0
	s_mov_b32 s21, 0
	s_waitcnt lgkmcnt(0)
	s_and_b32 s17, s3, 0xffff
	s_delay_alu instid0(SALU_CYCLE_1)
	s_lshl_b32 s20, s17, 2
	s_lshl_b32 s22, s17, 4
	.p2align	6
.LBB179_21:                             ;   Parent Loop BB179_19 Depth=1
                                        ; =>  This Inner Loop Header: Depth=2
	ds_load_b128 v[13:16], v8
	v_add_nc_u32_e32 v8, s22, v8
	v_add_nc_u32_e32 v10, s17, v10
	s_delay_alu instid0(VALU_DEP_1) | instskip(NEXT) | instid1(VALU_DEP_1)
	v_cmp_le_i32_e64 s3, s14, v10
	s_or_b32 s21, s3, s21
	s_waitcnt lgkmcnt(0)
	v_cmp_gt_f32_e32 vcc_lo, v13, v7
	v_cndmask_b32_e32 v7, v7, v13, vcc_lo
	v_cndmask_b32_e32 v6, v6, v9, vcc_lo
	s_delay_alu instid0(VALU_DEP_2) | instskip(SKIP_2) | instid1(VALU_DEP_1)
	v_cmp_gt_f32_e32 vcc_lo, v14, v7
	v_dual_cndmask_b32 v7, v7, v14 :: v_dual_add_nc_u32 v14, 2, v9
	v_add_nc_u32_e32 v13, 1, v9
	v_cndmask_b32_e32 v6, v6, v13, vcc_lo
	s_delay_alu instid0(VALU_DEP_3) | instskip(SKIP_2) | instid1(VALU_DEP_4)
	v_cmp_gt_f32_e32 vcc_lo, v15, v7
	v_add_nc_u32_e32 v13, 3, v9
	v_add_nc_u32_e32 v9, s20, v9
	v_dual_cndmask_b32 v7, v7, v15 :: v_dual_cndmask_b32 v6, v6, v14
	s_delay_alu instid0(VALU_DEP_1) | instskip(NEXT) | instid1(VALU_DEP_2)
	v_cmp_gt_f32_e32 vcc_lo, v16, v7
	v_dual_cndmask_b32 v7, v7, v16 :: v_dual_cndmask_b32 v6, v6, v13
	s_and_not1_b32 exec_lo, exec_lo, s21
	s_cbranch_execnz .LBB179_21
; %bb.22:                               ;   in Loop: Header=BB179_19 Depth=1
	s_or_b32 exec_lo, exec_lo, s21
.LBB179_23:                             ;   in Loop: Header=BB179_19 Depth=1
	s_delay_alu instid0(SALU_CYCLE_1)
	s_or_b32 exec_lo, exec_lo, s16
	;;#ASMSTART
	v_max_f32 v8, v7, v7 quad_perm:[1,0,3,2] row_mask:0xf bank_mask:0xf bound_ctrl:1
	;;#ASMEND
	;;#ASMSTART
	v_max_f32 v9, v8, v8 quad_perm:[2,3,0,1] row_mask:0xf bank_mask:0xf bound_ctrl:1
	;;#ASMEND
	;;#ASMSTART
	v_max_f32 v8, v9, v9 row_half_mirror row_mask:0xf bank_mask:0xf bound_ctrl:1
	;;#ASMEND
	;;#ASMSTART
	v_max_f32 v9, v8, v8 row_mirror row_mask:0xf bank_mask:0xf bound_ctrl:1
	;;#ASMEND
	v_permlanex16_b32 v8, v9, s19, 0xfedcba98 op_sel:[1,1]
	s_delay_alu instid0(VALU_DEP_1) | instskip(NEXT) | instid1(VALU_DEP_1)
	v_dual_max_f32 v9, v9, v9 :: v_dual_max_f32 v8, v8, v8
	v_max_f32_e32 v8, v9, v8
	s_delay_alu instid0(VALU_DEP_1)
	v_cmp_eq_f32_e32 vcc_lo, v7, v8
	s_ctz_i32_b32 s3, vcc_lo
	s_cmp_lg_u32 vcc_lo, 0
	s_cselect_b32 s3, s3, 0
	s_and_b32 vcc_lo, exec_lo, s12
	v_readlane_b32 s16, v6, s3
	s_cbranch_vccz .LBB179_18
; %bb.24:                               ;   in Loop: Header=BB179_19 Depth=1
	s_delay_alu instid0(VALU_DEP_1) | instskip(NEXT) | instid1(SALU_CYCLE_1)
	s_ashr_i32 s17, s16, 31
	s_lshl_b64 s[20:21], s[16:17], 1
	s_delay_alu instid0(SALU_CYCLE_1) | instskip(SKIP_4) | instid1(VALU_DEP_1)
	s_add_u32 s20, s6, s20
	s_addc_u32 s21, s7, s21
	global_load_u16 v6, v4, s[20:21]
	s_waitcnt vmcnt(0)
	v_lshlrev_b32_e32 v6, 16, v6
	v_sub_f32_e32 v8, v8, v6
	s_branch .LBB179_18
.LBB179_25:
	v_mov_b32_e32 v1, 0
	v_mov_b32_e32 v3, 0
.LBB179_26:
	s_mov_b32 s2, exec_lo
	v_cmpx_gt_i32_e64 s13, v0
	s_cbranch_execz .LBB179_29
; %bb.27:
	s_clause 0x1
	s_load_b32 s2, s[0:1], 0x34
	s_load_b32 s3, s[0:1], 0x44
	v_max_f32_e32 v3, v3, v3
	s_load_b64 s[0:1], s[0:1], 0x20
	s_ashr_i32 s4, s15, 31
	s_delay_alu instid0(VALU_DEP_1) | instskip(SKIP_1) | instid1(VALU_DEP_1)
	v_max_f32_e32 v3, 0x1e3ce508, v3
	s_waitcnt lgkmcnt(0)
	v_div_scale_f32 v4, null, v3, v3, s2
	v_div_scale_f32 v7, vcc_lo, s2, v3, s2
	s_mul_i32 s1, s15, s1
	s_delay_alu instid0(VALU_DEP_2) | instskip(SKIP_4) | instid1(VALU_DEP_1)
	v_rcp_f32_e32 v5, v4
	s_mul_i32 s4, s4, s0
	s_and_b32 s3, s3, 0xffff
	s_waitcnt_depctr 0xfff
	v_fma_f32 v6, -v4, v5, 1.0
	v_fmac_f32_e32 v5, v6, v5
	s_delay_alu instid0(VALU_DEP_1) | instskip(NEXT) | instid1(VALU_DEP_1)
	v_mul_f32_e32 v6, v7, v5
	v_fma_f32 v8, -v4, v6, v7
	s_delay_alu instid0(VALU_DEP_1) | instskip(NEXT) | instid1(VALU_DEP_1)
	v_fmac_f32_e32 v6, v8, v5
	v_fma_f32 v4, -v4, v6, v7
	s_delay_alu instid0(VALU_DEP_1) | instskip(NEXT) | instid1(VALU_DEP_1)
	v_div_fmas_f32 v4, v4, v5, v6
	v_div_fixup_f32 v3, v4, v3, s2
	s_mul_hi_u32 s2, s15, s0
	s_delay_alu instid0(SALU_CYCLE_1) | instskip(SKIP_1) | instid1(VALU_DEP_1)
	s_add_i32 s1, s2, s1
	s_mul_i32 s2, s15, s0
	v_mul_f32_e32 v2, v2, v3
	s_add_i32 s1, s1, s4
	s_mov_b32 s4, 0
	.p2align	6
.LBB179_28:                             ; =>This Inner Loop Header: Depth=1
	v_ashrrev_i32_e32 v4, 31, v0
	v_add_co_u32 v3, vcc_lo, s2, v0
	v_add_nc_u32_e32 v0, s3, v0
	s_delay_alu instid0(VALU_DEP_3) | instskip(NEXT) | instid1(VALU_DEP_2)
	v_add_co_ci_u32_e32 v4, vcc_lo, s1, v4, vcc_lo
	v_cmp_le_i32_e32 vcc_lo, s13, v0
	s_delay_alu instid0(VALU_DEP_2) | instskip(SKIP_1) | instid1(VALU_DEP_1)
	v_lshlrev_b64 v[3:4], 2, v[3:4]
	s_or_b32 s4, vcc_lo, s4
	v_add_co_u32 v5, s0, s8, v3
	s_delay_alu instid0(VALU_DEP_1) | instskip(SKIP_1) | instid1(VALU_DEP_1)
	v_add_co_ci_u32_e64 v6, s0, s9, v4, s0
	v_add_co_u32 v3, s0, s10, v3
	v_add_co_ci_u32_e64 v4, s0, s11, v4, s0
	global_store_b32 v[5:6], v2, off
	global_store_b32 v[3:4], v1, off
	s_and_not1_b32 exec_lo, exec_lo, s4
	s_cbranch_execnz .LBB179_28
.LBB179_29:
	s_nop 0
	s_sendmsg sendmsg(MSG_DEALLOC_VGPRS)
	s_endpgm
	.section	.rodata,"a",@progbits
	.p2align	6, 0x0
	.amdhsa_kernel _ZN5aiter20topk_softplus_kernelI6__half12hip_bfloat16Dv4_fLb1ELi1EEEvPKT_PKT0_PfPimiiif
		.amdhsa_group_segment_fixed_size 0
		.amdhsa_private_segment_fixed_size 0
		.amdhsa_kernarg_size 312
		.amdhsa_user_sgpr_count 15
		.amdhsa_user_sgpr_dispatch_ptr 0
		.amdhsa_user_sgpr_queue_ptr 0
		.amdhsa_user_sgpr_kernarg_segment_ptr 1
		.amdhsa_user_sgpr_dispatch_id 0
		.amdhsa_user_sgpr_private_segment_size 0
		.amdhsa_wavefront_size32 1
		.amdhsa_uses_dynamic_stack 0
		.amdhsa_enable_private_segment 0
		.amdhsa_system_sgpr_workgroup_id_x 1
		.amdhsa_system_sgpr_workgroup_id_y 0
		.amdhsa_system_sgpr_workgroup_id_z 0
		.amdhsa_system_sgpr_workgroup_info 0
		.amdhsa_system_vgpr_workitem_id 0
		.amdhsa_next_free_vgpr 17
		.amdhsa_next_free_sgpr 32
		.amdhsa_reserve_vcc 1
		.amdhsa_float_round_mode_32 0
		.amdhsa_float_round_mode_16_64 0
		.amdhsa_float_denorm_mode_32 3
		.amdhsa_float_denorm_mode_16_64 3
		.amdhsa_dx10_clamp 1
		.amdhsa_ieee_mode 1
		.amdhsa_fp16_overflow 0
		.amdhsa_workgroup_processor_mode 1
		.amdhsa_memory_ordered 1
		.amdhsa_forward_progress 0
		.amdhsa_shared_vgpr_count 0
		.amdhsa_exception_fp_ieee_invalid_op 0
		.amdhsa_exception_fp_denorm_src 0
		.amdhsa_exception_fp_ieee_div_zero 0
		.amdhsa_exception_fp_ieee_overflow 0
		.amdhsa_exception_fp_ieee_underflow 0
		.amdhsa_exception_fp_ieee_inexact 0
		.amdhsa_exception_int_div_zero 0
	.end_amdhsa_kernel
	.section	.text._ZN5aiter20topk_softplus_kernelI6__half12hip_bfloat16Dv4_fLb1ELi1EEEvPKT_PKT0_PfPimiiif,"axG",@progbits,_ZN5aiter20topk_softplus_kernelI6__half12hip_bfloat16Dv4_fLb1ELi1EEEvPKT_PKT0_PfPimiiif,comdat
.Lfunc_end179:
	.size	_ZN5aiter20topk_softplus_kernelI6__half12hip_bfloat16Dv4_fLb1ELi1EEEvPKT_PKT0_PfPimiiif, .Lfunc_end179-_ZN5aiter20topk_softplus_kernelI6__half12hip_bfloat16Dv4_fLb1ELi1EEEvPKT_PKT0_PfPimiiif
                                        ; -- End function
	.section	.AMDGPU.csdata,"",@progbits
; Kernel info:
; codeLenInByte = 2032
; NumSgprs: 34
; NumVgprs: 17
; ScratchSize: 0
; MemoryBound: 0
; FloatMode: 240
; IeeeMode: 1
; LDSByteSize: 0 bytes/workgroup (compile time only)
; SGPRBlocks: 4
; VGPRBlocks: 2
; NumSGPRsForWavesPerEU: 34
; NumVGPRsForWavesPerEU: 17
; Occupancy: 16
; WaveLimiterHint : 0
; COMPUTE_PGM_RSRC2:SCRATCH_EN: 0
; COMPUTE_PGM_RSRC2:USER_SGPR: 15
; COMPUTE_PGM_RSRC2:TRAP_HANDLER: 0
; COMPUTE_PGM_RSRC2:TGID_X_EN: 1
; COMPUTE_PGM_RSRC2:TGID_Y_EN: 0
; COMPUTE_PGM_RSRC2:TGID_Z_EN: 0
; COMPUTE_PGM_RSRC2:TIDIG_COMP_CNT: 0
	.section	.text._ZN5aiter20topk_softplus_kernelI6__half12hip_bfloat16Dv4_fLb0ELi1EEEvPKT_PKT0_PfPimiiif,"axG",@progbits,_ZN5aiter20topk_softplus_kernelI6__half12hip_bfloat16Dv4_fLb0ELi1EEEvPKT_PKT0_PfPimiiif,comdat
	.protected	_ZN5aiter20topk_softplus_kernelI6__half12hip_bfloat16Dv4_fLb0ELi1EEEvPKT_PKT0_PfPimiiif ; -- Begin function _ZN5aiter20topk_softplus_kernelI6__half12hip_bfloat16Dv4_fLb0ELi1EEEvPKT_PKT0_PfPimiiif
	.globl	_ZN5aiter20topk_softplus_kernelI6__half12hip_bfloat16Dv4_fLb0ELi1EEEvPKT_PKT0_PfPimiiif
	.p2align	8
	.type	_ZN5aiter20topk_softplus_kernelI6__half12hip_bfloat16Dv4_fLb0ELi1EEEvPKT_PKT0_PfPimiiif,@function
_ZN5aiter20topk_softplus_kernelI6__half12hip_bfloat16Dv4_fLb0ELi1EEEvPKT_PKT0_PfPimiiif: ; @_ZN5aiter20topk_softplus_kernelI6__half12hip_bfloat16Dv4_fLb0ELi1EEEvPKT_PKT0_PfPimiiif
; %bb.0:
	s_clause 0x1
	s_load_b64 s[12:13], s[0:1], 0x28
	s_load_b256 s[4:11], s[0:1], 0x0
	v_lshlrev_b32_e32 v11, 2, v0
	v_lshl_add_u32 v12, v0, 4, 0
	s_waitcnt lgkmcnt(0)
	s_ashr_i32 s2, s12, 31
	s_mul_i32 s16, s15, s12
	s_lshr_b32 s2, s2, 30
	s_ashr_i32 s17, s16, 31
	s_add_i32 s2, s12, s2
	s_delay_alu instid0(SALU_CYCLE_1) | instskip(NEXT) | instid1(SALU_CYCLE_1)
	s_ashr_i32 s14, s2, 2
	v_cmp_gt_i32_e64 s2, s14, v0
	s_delay_alu instid0(VALU_DEP_1)
	s_and_saveexec_b32 s18, s2
	s_cbranch_execz .LBB180_11
; %bb.1:
	s_load_b32 s3, s[0:1], 0x44
	s_cmp_lg_u64 s[6:7], 0
	v_dual_mov_b32 v6, 0 :: v_dual_lshlrev_b32 v1, 3, v0
	s_cselect_b32 s20, -1, 0
	v_dual_mov_b32 v14, v0 :: v_dual_lshlrev_b32 v5, 2, v0
	v_lshl_add_u32 v13, v0, 4, 0
	s_mov_b32 s19, 0
	s_mov_b32 s31, 0xbfb8aa3b
	s_waitcnt lgkmcnt(0)
	s_and_b32 s21, s3, 0xffff
	s_add_u32 s22, s6, 2
	s_addc_u32 s23, s7, 0
	s_add_u32 s24, s6, 4
	s_addc_u32 s25, s7, 0
	;; [unrolled: 2-line block ×3, first 2 shown]
	s_lshl_b64 s[28:29], s[16:17], 1
	s_delay_alu instid0(SALU_CYCLE_1) | instskip(SKIP_2) | instid1(VALU_DEP_1)
	s_add_u32 s3, s4, s28
	s_addc_u32 s29, s5, s29
	v_add_co_u32 v7, s3, s3, v1
	v_add_co_ci_u32_e64 v8, null, s29, 0, s3
	s_lshl_b32 s28, s21, 3
	s_lshl_b32 s29, s21, 2
	;; [unrolled: 1-line block ×3, first 2 shown]
	s_branch .LBB180_3
.LBB180_2:                              ;   in Loop: Header=BB180_3 Depth=1
	v_add_nc_u32_e32 v14, s21, v14
	v_add_co_u32 v7, s3, v7, s28
	ds_store_b128 v13, v[1:4]
	v_add_co_ci_u32_e64 v8, s3, 0, v8, s3
	v_cmp_le_i32_e32 vcc_lo, s14, v14
	v_add_nc_u32_e32 v5, s29, v5
	v_add_nc_u32_e32 v13, s30, v13
	s_or_b32 s19, vcc_lo, s19
	s_delay_alu instid0(SALU_CYCLE_1)
	s_and_not1_b32 exec_lo, exec_lo, s19
	s_cbranch_execz .LBB180_11
.LBB180_3:                              ; =>This Inner Loop Header: Depth=1
	global_load_b64 v[3:4], v[7:8], off
	v_lshlrev_b64 v[9:10], 1, v[5:6]
	s_waitcnt vmcnt(0)
	v_cvt_f32_f16_e32 v1, v3
	s_delay_alu instid0(VALU_DEP_1) | instskip(NEXT) | instid1(VALU_DEP_1)
	v_mul_f32_e32 v1, 0xbfb8aa3b, v1
	v_cmp_gt_f32_e32 vcc_lo, 0xc2fc0000, v1
	v_cndmask_b32_e64 v2, 0, 0x42800000, vcc_lo
	v_cndmask_b32_e64 v1, 1.0, 0x1f800000, vcc_lo
	s_and_not1_b32 vcc_lo, exec_lo, s20
	s_delay_alu instid0(VALU_DEP_2) | instskip(NEXT) | instid1(VALU_DEP_1)
	v_fma_mix_f32 v2, v3, s31, v2 op_sel_hi:[1,0,0]
	v_exp_f32_e32 v2, v2
	s_waitcnt_depctr 0xfff
	v_fma_f32 v1, v2, v1, 1.0
	s_delay_alu instid0(VALU_DEP_1)
	v_rcp_f32_e32 v1, v1
	s_cbranch_vccnz .LBB180_5
; %bb.4:                                ;   in Loop: Header=BB180_3 Depth=1
	v_add_co_u32 v15, vcc_lo, s6, v9
	v_add_co_ci_u32_e32 v16, vcc_lo, s7, v10, vcc_lo
	global_load_u16 v2, v[15:16], off
	s_waitcnt vmcnt(0)
	v_lshlrev_b32_e32 v2, 16, v2
	s_delay_alu instid0(VALU_DEP_1)
	v_add_f32_e32 v1, v1, v2
.LBB180_5:                              ;   in Loop: Header=BB180_3 Depth=1
	v_lshrrev_b32_e32 v2, 16, v3
	s_delay_alu instid0(VALU_DEP_1) | instskip(NEXT) | instid1(VALU_DEP_1)
	v_cvt_f32_f16_e32 v2, v2
	v_mul_f32_e32 v2, 0xbfb8aa3b, v2
	s_delay_alu instid0(VALU_DEP_1) | instskip(SKIP_3) | instid1(VALU_DEP_2)
	v_cmp_gt_f32_e32 vcc_lo, 0xc2fc0000, v2
	v_cndmask_b32_e64 v15, 0, 0x42800000, vcc_lo
	v_cndmask_b32_e64 v2, 1.0, 0x1f800000, vcc_lo
	s_and_not1_b32 vcc_lo, exec_lo, s20
	v_fma_mix_f32 v3, v3, s31, v15 op_sel:[1,0,0] op_sel_hi:[1,0,0]
	s_delay_alu instid0(VALU_DEP_1) | instskip(SKIP_2) | instid1(VALU_DEP_1)
	v_exp_f32_e32 v3, v3
	s_waitcnt_depctr 0xfff
	v_fma_f32 v2, v3, v2, 1.0
	v_rcp_f32_e32 v2, v2
	s_cbranch_vccnz .LBB180_7
; %bb.6:                                ;   in Loop: Header=BB180_3 Depth=1
	v_add_co_u32 v15, vcc_lo, s22, v9
	v_add_co_ci_u32_e32 v16, vcc_lo, s23, v10, vcc_lo
	global_load_u16 v3, v[15:16], off
	s_waitcnt vmcnt(0)
	v_lshlrev_b32_e32 v3, 16, v3
	s_delay_alu instid0(VALU_DEP_1)
	v_add_f32_e32 v2, v2, v3
.LBB180_7:                              ;   in Loop: Header=BB180_3 Depth=1
	v_cvt_f32_f16_e32 v3, v4
	s_delay_alu instid0(VALU_DEP_1) | instskip(NEXT) | instid1(VALU_DEP_1)
	v_mul_f32_e32 v3, 0xbfb8aa3b, v3
	v_cmp_gt_f32_e32 vcc_lo, 0xc2fc0000, v3
	v_cndmask_b32_e64 v15, 0, 0x42800000, vcc_lo
	v_cndmask_b32_e64 v3, 1.0, 0x1f800000, vcc_lo
	s_and_not1_b32 vcc_lo, exec_lo, s20
	s_delay_alu instid0(VALU_DEP_2) | instskip(NEXT) | instid1(VALU_DEP_1)
	v_fma_mix_f32 v15, v4, s31, v15 op_sel_hi:[1,0,0]
	v_exp_f32_e32 v15, v15
	s_waitcnt_depctr 0xfff
	v_fma_f32 v3, v15, v3, 1.0
	s_delay_alu instid0(VALU_DEP_1)
	v_rcp_f32_e32 v3, v3
	s_cbranch_vccnz .LBB180_9
; %bb.8:                                ;   in Loop: Header=BB180_3 Depth=1
	v_add_co_u32 v15, vcc_lo, s24, v9
	v_add_co_ci_u32_e32 v16, vcc_lo, s25, v10, vcc_lo
	global_load_u16 v15, v[15:16], off
	s_waitcnt vmcnt(0)
	v_lshlrev_b32_e32 v15, 16, v15
	s_delay_alu instid0(VALU_DEP_1)
	v_add_f32_e32 v3, v3, v15
.LBB180_9:                              ;   in Loop: Header=BB180_3 Depth=1
	v_lshrrev_b32_e32 v15, 16, v4
	s_delay_alu instid0(VALU_DEP_1) | instskip(NEXT) | instid1(VALU_DEP_1)
	v_cvt_f32_f16_e32 v15, v15
	v_mul_f32_e32 v15, 0xbfb8aa3b, v15
	s_delay_alu instid0(VALU_DEP_1) | instskip(SKIP_3) | instid1(VALU_DEP_2)
	v_cmp_gt_f32_e32 vcc_lo, 0xc2fc0000, v15
	v_cndmask_b32_e64 v16, 0, 0x42800000, vcc_lo
	v_cndmask_b32_e64 v15, 1.0, 0x1f800000, vcc_lo
	s_and_not1_b32 vcc_lo, exec_lo, s20
	v_fma_mix_f32 v4, v4, s31, v16 op_sel:[1,0,0] op_sel_hi:[1,0,0]
	s_delay_alu instid0(VALU_DEP_1) | instskip(SKIP_2) | instid1(VALU_DEP_1)
	v_exp_f32_e32 v4, v4
	s_waitcnt_depctr 0xfff
	v_fma_f32 v4, v4, v15, 1.0
	v_rcp_f32_e32 v4, v4
	s_cbranch_vccnz .LBB180_2
; %bb.10:                               ;   in Loop: Header=BB180_3 Depth=1
	v_add_co_u32 v9, vcc_lo, s26, v9
	v_add_co_ci_u32_e32 v10, vcc_lo, s27, v10, vcc_lo
	global_load_u16 v9, v[9:10], off
	s_waitcnt vmcnt(0)
	v_lshlrev_b32_e32 v9, 16, v9
	s_delay_alu instid0(VALU_DEP_1)
	v_add_f32_e32 v4, v4, v9
	s_branch .LBB180_2
.LBB180_11:
	s_or_b32 exec_lo, exec_lo, s18
	v_lshl_add_u32 v1, s14, 2, v0
	s_mov_b32 s3, exec_lo
	s_delay_alu instid0(VALU_DEP_1)
	v_cmpx_gt_i32_e64 s12, v1
	s_cbranch_execz .LBB180_16
; %bb.12:
	s_load_b32 s18, s[0:1], 0x44
	s_lshl_b64 s[16:17], s[16:17], 1
	v_lshlrev_b32_e32 v2, 2, v0
	s_add_u32 s4, s4, s16
	s_addc_u32 s5, s5, s17
	s_cmp_lg_u64 s[6:7], 0
	s_mov_b32 s20, 0xbfb8aa3b
	s_cselect_b32 s16, -1, 0
	s_lshl_b32 s17, s14, 4
	s_delay_alu instid0(SALU_CYCLE_1)
	v_add3_u32 v4, 0, s17, v2
	s_waitcnt lgkmcnt(0)
	s_and_b32 s17, s18, 0xffff
	s_mov_b32 s18, 0
	s_lshl_b32 s19, s17, 2
	s_set_inst_prefetch_distance 0x1
	s_branch .LBB180_14
	.p2align	6
.LBB180_13:                             ;   in Loop: Header=BB180_14 Depth=1
	v_add_nc_u32_e32 v1, s17, v1
	v_add_nc_u32_e32 v4, s19, v4
	s_delay_alu instid0(VALU_DEP_2) | instskip(SKIP_1) | instid1(SALU_CYCLE_1)
	v_cmp_le_i32_e32 vcc_lo, s12, v1
	s_or_b32 s18, vcc_lo, s18
	s_and_not1_b32 exec_lo, exec_lo, s18
	s_cbranch_execz .LBB180_16
.LBB180_14:                             ; =>This Inner Loop Header: Depth=1
	v_ashrrev_i32_e32 v2, 31, v1
	s_delay_alu instid0(VALU_DEP_1) | instskip(NEXT) | instid1(VALU_DEP_1)
	v_lshlrev_b64 v[2:3], 1, v[1:2]
	v_add_co_u32 v5, vcc_lo, s4, v2
	s_delay_alu instid0(VALU_DEP_2) | instskip(SKIP_3) | instid1(VALU_DEP_1)
	v_add_co_ci_u32_e32 v6, vcc_lo, s5, v3, vcc_lo
	global_load_u16 v5, v[5:6], off
	s_waitcnt vmcnt(0)
	v_cvt_f32_f16_e32 v6, v5
	v_mul_f32_e32 v6, 0xbfb8aa3b, v6
	s_delay_alu instid0(VALU_DEP_1) | instskip(SKIP_1) | instid1(VALU_DEP_1)
	v_cmp_gt_f32_e32 vcc_lo, 0xc2fc0000, v6
	v_cndmask_b32_e64 v6, 0, 0x42800000, vcc_lo
	v_fma_mix_f32 v5, v5, s20, v6 op_sel_hi:[1,0,0]
	v_cndmask_b32_e64 v6, 1.0, 0x1f800000, vcc_lo
	s_and_not1_b32 vcc_lo, exec_lo, s16
	s_delay_alu instid0(VALU_DEP_2) | instskip(SKIP_2) | instid1(VALU_DEP_1)
	v_exp_f32_e32 v5, v5
	s_waitcnt_depctr 0xfff
	v_fma_f32 v5, v5, v6, 1.0
	v_rcp_f32_e32 v5, v5
	ds_store_b32 v4, v5
	s_cbranch_vccnz .LBB180_13
; %bb.15:                               ;   in Loop: Header=BB180_14 Depth=1
	v_add_co_u32 v2, vcc_lo, s6, v2
	v_add_co_ci_u32_e32 v3, vcc_lo, s7, v3, vcc_lo
	global_load_u16 v2, v[2:3], off
	s_waitcnt vmcnt(0)
	v_lshlrev_b32_e32 v2, 16, v2
	s_delay_alu instid0(VALU_DEP_1)
	v_add_f32_e32 v2, v5, v2
	ds_store_b32 v4, v2
	s_branch .LBB180_13
.LBB180_16:
	s_set_inst_prefetch_distance 0x2
	s_or_b32 exec_lo, exec_lo, s3
	s_cmp_lt_i32 s13, 1
	s_waitcnt lgkmcnt(0)
	s_barrier
	buffer_gl0_inv
	s_cbranch_scc1 .LBB180_25
; %bb.17:
	s_add_u32 s4, s0, 56
	s_addc_u32 s5, s1, 0
	v_dual_mov_b32 v3, 0 :: v_dual_mov_b32 v4, 0xff800000
	v_dual_mov_b32 v1, 0 :: v_dual_mov_b32 v2, 0
	s_cmp_lg_u64 s[6:7], 0
	s_mov_b32 s18, 0
	s_cselect_b32 s12, -1, 0
	s_mov_b32 s19, 0x76543210
	s_branch .LBB180_19
.LBB180_18:                             ;   in Loop: Header=BB180_19 Depth=1
	v_cmp_eq_u32_e32 vcc_lo, s18, v0
	s_delay_alu instid0(VALU_DEP_2)
	s_lshl_b32 s3, s16, 2
	s_add_i32 s18, s18, 1
	s_add_i32 s3, s3, 0
	s_cmp_eq_u32 s18, s13
	v_cndmask_b32_e64 v1, v1, s16, vcc_lo
	v_dual_mov_b32 v5, s3 :: v_dual_cndmask_b32 v2, v2, v7
	ds_store_b32 v5, v4
	s_cbranch_scc1 .LBB180_26
.LBB180_19:                             ; =>This Loop Header: Depth=1
                                        ;     Child Loop BB180_21 Depth 2
	v_dual_mov_b32 v5, s18 :: v_dual_mov_b32 v6, 0xff800000
	s_and_saveexec_b32 s16, s2
	s_cbranch_execz .LBB180_23
; %bb.20:                               ;   in Loop: Header=BB180_19 Depth=1
	s_load_b32 s3, s[4:5], 0xc
	v_dual_mov_b32 v5, s18 :: v_dual_mov_b32 v6, 0xff800000
	v_dual_mov_b32 v7, v12 :: v_dual_mov_b32 v8, v11
	v_mov_b32_e32 v9, v0
	s_mov_b32 s21, 0
	s_waitcnt lgkmcnt(0)
	s_and_b32 s17, s3, 0xffff
	s_delay_alu instid0(SALU_CYCLE_1)
	s_lshl_b32 s20, s17, 2
	s_lshl_b32 s22, s17, 4
	.p2align	6
.LBB180_21:                             ;   Parent Loop BB180_19 Depth=1
                                        ; =>  This Inner Loop Header: Depth=2
	ds_load_b128 v[13:16], v7
	v_add_nc_u32_e32 v7, s22, v7
	s_waitcnt lgkmcnt(0)
	v_cmp_gt_f32_e32 vcc_lo, v13, v6
	v_dual_cndmask_b32 v6, v6, v13 :: v_dual_cndmask_b32 v5, v5, v8
	v_add_nc_u32_e32 v13, 2, v8
	v_add_nc_u32_e32 v10, 1, v8
	s_delay_alu instid0(VALU_DEP_3) | instskip(SKIP_1) | instid1(VALU_DEP_3)
	v_cmp_gt_f32_e32 vcc_lo, v14, v6
	v_cndmask_b32_e32 v6, v6, v14, vcc_lo
	v_dual_cndmask_b32 v5, v5, v10 :: v_dual_add_nc_u32 v10, 3, v8
	s_delay_alu instid0(VALU_DEP_2) | instskip(NEXT) | instid1(VALU_DEP_2)
	v_cmp_gt_f32_e32 vcc_lo, v15, v6
	v_dual_cndmask_b32 v6, v6, v15 :: v_dual_cndmask_b32 v5, v5, v13
	s_delay_alu instid0(VALU_DEP_1) | instskip(SKIP_1) | instid1(VALU_DEP_3)
	v_cmp_gt_f32_e32 vcc_lo, v16, v6
	v_add_nc_u32_e32 v9, s17, v9
	v_dual_cndmask_b32 v5, v5, v10 :: v_dual_add_nc_u32 v8, s20, v8
	v_cndmask_b32_e32 v6, v6, v16, vcc_lo
	s_delay_alu instid0(VALU_DEP_3) | instskip(NEXT) | instid1(VALU_DEP_1)
	v_cmp_le_i32_e64 s3, s14, v9
	s_or_b32 s21, s3, s21
	s_delay_alu instid0(SALU_CYCLE_1)
	s_and_not1_b32 exec_lo, exec_lo, s21
	s_cbranch_execnz .LBB180_21
; %bb.22:                               ;   in Loop: Header=BB180_19 Depth=1
	s_or_b32 exec_lo, exec_lo, s21
.LBB180_23:                             ;   in Loop: Header=BB180_19 Depth=1
	s_delay_alu instid0(SALU_CYCLE_1)
	s_or_b32 exec_lo, exec_lo, s16
	;;#ASMSTART
	v_max_f32 v7, v6, v6 quad_perm:[1,0,3,2] row_mask:0xf bank_mask:0xf bound_ctrl:1
	;;#ASMEND
	;;#ASMSTART
	v_max_f32 v8, v7, v7 quad_perm:[2,3,0,1] row_mask:0xf bank_mask:0xf bound_ctrl:1
	;;#ASMEND
	;;#ASMSTART
	v_max_f32 v7, v8, v8 row_half_mirror row_mask:0xf bank_mask:0xf bound_ctrl:1
	;;#ASMEND
	;;#ASMSTART
	v_max_f32 v8, v7, v7 row_mirror row_mask:0xf bank_mask:0xf bound_ctrl:1
	;;#ASMEND
	v_permlanex16_b32 v7, v8, s19, 0xfedcba98 op_sel:[1,1]
	s_delay_alu instid0(VALU_DEP_1) | instskip(NEXT) | instid1(VALU_DEP_1)
	v_dual_max_f32 v8, v8, v8 :: v_dual_max_f32 v7, v7, v7
	v_max_f32_e32 v7, v8, v7
	s_delay_alu instid0(VALU_DEP_1)
	v_cmp_eq_f32_e32 vcc_lo, v6, v7
	s_ctz_i32_b32 s3, vcc_lo
	s_cmp_lg_u32 vcc_lo, 0
	s_cselect_b32 s3, s3, 0
	s_and_b32 vcc_lo, exec_lo, s12
	v_readlane_b32 s16, v5, s3
	s_cbranch_vccz .LBB180_18
; %bb.24:                               ;   in Loop: Header=BB180_19 Depth=1
	s_delay_alu instid0(VALU_DEP_1) | instskip(NEXT) | instid1(SALU_CYCLE_1)
	s_ashr_i32 s17, s16, 31
	s_lshl_b64 s[20:21], s[16:17], 1
	s_delay_alu instid0(SALU_CYCLE_1) | instskip(SKIP_4) | instid1(VALU_DEP_1)
	s_add_u32 s20, s6, s20
	s_addc_u32 s21, s7, s21
	global_load_u16 v5, v3, s[20:21]
	s_waitcnt vmcnt(0)
	v_lshlrev_b32_e32 v5, 16, v5
	v_sub_f32_e32 v7, v7, v5
	s_branch .LBB180_18
.LBB180_25:
	v_dual_mov_b32 v2, 0 :: v_dual_mov_b32 v1, 0
.LBB180_26:
	s_mov_b32 s2, exec_lo
	v_cmpx_gt_i32_e64 s13, v0
	s_cbranch_execz .LBB180_29
; %bb.27:
	s_clause 0x2
	s_load_b32 s4, s[0:1], 0x34
	s_load_b64 s[2:3], s[0:1], 0x20
	s_load_b32 s0, s[0:1], 0x44
	s_ashr_i32 s1, s15, 31
	s_waitcnt lgkmcnt(0)
	v_mul_f32_e32 v2, s4, v2
	s_mul_i32 s3, s15, s3
	s_mul_hi_u32 s4, s15, s2
	s_mul_i32 s5, s1, s2
	s_add_i32 s3, s4, s3
	s_mul_i32 s1, s15, s2
	s_and_b32 s2, s0, 0xffff
	s_add_i32 s3, s3, s5
	s_mov_b32 s4, 0
	.p2align	6
.LBB180_28:                             ; =>This Inner Loop Header: Depth=1
	v_ashrrev_i32_e32 v4, 31, v0
	v_add_co_u32 v3, vcc_lo, s1, v0
	v_add_nc_u32_e32 v0, s2, v0
	s_delay_alu instid0(VALU_DEP_3) | instskip(NEXT) | instid1(VALU_DEP_2)
	v_add_co_ci_u32_e32 v4, vcc_lo, s3, v4, vcc_lo
	v_cmp_le_i32_e32 vcc_lo, s13, v0
	s_delay_alu instid0(VALU_DEP_2) | instskip(SKIP_1) | instid1(VALU_DEP_1)
	v_lshlrev_b64 v[3:4], 2, v[3:4]
	s_or_b32 s4, vcc_lo, s4
	v_add_co_u32 v5, s0, s8, v3
	s_delay_alu instid0(VALU_DEP_1) | instskip(SKIP_1) | instid1(VALU_DEP_1)
	v_add_co_ci_u32_e64 v6, s0, s9, v4, s0
	v_add_co_u32 v3, s0, s10, v3
	v_add_co_ci_u32_e64 v4, s0, s11, v4, s0
	global_store_b32 v[5:6], v2, off
	global_store_b32 v[3:4], v1, off
	s_and_not1_b32 exec_lo, exec_lo, s4
	s_cbranch_execnz .LBB180_28
.LBB180_29:
	s_nop 0
	s_sendmsg sendmsg(MSG_DEALLOC_VGPRS)
	s_endpgm
	.section	.rodata,"a",@progbits
	.p2align	6, 0x0
	.amdhsa_kernel _ZN5aiter20topk_softplus_kernelI6__half12hip_bfloat16Dv4_fLb0ELi1EEEvPKT_PKT0_PfPimiiif
		.amdhsa_group_segment_fixed_size 0
		.amdhsa_private_segment_fixed_size 0
		.amdhsa_kernarg_size 312
		.amdhsa_user_sgpr_count 15
		.amdhsa_user_sgpr_dispatch_ptr 0
		.amdhsa_user_sgpr_queue_ptr 0
		.amdhsa_user_sgpr_kernarg_segment_ptr 1
		.amdhsa_user_sgpr_dispatch_id 0
		.amdhsa_user_sgpr_private_segment_size 0
		.amdhsa_wavefront_size32 1
		.amdhsa_uses_dynamic_stack 0
		.amdhsa_enable_private_segment 0
		.amdhsa_system_sgpr_workgroup_id_x 1
		.amdhsa_system_sgpr_workgroup_id_y 0
		.amdhsa_system_sgpr_workgroup_id_z 0
		.amdhsa_system_sgpr_workgroup_info 0
		.amdhsa_system_vgpr_workitem_id 0
		.amdhsa_next_free_vgpr 17
		.amdhsa_next_free_sgpr 32
		.amdhsa_reserve_vcc 1
		.amdhsa_float_round_mode_32 0
		.amdhsa_float_round_mode_16_64 0
		.amdhsa_float_denorm_mode_32 3
		.amdhsa_float_denorm_mode_16_64 3
		.amdhsa_dx10_clamp 1
		.amdhsa_ieee_mode 1
		.amdhsa_fp16_overflow 0
		.amdhsa_workgroup_processor_mode 1
		.amdhsa_memory_ordered 1
		.amdhsa_forward_progress 0
		.amdhsa_shared_vgpr_count 0
		.amdhsa_exception_fp_ieee_invalid_op 0
		.amdhsa_exception_fp_denorm_src 0
		.amdhsa_exception_fp_ieee_div_zero 0
		.amdhsa_exception_fp_ieee_overflow 0
		.amdhsa_exception_fp_ieee_underflow 0
		.amdhsa_exception_fp_ieee_inexact 0
		.amdhsa_exception_int_div_zero 0
	.end_amdhsa_kernel
	.section	.text._ZN5aiter20topk_softplus_kernelI6__half12hip_bfloat16Dv4_fLb0ELi1EEEvPKT_PKT0_PfPimiiif,"axG",@progbits,_ZN5aiter20topk_softplus_kernelI6__half12hip_bfloat16Dv4_fLb0ELi1EEEvPKT_PKT0_PfPimiiif,comdat
.Lfunc_end180:
	.size	_ZN5aiter20topk_softplus_kernelI6__half12hip_bfloat16Dv4_fLb0ELi1EEEvPKT_PKT0_PfPimiiif, .Lfunc_end180-_ZN5aiter20topk_softplus_kernelI6__half12hip_bfloat16Dv4_fLb0ELi1EEEvPKT_PKT0_PfPimiiif
                                        ; -- End function
	.section	.AMDGPU.csdata,"",@progbits
; Kernel info:
; codeLenInByte = 1912
; NumSgprs: 34
; NumVgprs: 17
; ScratchSize: 0
; MemoryBound: 0
; FloatMode: 240
; IeeeMode: 1
; LDSByteSize: 0 bytes/workgroup (compile time only)
; SGPRBlocks: 4
; VGPRBlocks: 2
; NumSGPRsForWavesPerEU: 34
; NumVGPRsForWavesPerEU: 17
; Occupancy: 16
; WaveLimiterHint : 0
; COMPUTE_PGM_RSRC2:SCRATCH_EN: 0
; COMPUTE_PGM_RSRC2:USER_SGPR: 15
; COMPUTE_PGM_RSRC2:TRAP_HANDLER: 0
; COMPUTE_PGM_RSRC2:TGID_X_EN: 1
; COMPUTE_PGM_RSRC2:TGID_Y_EN: 0
; COMPUTE_PGM_RSRC2:TGID_Z_EN: 0
; COMPUTE_PGM_RSRC2:TIDIG_COMP_CNT: 0
	.section	.text._ZN5aiter20topk_softplus_kernelI6__half12hip_bfloat16Dv2_fLb1ELi1EEEvPKT_PKT0_PfPimiiif,"axG",@progbits,_ZN5aiter20topk_softplus_kernelI6__half12hip_bfloat16Dv2_fLb1ELi1EEEvPKT_PKT0_PfPimiiif,comdat
	.protected	_ZN5aiter20topk_softplus_kernelI6__half12hip_bfloat16Dv2_fLb1ELi1EEEvPKT_PKT0_PfPimiiif ; -- Begin function _ZN5aiter20topk_softplus_kernelI6__half12hip_bfloat16Dv2_fLb1ELi1EEEvPKT_PKT0_PfPimiiif
	.globl	_ZN5aiter20topk_softplus_kernelI6__half12hip_bfloat16Dv2_fLb1ELi1EEEvPKT_PKT0_PfPimiiif
	.p2align	8
	.type	_ZN5aiter20topk_softplus_kernelI6__half12hip_bfloat16Dv2_fLb1ELi1EEEvPKT_PKT0_PfPimiiif,@function
_ZN5aiter20topk_softplus_kernelI6__half12hip_bfloat16Dv2_fLb1ELi1EEEvPKT_PKT0_PfPimiiif: ; @_ZN5aiter20topk_softplus_kernelI6__half12hip_bfloat16Dv2_fLb1ELi1EEEvPKT_PKT0_PfPimiiif
; %bb.0:
	s_clause 0x1
	s_load_b64 s[12:13], s[0:1], 0x28
	s_load_b256 s[4:11], s[0:1], 0x0
	v_lshl_add_u32 v4, v0, 3, 0
	s_waitcnt lgkmcnt(0)
	s_lshr_b32 s3, s12, 31
	s_mul_i32 s2, s15, s12
	s_add_i32 s14, s12, s3
	s_ashr_i32 s3, s2, 31
	s_ashr_i32 s14, s14, 1
	s_lshl_b64 s[16:17], s[2:3], 1
	v_cmp_gt_i32_e64 s2, s14, v0
	s_add_u32 s4, s4, s16
	s_addc_u32 s5, s5, s17
	s_delay_alu instid0(VALU_DEP_1)
	s_and_saveexec_b32 s16, s2
	s_cbranch_execz .LBB181_7
; %bb.1:
	s_load_b32 s3, s[0:1], 0x44
	s_cmp_lg_u64 s[6:7], 0
	v_lshlrev_b32_e32 v3, 2, v0
	v_mov_b32_e32 v5, 0
	v_lshl_add_u32 v6, v0, 3, 0
	v_mov_b32_e32 v7, v0
	s_cselect_b32 s18, -1, 0
	s_mov_b32 s17, 0
	s_mov_b32 s22, 0xbfb8aa3b
	s_waitcnt lgkmcnt(0)
	s_and_b32 s19, s3, 0xffff
	s_delay_alu instid0(SALU_CYCLE_1)
	s_lshl_b32 s20, s19, 2
	s_lshl_b32 s21, s19, 3
	s_branch .LBB181_3
.LBB181_2:                              ;   in Loop: Header=BB181_3 Depth=1
	v_add_nc_u32_e32 v7, s19, v7
	v_add_co_u32 v3, s3, v3, s20
	ds_store_b64 v6, v[1:2]
	v_add_co_ci_u32_e64 v5, s3, 0, v5, s3
	v_cmp_le_i32_e32 vcc_lo, s14, v7
	v_add_nc_u32_e32 v6, s21, v6
	s_or_b32 s17, vcc_lo, s17
	s_delay_alu instid0(SALU_CYCLE_1)
	s_and_not1_b32 exec_lo, exec_lo, s17
	s_cbranch_execz .LBB181_7
.LBB181_3:                              ; =>This Inner Loop Header: Depth=1
	v_add_co_u32 v1, vcc_lo, s4, v3
	v_add_co_ci_u32_e32 v2, vcc_lo, s5, v5, vcc_lo
	global_load_b32 v2, v[1:2], off
	s_waitcnt vmcnt(0)
	v_cvt_f32_f16_e32 v1, v2
	s_delay_alu instid0(VALU_DEP_1) | instskip(NEXT) | instid1(VALU_DEP_1)
	v_mul_f32_e32 v1, 0xbfb8aa3b, v1
	v_cmp_gt_f32_e32 vcc_lo, 0xc2fc0000, v1
	v_cndmask_b32_e64 v1, 0, 0x42800000, vcc_lo
	v_cndmask_b32_e64 v8, 1.0, 0x1f800000, vcc_lo
	s_and_not1_b32 vcc_lo, exec_lo, s18
	s_delay_alu instid0(VALU_DEP_2) | instskip(NEXT) | instid1(VALU_DEP_1)
	v_fma_mix_f32 v1, v2, s22, v1 op_sel_hi:[1,0,0]
	v_exp_f32_e32 v1, v1
	s_waitcnt_depctr 0xfff
	v_fma_f32 v1, v1, v8, 1.0
	s_delay_alu instid0(VALU_DEP_1)
	v_rcp_f32_e32 v1, v1
	s_cbranch_vccnz .LBB181_5
; %bb.4:                                ;   in Loop: Header=BB181_3 Depth=1
	v_add_co_u32 v8, vcc_lo, s6, v3
	v_add_co_ci_u32_e32 v9, vcc_lo, s7, v5, vcc_lo
	global_load_u16 v8, v[8:9], off
	s_waitcnt vmcnt(0)
	v_lshlrev_b32_e32 v8, 16, v8
	s_delay_alu instid0(VALU_DEP_1)
	v_add_f32_e32 v1, v1, v8
.LBB181_5:                              ;   in Loop: Header=BB181_3 Depth=1
	v_lshrrev_b32_e32 v8, 16, v2
	s_delay_alu instid0(VALU_DEP_1) | instskip(NEXT) | instid1(VALU_DEP_1)
	v_cvt_f32_f16_e32 v8, v8
	v_mul_f32_e32 v8, 0xbfb8aa3b, v8
	s_delay_alu instid0(VALU_DEP_1) | instskip(SKIP_3) | instid1(VALU_DEP_2)
	v_cmp_gt_f32_e32 vcc_lo, 0xc2fc0000, v8
	v_cndmask_b32_e64 v9, 0, 0x42800000, vcc_lo
	v_cndmask_b32_e64 v8, 1.0, 0x1f800000, vcc_lo
	s_and_not1_b32 vcc_lo, exec_lo, s18
	v_fma_mix_f32 v2, v2, s22, v9 op_sel:[1,0,0] op_sel_hi:[1,0,0]
	s_delay_alu instid0(VALU_DEP_1) | instskip(SKIP_2) | instid1(VALU_DEP_1)
	v_exp_f32_e32 v2, v2
	s_waitcnt_depctr 0xfff
	v_fma_f32 v2, v2, v8, 1.0
	v_rcp_f32_e32 v2, v2
	s_cbranch_vccnz .LBB181_2
; %bb.6:                                ;   in Loop: Header=BB181_3 Depth=1
	v_add_co_u32 v8, vcc_lo, s6, v3
	v_add_co_ci_u32_e32 v9, vcc_lo, s7, v5, vcc_lo
	global_load_u16 v8, v[8:9], off offset:2
	s_waitcnt vmcnt(0)
	v_lshlrev_b32_e32 v8, 16, v8
	s_delay_alu instid0(VALU_DEP_1)
	v_add_f32_e32 v2, v2, v8
	s_branch .LBB181_2
.LBB181_7:
	s_or_b32 exec_lo, exec_lo, s16
	v_lshl_add_u32 v1, s14, 1, v0
	s_mov_b32 s3, exec_lo
	s_delay_alu instid0(VALU_DEP_1)
	v_cmpx_gt_i32_e64 s12, v1
	s_cbranch_execz .LBB181_12
; %bb.8:
	s_load_b32 s17, s[0:1], 0x44
	v_lshlrev_b32_e32 v2, 2, v0
	s_cmp_lg_u64 s[6:7], 0
	s_mov_b32 s20, 0xbfb8aa3b
	s_cselect_b32 s16, -1, 0
	s_lshl_b32 s18, s14, 3
	s_delay_alu instid0(SALU_CYCLE_1) | instskip(SKIP_3) | instid1(SALU_CYCLE_1)
	v_add3_u32 v5, 0, s18, v2
	s_mov_b32 s18, 0
	s_waitcnt lgkmcnt(0)
	s_and_b32 s17, s17, 0xffff
	s_lshl_b32 s19, s17, 2
	s_set_inst_prefetch_distance 0x1
	s_branch .LBB181_10
	.p2align	6
.LBB181_9:                              ;   in Loop: Header=BB181_10 Depth=1
	v_add_nc_u32_e32 v1, s17, v1
	v_add_nc_u32_e32 v5, s19, v5
	s_delay_alu instid0(VALU_DEP_2) | instskip(SKIP_1) | instid1(SALU_CYCLE_1)
	v_cmp_le_i32_e32 vcc_lo, s12, v1
	s_or_b32 s18, vcc_lo, s18
	s_and_not1_b32 exec_lo, exec_lo, s18
	s_cbranch_execz .LBB181_12
.LBB181_10:                             ; =>This Inner Loop Header: Depth=1
	v_ashrrev_i32_e32 v2, 31, v1
	s_delay_alu instid0(VALU_DEP_1) | instskip(NEXT) | instid1(VALU_DEP_1)
	v_lshlrev_b64 v[2:3], 1, v[1:2]
	v_add_co_u32 v6, vcc_lo, s4, v2
	s_delay_alu instid0(VALU_DEP_2) | instskip(SKIP_3) | instid1(VALU_DEP_1)
	v_add_co_ci_u32_e32 v7, vcc_lo, s5, v3, vcc_lo
	global_load_u16 v6, v[6:7], off
	s_waitcnt vmcnt(0)
	v_cvt_f32_f16_e32 v7, v6
	v_mul_f32_e32 v7, 0xbfb8aa3b, v7
	s_delay_alu instid0(VALU_DEP_1) | instskip(SKIP_1) | instid1(VALU_DEP_1)
	v_cmp_gt_f32_e32 vcc_lo, 0xc2fc0000, v7
	v_cndmask_b32_e64 v7, 0, 0x42800000, vcc_lo
	v_fma_mix_f32 v6, v6, s20, v7 op_sel_hi:[1,0,0]
	v_cndmask_b32_e64 v7, 1.0, 0x1f800000, vcc_lo
	s_and_not1_b32 vcc_lo, exec_lo, s16
	s_delay_alu instid0(VALU_DEP_2) | instskip(SKIP_2) | instid1(VALU_DEP_1)
	v_exp_f32_e32 v6, v6
	s_waitcnt_depctr 0xfff
	v_fma_f32 v6, v6, v7, 1.0
	v_rcp_f32_e32 v6, v6
	ds_store_b32 v5, v6
	s_cbranch_vccnz .LBB181_9
; %bb.11:                               ;   in Loop: Header=BB181_10 Depth=1
	v_add_co_u32 v2, vcc_lo, s6, v2
	v_add_co_ci_u32_e32 v3, vcc_lo, s7, v3, vcc_lo
	global_load_u16 v2, v[2:3], off
	s_waitcnt vmcnt(0)
	v_lshlrev_b32_e32 v2, 16, v2
	s_delay_alu instid0(VALU_DEP_1)
	v_add_f32_e32 v2, v6, v2
	ds_store_b32 v5, v2
	s_branch .LBB181_9
.LBB181_12:
	s_set_inst_prefetch_distance 0x2
	s_or_b32 exec_lo, exec_lo, s3
	v_mov_b32_e32 v2, 0
	s_cmp_lt_i32 s13, 1
	s_waitcnt lgkmcnt(0)
	s_barrier
	buffer_gl0_inv
	s_cbranch_scc1 .LBB181_21
; %bb.13:
	s_add_u32 s4, s0, 56
	s_addc_u32 s5, s1, 0
	v_dual_mov_b32 v2, 0 :: v_dual_lshlrev_b32 v5, 1, v0
	v_dual_mov_b32 v6, 0 :: v_dual_mov_b32 v7, 0xff800000
	v_mov_b32_e32 v1, 0
	v_mov_b32_e32 v3, 0
	s_cmp_lg_u64 s[6:7], 0
	s_mov_b32 s18, 0
	s_cselect_b32 s12, -1, 0
	s_mov_b32 s19, 0x76543210
	s_branch .LBB181_15
.LBB181_14:                             ;   in Loop: Header=BB181_15 Depth=1
	v_cmp_eq_u32_e32 vcc_lo, s18, v0
	s_delay_alu instid0(VALU_DEP_2)
	s_lshl_b32 s3, s16, 2
	s_add_i32 s18, s18, 1
	s_add_i32 s3, s3, 0
	v_add_f32_e32 v3, v3, v10
	v_cndmask_b32_e64 v1, v1, s16, vcc_lo
	v_mov_b32_e32 v8, s3
	v_cndmask_b32_e32 v2, v2, v10, vcc_lo
	s_cmp_eq_u32 s18, s13
	ds_store_b32 v8, v7
	s_cbranch_scc1 .LBB181_22
.LBB181_15:                             ; =>This Loop Header: Depth=1
                                        ;     Child Loop BB181_17 Depth 2
	v_dual_mov_b32 v8, s18 :: v_dual_mov_b32 v9, 0xff800000
	s_and_saveexec_b32 s16, s2
	s_cbranch_execz .LBB181_19
; %bb.16:                               ;   in Loop: Header=BB181_15 Depth=1
	s_load_b32 s3, s[4:5], 0xc
	v_dual_mov_b32 v8, s18 :: v_dual_mov_b32 v9, 0xff800000
	v_dual_mov_b32 v10, v4 :: v_dual_mov_b32 v11, v5
	v_mov_b32_e32 v12, v0
	s_mov_b32 s21, 0
	s_waitcnt lgkmcnt(0)
	s_and_b32 s17, s3, 0xffff
	s_delay_alu instid0(SALU_CYCLE_1)
	s_lshl_b32 s20, s17, 1
	s_lshl_b32 s22, s17, 3
	.p2align	6
.LBB181_17:                             ;   Parent Loop BB181_15 Depth=1
                                        ; =>  This Inner Loop Header: Depth=2
	ds_load_b64 v[13:14], v10
	v_add_nc_u32_e32 v10, s22, v10
	v_add_nc_u32_e32 v12, s17, v12
	s_delay_alu instid0(VALU_DEP_1) | instskip(NEXT) | instid1(VALU_DEP_1)
	v_cmp_le_i32_e64 s3, s14, v12
	s_or_b32 s21, s3, s21
	s_waitcnt lgkmcnt(0)
	v_cmp_gt_f32_e32 vcc_lo, v13, v9
	v_cndmask_b32_e32 v9, v9, v13, vcc_lo
	v_add_nc_u32_e32 v13, 1, v11
	v_cndmask_b32_e32 v8, v8, v11, vcc_lo
	s_delay_alu instid0(VALU_DEP_3) | instskip(SKIP_1) | instid1(VALU_DEP_3)
	v_cmp_gt_f32_e32 vcc_lo, v14, v9
	v_cndmask_b32_e32 v9, v9, v14, vcc_lo
	v_dual_cndmask_b32 v8, v8, v13 :: v_dual_add_nc_u32 v11, s20, v11
	s_and_not1_b32 exec_lo, exec_lo, s21
	s_cbranch_execnz .LBB181_17
; %bb.18:                               ;   in Loop: Header=BB181_15 Depth=1
	s_or_b32 exec_lo, exec_lo, s21
.LBB181_19:                             ;   in Loop: Header=BB181_15 Depth=1
	s_delay_alu instid0(SALU_CYCLE_1)
	s_or_b32 exec_lo, exec_lo, s16
	;;#ASMSTART
	v_max_f32 v10, v9, v9 quad_perm:[1,0,3,2] row_mask:0xf bank_mask:0xf bound_ctrl:1
	;;#ASMEND
	;;#ASMSTART
	v_max_f32 v11, v10, v10 quad_perm:[2,3,0,1] row_mask:0xf bank_mask:0xf bound_ctrl:1
	;;#ASMEND
	;;#ASMSTART
	v_max_f32 v10, v11, v11 row_half_mirror row_mask:0xf bank_mask:0xf bound_ctrl:1
	;;#ASMEND
	;;#ASMSTART
	v_max_f32 v11, v10, v10 row_mirror row_mask:0xf bank_mask:0xf bound_ctrl:1
	;;#ASMEND
	v_permlanex16_b32 v10, v11, s19, 0xfedcba98 op_sel:[1,1]
	s_delay_alu instid0(VALU_DEP_1) | instskip(NEXT) | instid1(VALU_DEP_1)
	v_dual_max_f32 v11, v11, v11 :: v_dual_max_f32 v10, v10, v10
	v_max_f32_e32 v10, v11, v10
	s_delay_alu instid0(VALU_DEP_1)
	v_cmp_eq_f32_e32 vcc_lo, v9, v10
	s_ctz_i32_b32 s3, vcc_lo
	s_cmp_lg_u32 vcc_lo, 0
	s_cselect_b32 s3, s3, 0
	s_and_b32 vcc_lo, exec_lo, s12
	v_readlane_b32 s16, v8, s3
	s_cbranch_vccz .LBB181_14
; %bb.20:                               ;   in Loop: Header=BB181_15 Depth=1
	s_delay_alu instid0(VALU_DEP_1) | instskip(NEXT) | instid1(SALU_CYCLE_1)
	s_ashr_i32 s17, s16, 31
	s_lshl_b64 s[20:21], s[16:17], 1
	s_delay_alu instid0(SALU_CYCLE_1) | instskip(SKIP_4) | instid1(VALU_DEP_1)
	s_add_u32 s20, s6, s20
	s_addc_u32 s21, s7, s21
	global_load_u16 v8, v6, s[20:21]
	s_waitcnt vmcnt(0)
	v_lshlrev_b32_e32 v8, 16, v8
	v_sub_f32_e32 v10, v10, v8
	s_branch .LBB181_14
.LBB181_21:
	v_mov_b32_e32 v1, 0
	v_mov_b32_e32 v3, 0
.LBB181_22:
	s_mov_b32 s2, exec_lo
	v_cmpx_gt_i32_e64 s13, v0
	s_cbranch_execz .LBB181_25
; %bb.23:
	s_clause 0x1
	s_load_b32 s2, s[0:1], 0x34
	s_load_b32 s3, s[0:1], 0x44
	v_max_f32_e32 v3, v3, v3
	s_load_b64 s[0:1], s[0:1], 0x20
	s_ashr_i32 s4, s15, 31
	s_delay_alu instid0(VALU_DEP_1) | instskip(SKIP_1) | instid1(VALU_DEP_1)
	v_max_f32_e32 v3, 0x1e3ce508, v3
	s_waitcnt lgkmcnt(0)
	v_div_scale_f32 v4, null, v3, v3, s2
	v_div_scale_f32 v7, vcc_lo, s2, v3, s2
	s_mul_i32 s1, s15, s1
	s_delay_alu instid0(VALU_DEP_2) | instskip(SKIP_4) | instid1(VALU_DEP_1)
	v_rcp_f32_e32 v5, v4
	s_mul_i32 s4, s4, s0
	s_and_b32 s3, s3, 0xffff
	s_waitcnt_depctr 0xfff
	v_fma_f32 v6, -v4, v5, 1.0
	v_fmac_f32_e32 v5, v6, v5
	s_delay_alu instid0(VALU_DEP_1) | instskip(NEXT) | instid1(VALU_DEP_1)
	v_mul_f32_e32 v6, v7, v5
	v_fma_f32 v8, -v4, v6, v7
	s_delay_alu instid0(VALU_DEP_1) | instskip(NEXT) | instid1(VALU_DEP_1)
	v_fmac_f32_e32 v6, v8, v5
	v_fma_f32 v4, -v4, v6, v7
	s_delay_alu instid0(VALU_DEP_1) | instskip(NEXT) | instid1(VALU_DEP_1)
	v_div_fmas_f32 v4, v4, v5, v6
	v_div_fixup_f32 v3, v4, v3, s2
	s_mul_hi_u32 s2, s15, s0
	s_delay_alu instid0(SALU_CYCLE_1) | instskip(SKIP_1) | instid1(VALU_DEP_1)
	s_add_i32 s1, s2, s1
	s_mul_i32 s2, s15, s0
	v_mul_f32_e32 v2, v2, v3
	s_add_i32 s1, s1, s4
	s_mov_b32 s4, 0
	.p2align	6
.LBB181_24:                             ; =>This Inner Loop Header: Depth=1
	v_ashrrev_i32_e32 v4, 31, v0
	v_add_co_u32 v3, vcc_lo, s2, v0
	v_add_nc_u32_e32 v0, s3, v0
	s_delay_alu instid0(VALU_DEP_3) | instskip(NEXT) | instid1(VALU_DEP_2)
	v_add_co_ci_u32_e32 v4, vcc_lo, s1, v4, vcc_lo
	v_cmp_le_i32_e32 vcc_lo, s13, v0
	s_delay_alu instid0(VALU_DEP_2) | instskip(SKIP_1) | instid1(VALU_DEP_1)
	v_lshlrev_b64 v[3:4], 2, v[3:4]
	s_or_b32 s4, vcc_lo, s4
	v_add_co_u32 v5, s0, s8, v3
	s_delay_alu instid0(VALU_DEP_1) | instskip(SKIP_1) | instid1(VALU_DEP_1)
	v_add_co_ci_u32_e64 v6, s0, s9, v4, s0
	v_add_co_u32 v3, s0, s10, v3
	v_add_co_ci_u32_e64 v4, s0, s11, v4, s0
	global_store_b32 v[5:6], v2, off
	global_store_b32 v[3:4], v1, off
	s_and_not1_b32 exec_lo, exec_lo, s4
	s_cbranch_execnz .LBB181_24
.LBB181_25:
	s_nop 0
	s_sendmsg sendmsg(MSG_DEALLOC_VGPRS)
	s_endpgm
	.section	.rodata,"a",@progbits
	.p2align	6, 0x0
	.amdhsa_kernel _ZN5aiter20topk_softplus_kernelI6__half12hip_bfloat16Dv2_fLb1ELi1EEEvPKT_PKT0_PfPimiiif
		.amdhsa_group_segment_fixed_size 0
		.amdhsa_private_segment_fixed_size 0
		.amdhsa_kernarg_size 312
		.amdhsa_user_sgpr_count 15
		.amdhsa_user_sgpr_dispatch_ptr 0
		.amdhsa_user_sgpr_queue_ptr 0
		.amdhsa_user_sgpr_kernarg_segment_ptr 1
		.amdhsa_user_sgpr_dispatch_id 0
		.amdhsa_user_sgpr_private_segment_size 0
		.amdhsa_wavefront_size32 1
		.amdhsa_uses_dynamic_stack 0
		.amdhsa_enable_private_segment 0
		.amdhsa_system_sgpr_workgroup_id_x 1
		.amdhsa_system_sgpr_workgroup_id_y 0
		.amdhsa_system_sgpr_workgroup_id_z 0
		.amdhsa_system_sgpr_workgroup_info 0
		.amdhsa_system_vgpr_workitem_id 0
		.amdhsa_next_free_vgpr 15
		.amdhsa_next_free_sgpr 23
		.amdhsa_reserve_vcc 1
		.amdhsa_float_round_mode_32 0
		.amdhsa_float_round_mode_16_64 0
		.amdhsa_float_denorm_mode_32 3
		.amdhsa_float_denorm_mode_16_64 3
		.amdhsa_dx10_clamp 1
		.amdhsa_ieee_mode 1
		.amdhsa_fp16_overflow 0
		.amdhsa_workgroup_processor_mode 1
		.amdhsa_memory_ordered 1
		.amdhsa_forward_progress 0
		.amdhsa_shared_vgpr_count 0
		.amdhsa_exception_fp_ieee_invalid_op 0
		.amdhsa_exception_fp_denorm_src 0
		.amdhsa_exception_fp_ieee_div_zero 0
		.amdhsa_exception_fp_ieee_overflow 0
		.amdhsa_exception_fp_ieee_underflow 0
		.amdhsa_exception_fp_ieee_inexact 0
		.amdhsa_exception_int_div_zero 0
	.end_amdhsa_kernel
	.section	.text._ZN5aiter20topk_softplus_kernelI6__half12hip_bfloat16Dv2_fLb1ELi1EEEvPKT_PKT0_PfPimiiif,"axG",@progbits,_ZN5aiter20topk_softplus_kernelI6__half12hip_bfloat16Dv2_fLb1ELi1EEEvPKT_PKT0_PfPimiiif,comdat
.Lfunc_end181:
	.size	_ZN5aiter20topk_softplus_kernelI6__half12hip_bfloat16Dv2_fLb1ELi1EEEvPKT_PKT0_PfPimiiif, .Lfunc_end181-_ZN5aiter20topk_softplus_kernelI6__half12hip_bfloat16Dv2_fLb1ELi1EEEvPKT_PKT0_PfPimiiif
                                        ; -- End function
	.section	.AMDGPU.csdata,"",@progbits
; Kernel info:
; codeLenInByte = 1664
; NumSgprs: 25
; NumVgprs: 15
; ScratchSize: 0
; MemoryBound: 0
; FloatMode: 240
; IeeeMode: 1
; LDSByteSize: 0 bytes/workgroup (compile time only)
; SGPRBlocks: 3
; VGPRBlocks: 1
; NumSGPRsForWavesPerEU: 25
; NumVGPRsForWavesPerEU: 15
; Occupancy: 16
; WaveLimiterHint : 0
; COMPUTE_PGM_RSRC2:SCRATCH_EN: 0
; COMPUTE_PGM_RSRC2:USER_SGPR: 15
; COMPUTE_PGM_RSRC2:TRAP_HANDLER: 0
; COMPUTE_PGM_RSRC2:TGID_X_EN: 1
; COMPUTE_PGM_RSRC2:TGID_Y_EN: 0
; COMPUTE_PGM_RSRC2:TGID_Z_EN: 0
; COMPUTE_PGM_RSRC2:TIDIG_COMP_CNT: 0
	.section	.text._ZN5aiter20topk_softplus_kernelI6__half12hip_bfloat16Dv2_fLb0ELi1EEEvPKT_PKT0_PfPimiiif,"axG",@progbits,_ZN5aiter20topk_softplus_kernelI6__half12hip_bfloat16Dv2_fLb0ELi1EEEvPKT_PKT0_PfPimiiif,comdat
	.protected	_ZN5aiter20topk_softplus_kernelI6__half12hip_bfloat16Dv2_fLb0ELi1EEEvPKT_PKT0_PfPimiiif ; -- Begin function _ZN5aiter20topk_softplus_kernelI6__half12hip_bfloat16Dv2_fLb0ELi1EEEvPKT_PKT0_PfPimiiif
	.globl	_ZN5aiter20topk_softplus_kernelI6__half12hip_bfloat16Dv2_fLb0ELi1EEEvPKT_PKT0_PfPimiiif
	.p2align	8
	.type	_ZN5aiter20topk_softplus_kernelI6__half12hip_bfloat16Dv2_fLb0ELi1EEEvPKT_PKT0_PfPimiiif,@function
_ZN5aiter20topk_softplus_kernelI6__half12hip_bfloat16Dv2_fLb0ELi1EEEvPKT_PKT0_PfPimiiif: ; @_ZN5aiter20topk_softplus_kernelI6__half12hip_bfloat16Dv2_fLb0ELi1EEEvPKT_PKT0_PfPimiiif
; %bb.0:
	s_clause 0x1
	s_load_b64 s[12:13], s[0:1], 0x28
	s_load_b256 s[4:11], s[0:1], 0x0
	v_lshl_add_u32 v4, v0, 3, 0
	s_waitcnt lgkmcnt(0)
	s_lshr_b32 s3, s12, 31
	s_mul_i32 s2, s15, s12
	s_add_i32 s14, s12, s3
	s_ashr_i32 s3, s2, 31
	s_ashr_i32 s14, s14, 1
	s_lshl_b64 s[16:17], s[2:3], 1
	v_cmp_gt_i32_e64 s2, s14, v0
	s_add_u32 s4, s4, s16
	s_addc_u32 s5, s5, s17
	s_delay_alu instid0(VALU_DEP_1)
	s_and_saveexec_b32 s16, s2
	s_cbranch_execz .LBB182_7
; %bb.1:
	s_load_b32 s3, s[0:1], 0x44
	s_cmp_lg_u64 s[6:7], 0
	v_lshlrev_b32_e32 v3, 2, v0
	v_mov_b32_e32 v5, 0
	v_lshl_add_u32 v6, v0, 3, 0
	v_mov_b32_e32 v7, v0
	s_cselect_b32 s18, -1, 0
	s_mov_b32 s17, 0
	s_mov_b32 s22, 0xbfb8aa3b
	s_waitcnt lgkmcnt(0)
	s_and_b32 s19, s3, 0xffff
	s_delay_alu instid0(SALU_CYCLE_1)
	s_lshl_b32 s20, s19, 2
	s_lshl_b32 s21, s19, 3
	s_branch .LBB182_3
.LBB182_2:                              ;   in Loop: Header=BB182_3 Depth=1
	v_add_nc_u32_e32 v7, s19, v7
	v_add_co_u32 v3, s3, v3, s20
	ds_store_b64 v6, v[1:2]
	v_add_co_ci_u32_e64 v5, s3, 0, v5, s3
	v_cmp_le_i32_e32 vcc_lo, s14, v7
	v_add_nc_u32_e32 v6, s21, v6
	s_or_b32 s17, vcc_lo, s17
	s_delay_alu instid0(SALU_CYCLE_1)
	s_and_not1_b32 exec_lo, exec_lo, s17
	s_cbranch_execz .LBB182_7
.LBB182_3:                              ; =>This Inner Loop Header: Depth=1
	v_add_co_u32 v1, vcc_lo, s4, v3
	v_add_co_ci_u32_e32 v2, vcc_lo, s5, v5, vcc_lo
	global_load_b32 v2, v[1:2], off
	s_waitcnt vmcnt(0)
	v_cvt_f32_f16_e32 v1, v2
	s_delay_alu instid0(VALU_DEP_1) | instskip(NEXT) | instid1(VALU_DEP_1)
	v_mul_f32_e32 v1, 0xbfb8aa3b, v1
	v_cmp_gt_f32_e32 vcc_lo, 0xc2fc0000, v1
	v_cndmask_b32_e64 v1, 0, 0x42800000, vcc_lo
	v_cndmask_b32_e64 v8, 1.0, 0x1f800000, vcc_lo
	s_and_not1_b32 vcc_lo, exec_lo, s18
	s_delay_alu instid0(VALU_DEP_2) | instskip(NEXT) | instid1(VALU_DEP_1)
	v_fma_mix_f32 v1, v2, s22, v1 op_sel_hi:[1,0,0]
	v_exp_f32_e32 v1, v1
	s_waitcnt_depctr 0xfff
	v_fma_f32 v1, v1, v8, 1.0
	s_delay_alu instid0(VALU_DEP_1)
	v_rcp_f32_e32 v1, v1
	s_cbranch_vccnz .LBB182_5
; %bb.4:                                ;   in Loop: Header=BB182_3 Depth=1
	v_add_co_u32 v8, vcc_lo, s6, v3
	v_add_co_ci_u32_e32 v9, vcc_lo, s7, v5, vcc_lo
	global_load_u16 v8, v[8:9], off
	s_waitcnt vmcnt(0)
	v_lshlrev_b32_e32 v8, 16, v8
	s_delay_alu instid0(VALU_DEP_1)
	v_add_f32_e32 v1, v1, v8
.LBB182_5:                              ;   in Loop: Header=BB182_3 Depth=1
	v_lshrrev_b32_e32 v8, 16, v2
	s_delay_alu instid0(VALU_DEP_1) | instskip(NEXT) | instid1(VALU_DEP_1)
	v_cvt_f32_f16_e32 v8, v8
	v_mul_f32_e32 v8, 0xbfb8aa3b, v8
	s_delay_alu instid0(VALU_DEP_1) | instskip(SKIP_3) | instid1(VALU_DEP_2)
	v_cmp_gt_f32_e32 vcc_lo, 0xc2fc0000, v8
	v_cndmask_b32_e64 v9, 0, 0x42800000, vcc_lo
	v_cndmask_b32_e64 v8, 1.0, 0x1f800000, vcc_lo
	s_and_not1_b32 vcc_lo, exec_lo, s18
	v_fma_mix_f32 v2, v2, s22, v9 op_sel:[1,0,0] op_sel_hi:[1,0,0]
	s_delay_alu instid0(VALU_DEP_1) | instskip(SKIP_2) | instid1(VALU_DEP_1)
	v_exp_f32_e32 v2, v2
	s_waitcnt_depctr 0xfff
	v_fma_f32 v2, v2, v8, 1.0
	v_rcp_f32_e32 v2, v2
	s_cbranch_vccnz .LBB182_2
; %bb.6:                                ;   in Loop: Header=BB182_3 Depth=1
	v_add_co_u32 v8, vcc_lo, s6, v3
	v_add_co_ci_u32_e32 v9, vcc_lo, s7, v5, vcc_lo
	global_load_u16 v8, v[8:9], off offset:2
	s_waitcnt vmcnt(0)
	v_lshlrev_b32_e32 v8, 16, v8
	s_delay_alu instid0(VALU_DEP_1)
	v_add_f32_e32 v2, v2, v8
	s_branch .LBB182_2
.LBB182_7:
	s_or_b32 exec_lo, exec_lo, s16
	v_lshl_add_u32 v1, s14, 1, v0
	s_mov_b32 s3, exec_lo
	s_delay_alu instid0(VALU_DEP_1)
	v_cmpx_gt_i32_e64 s12, v1
	s_cbranch_execz .LBB182_12
; %bb.8:
	s_load_b32 s17, s[0:1], 0x44
	v_lshlrev_b32_e32 v2, 2, v0
	s_cmp_lg_u64 s[6:7], 0
	s_mov_b32 s20, 0xbfb8aa3b
	s_cselect_b32 s16, -1, 0
	s_lshl_b32 s18, s14, 3
	s_delay_alu instid0(SALU_CYCLE_1) | instskip(SKIP_3) | instid1(SALU_CYCLE_1)
	v_add3_u32 v5, 0, s18, v2
	s_mov_b32 s18, 0
	s_waitcnt lgkmcnt(0)
	s_and_b32 s17, s17, 0xffff
	s_lshl_b32 s19, s17, 2
	s_set_inst_prefetch_distance 0x1
	s_branch .LBB182_10
	.p2align	6
.LBB182_9:                              ;   in Loop: Header=BB182_10 Depth=1
	v_add_nc_u32_e32 v1, s17, v1
	v_add_nc_u32_e32 v5, s19, v5
	s_delay_alu instid0(VALU_DEP_2) | instskip(SKIP_1) | instid1(SALU_CYCLE_1)
	v_cmp_le_i32_e32 vcc_lo, s12, v1
	s_or_b32 s18, vcc_lo, s18
	s_and_not1_b32 exec_lo, exec_lo, s18
	s_cbranch_execz .LBB182_12
.LBB182_10:                             ; =>This Inner Loop Header: Depth=1
	v_ashrrev_i32_e32 v2, 31, v1
	s_delay_alu instid0(VALU_DEP_1) | instskip(NEXT) | instid1(VALU_DEP_1)
	v_lshlrev_b64 v[2:3], 1, v[1:2]
	v_add_co_u32 v6, vcc_lo, s4, v2
	s_delay_alu instid0(VALU_DEP_2) | instskip(SKIP_3) | instid1(VALU_DEP_1)
	v_add_co_ci_u32_e32 v7, vcc_lo, s5, v3, vcc_lo
	global_load_u16 v6, v[6:7], off
	s_waitcnt vmcnt(0)
	v_cvt_f32_f16_e32 v7, v6
	v_mul_f32_e32 v7, 0xbfb8aa3b, v7
	s_delay_alu instid0(VALU_DEP_1) | instskip(SKIP_1) | instid1(VALU_DEP_1)
	v_cmp_gt_f32_e32 vcc_lo, 0xc2fc0000, v7
	v_cndmask_b32_e64 v7, 0, 0x42800000, vcc_lo
	v_fma_mix_f32 v6, v6, s20, v7 op_sel_hi:[1,0,0]
	v_cndmask_b32_e64 v7, 1.0, 0x1f800000, vcc_lo
	s_and_not1_b32 vcc_lo, exec_lo, s16
	s_delay_alu instid0(VALU_DEP_2) | instskip(SKIP_2) | instid1(VALU_DEP_1)
	v_exp_f32_e32 v6, v6
	s_waitcnt_depctr 0xfff
	v_fma_f32 v6, v6, v7, 1.0
	v_rcp_f32_e32 v6, v6
	ds_store_b32 v5, v6
	s_cbranch_vccnz .LBB182_9
; %bb.11:                               ;   in Loop: Header=BB182_10 Depth=1
	v_add_co_u32 v2, vcc_lo, s6, v2
	v_add_co_ci_u32_e32 v3, vcc_lo, s7, v3, vcc_lo
	global_load_u16 v2, v[2:3], off
	s_waitcnt vmcnt(0)
	v_lshlrev_b32_e32 v2, 16, v2
	s_delay_alu instid0(VALU_DEP_1)
	v_add_f32_e32 v2, v6, v2
	ds_store_b32 v5, v2
	s_branch .LBB182_9
.LBB182_12:
	s_set_inst_prefetch_distance 0x2
	s_or_b32 exec_lo, exec_lo, s3
	s_cmp_lt_i32 s13, 1
	s_waitcnt lgkmcnt(0)
	s_barrier
	buffer_gl0_inv
	s_cbranch_scc1 .LBB182_21
; %bb.13:
	s_add_u32 s4, s0, 56
	s_addc_u32 s5, s1, 0
	v_dual_mov_b32 v6, 0xff800000 :: v_dual_lshlrev_b32 v3, 1, v0
	v_dual_mov_b32 v5, 0 :: v_dual_mov_b32 v2, 0
	v_mov_b32_e32 v1, 0
	s_cmp_lg_u64 s[6:7], 0
	s_mov_b32 s18, 0
	s_cselect_b32 s12, -1, 0
	s_mov_b32 s19, 0x76543210
	s_branch .LBB182_15
.LBB182_14:                             ;   in Loop: Header=BB182_15 Depth=1
	v_cmp_eq_u32_e32 vcc_lo, s18, v0
	s_delay_alu instid0(VALU_DEP_2)
	s_lshl_b32 s3, s16, 2
	s_add_i32 s18, s18, 1
	s_add_i32 s3, s3, 0
	s_cmp_eq_u32 s18, s13
	v_cndmask_b32_e64 v1, v1, s16, vcc_lo
	v_dual_mov_b32 v7, s3 :: v_dual_cndmask_b32 v2, v2, v9
	ds_store_b32 v7, v6
	s_cbranch_scc1 .LBB182_22
.LBB182_15:                             ; =>This Loop Header: Depth=1
                                        ;     Child Loop BB182_17 Depth 2
	v_dual_mov_b32 v7, s18 :: v_dual_mov_b32 v8, 0xff800000
	s_and_saveexec_b32 s16, s2
	s_cbranch_execz .LBB182_19
; %bb.16:                               ;   in Loop: Header=BB182_15 Depth=1
	s_load_b32 s3, s[4:5], 0xc
	v_dual_mov_b32 v7, s18 :: v_dual_mov_b32 v8, 0xff800000
	v_dual_mov_b32 v9, v4 :: v_dual_mov_b32 v10, v3
	v_mov_b32_e32 v11, v0
	s_mov_b32 s21, 0
	s_waitcnt lgkmcnt(0)
	s_and_b32 s17, s3, 0xffff
	s_delay_alu instid0(SALU_CYCLE_1)
	s_lshl_b32 s20, s17, 1
	s_lshl_b32 s22, s17, 3
	.p2align	6
.LBB182_17:                             ;   Parent Loop BB182_15 Depth=1
                                        ; =>  This Inner Loop Header: Depth=2
	ds_load_b64 v[12:13], v9
	v_add_nc_u32_e32 v9, s22, v9
	v_add_nc_u32_e32 v11, s17, v11
	s_delay_alu instid0(VALU_DEP_1) | instskip(NEXT) | instid1(VALU_DEP_1)
	v_cmp_le_i32_e64 s3, s14, v11
	s_or_b32 s21, s3, s21
	s_waitcnt lgkmcnt(0)
	v_cmp_gt_f32_e32 vcc_lo, v12, v8
	v_cndmask_b32_e32 v8, v8, v12, vcc_lo
	v_add_nc_u32_e32 v12, 1, v10
	v_cndmask_b32_e32 v7, v7, v10, vcc_lo
	s_delay_alu instid0(VALU_DEP_3) | instskip(SKIP_1) | instid1(VALU_DEP_3)
	v_cmp_gt_f32_e32 vcc_lo, v13, v8
	v_cndmask_b32_e32 v8, v8, v13, vcc_lo
	v_dual_cndmask_b32 v7, v7, v12 :: v_dual_add_nc_u32 v10, s20, v10
	s_and_not1_b32 exec_lo, exec_lo, s21
	s_cbranch_execnz .LBB182_17
; %bb.18:                               ;   in Loop: Header=BB182_15 Depth=1
	s_or_b32 exec_lo, exec_lo, s21
.LBB182_19:                             ;   in Loop: Header=BB182_15 Depth=1
	s_delay_alu instid0(SALU_CYCLE_1)
	s_or_b32 exec_lo, exec_lo, s16
	;;#ASMSTART
	v_max_f32 v9, v8, v8 quad_perm:[1,0,3,2] row_mask:0xf bank_mask:0xf bound_ctrl:1
	;;#ASMEND
	;;#ASMSTART
	v_max_f32 v10, v9, v9 quad_perm:[2,3,0,1] row_mask:0xf bank_mask:0xf bound_ctrl:1
	;;#ASMEND
	;;#ASMSTART
	v_max_f32 v9, v10, v10 row_half_mirror row_mask:0xf bank_mask:0xf bound_ctrl:1
	;;#ASMEND
	;;#ASMSTART
	v_max_f32 v10, v9, v9 row_mirror row_mask:0xf bank_mask:0xf bound_ctrl:1
	;;#ASMEND
	v_permlanex16_b32 v9, v10, s19, 0xfedcba98 op_sel:[1,1]
	s_delay_alu instid0(VALU_DEP_1) | instskip(NEXT) | instid1(VALU_DEP_1)
	v_dual_max_f32 v10, v10, v10 :: v_dual_max_f32 v9, v9, v9
	v_max_f32_e32 v9, v10, v9
	s_delay_alu instid0(VALU_DEP_1)
	v_cmp_eq_f32_e32 vcc_lo, v8, v9
	s_ctz_i32_b32 s3, vcc_lo
	s_cmp_lg_u32 vcc_lo, 0
	s_cselect_b32 s3, s3, 0
	s_and_b32 vcc_lo, exec_lo, s12
	v_readlane_b32 s16, v7, s3
	s_cbranch_vccz .LBB182_14
; %bb.20:                               ;   in Loop: Header=BB182_15 Depth=1
	s_delay_alu instid0(VALU_DEP_1) | instskip(NEXT) | instid1(SALU_CYCLE_1)
	s_ashr_i32 s17, s16, 31
	s_lshl_b64 s[20:21], s[16:17], 1
	s_delay_alu instid0(SALU_CYCLE_1) | instskip(SKIP_4) | instid1(VALU_DEP_1)
	s_add_u32 s20, s6, s20
	s_addc_u32 s21, s7, s21
	global_load_u16 v7, v5, s[20:21]
	s_waitcnt vmcnt(0)
	v_lshlrev_b32_e32 v7, 16, v7
	v_sub_f32_e32 v9, v9, v7
	s_branch .LBB182_14
.LBB182_21:
	v_dual_mov_b32 v2, 0 :: v_dual_mov_b32 v1, 0
.LBB182_22:
	s_mov_b32 s2, exec_lo
	v_cmpx_gt_i32_e64 s13, v0
	s_cbranch_execz .LBB182_25
; %bb.23:
	s_clause 0x2
	s_load_b32 s4, s[0:1], 0x34
	s_load_b64 s[2:3], s[0:1], 0x20
	s_load_b32 s0, s[0:1], 0x44
	s_ashr_i32 s1, s15, 31
	s_waitcnt lgkmcnt(0)
	v_mul_f32_e32 v2, s4, v2
	s_mul_i32 s3, s15, s3
	s_mul_hi_u32 s4, s15, s2
	s_mul_i32 s5, s1, s2
	s_add_i32 s3, s4, s3
	s_mul_i32 s1, s15, s2
	s_and_b32 s2, s0, 0xffff
	s_add_i32 s3, s3, s5
	s_mov_b32 s4, 0
	.p2align	6
.LBB182_24:                             ; =>This Inner Loop Header: Depth=1
	v_ashrrev_i32_e32 v4, 31, v0
	v_add_co_u32 v3, vcc_lo, s1, v0
	v_add_nc_u32_e32 v0, s2, v0
	s_delay_alu instid0(VALU_DEP_3) | instskip(NEXT) | instid1(VALU_DEP_2)
	v_add_co_ci_u32_e32 v4, vcc_lo, s3, v4, vcc_lo
	v_cmp_le_i32_e32 vcc_lo, s13, v0
	s_delay_alu instid0(VALU_DEP_2) | instskip(SKIP_1) | instid1(VALU_DEP_1)
	v_lshlrev_b64 v[3:4], 2, v[3:4]
	s_or_b32 s4, vcc_lo, s4
	v_add_co_u32 v5, s0, s8, v3
	s_delay_alu instid0(VALU_DEP_1) | instskip(SKIP_1) | instid1(VALU_DEP_1)
	v_add_co_ci_u32_e64 v6, s0, s9, v4, s0
	v_add_co_u32 v3, s0, s10, v3
	v_add_co_ci_u32_e64 v4, s0, s11, v4, s0
	global_store_b32 v[5:6], v2, off
	global_store_b32 v[3:4], v1, off
	s_and_not1_b32 exec_lo, exec_lo, s4
	s_cbranch_execnz .LBB182_24
.LBB182_25:
	s_nop 0
	s_sendmsg sendmsg(MSG_DEALLOC_VGPRS)
	s_endpgm
	.section	.rodata,"a",@progbits
	.p2align	6, 0x0
	.amdhsa_kernel _ZN5aiter20topk_softplus_kernelI6__half12hip_bfloat16Dv2_fLb0ELi1EEEvPKT_PKT0_PfPimiiif
		.amdhsa_group_segment_fixed_size 0
		.amdhsa_private_segment_fixed_size 0
		.amdhsa_kernarg_size 312
		.amdhsa_user_sgpr_count 15
		.amdhsa_user_sgpr_dispatch_ptr 0
		.amdhsa_user_sgpr_queue_ptr 0
		.amdhsa_user_sgpr_kernarg_segment_ptr 1
		.amdhsa_user_sgpr_dispatch_id 0
		.amdhsa_user_sgpr_private_segment_size 0
		.amdhsa_wavefront_size32 1
		.amdhsa_uses_dynamic_stack 0
		.amdhsa_enable_private_segment 0
		.amdhsa_system_sgpr_workgroup_id_x 1
		.amdhsa_system_sgpr_workgroup_id_y 0
		.amdhsa_system_sgpr_workgroup_id_z 0
		.amdhsa_system_sgpr_workgroup_info 0
		.amdhsa_system_vgpr_workitem_id 0
		.amdhsa_next_free_vgpr 14
		.amdhsa_next_free_sgpr 23
		.amdhsa_reserve_vcc 1
		.amdhsa_float_round_mode_32 0
		.amdhsa_float_round_mode_16_64 0
		.amdhsa_float_denorm_mode_32 3
		.amdhsa_float_denorm_mode_16_64 3
		.amdhsa_dx10_clamp 1
		.amdhsa_ieee_mode 1
		.amdhsa_fp16_overflow 0
		.amdhsa_workgroup_processor_mode 1
		.amdhsa_memory_ordered 1
		.amdhsa_forward_progress 0
		.amdhsa_shared_vgpr_count 0
		.amdhsa_exception_fp_ieee_invalid_op 0
		.amdhsa_exception_fp_denorm_src 0
		.amdhsa_exception_fp_ieee_div_zero 0
		.amdhsa_exception_fp_ieee_overflow 0
		.amdhsa_exception_fp_ieee_underflow 0
		.amdhsa_exception_fp_ieee_inexact 0
		.amdhsa_exception_int_div_zero 0
	.end_amdhsa_kernel
	.section	.text._ZN5aiter20topk_softplus_kernelI6__half12hip_bfloat16Dv2_fLb0ELi1EEEvPKT_PKT0_PfPimiiif,"axG",@progbits,_ZN5aiter20topk_softplus_kernelI6__half12hip_bfloat16Dv2_fLb0ELi1EEEvPKT_PKT0_PfPimiiif,comdat
.Lfunc_end182:
	.size	_ZN5aiter20topk_softplus_kernelI6__half12hip_bfloat16Dv2_fLb0ELi1EEEvPKT_PKT0_PfPimiiif, .Lfunc_end182-_ZN5aiter20topk_softplus_kernelI6__half12hip_bfloat16Dv2_fLb0ELi1EEEvPKT_PKT0_PfPimiiif
                                        ; -- End function
	.section	.AMDGPU.csdata,"",@progbits
; Kernel info:
; codeLenInByte = 1540
; NumSgprs: 25
; NumVgprs: 14
; ScratchSize: 0
; MemoryBound: 0
; FloatMode: 240
; IeeeMode: 1
; LDSByteSize: 0 bytes/workgroup (compile time only)
; SGPRBlocks: 3
; VGPRBlocks: 1
; NumSGPRsForWavesPerEU: 25
; NumVGPRsForWavesPerEU: 14
; Occupancy: 16
; WaveLimiterHint : 0
; COMPUTE_PGM_RSRC2:SCRATCH_EN: 0
; COMPUTE_PGM_RSRC2:USER_SGPR: 15
; COMPUTE_PGM_RSRC2:TRAP_HANDLER: 0
; COMPUTE_PGM_RSRC2:TGID_X_EN: 1
; COMPUTE_PGM_RSRC2:TGID_Y_EN: 0
; COMPUTE_PGM_RSRC2:TGID_Z_EN: 0
; COMPUTE_PGM_RSRC2:TIDIG_COMP_CNT: 0
	.section	.text._ZN5aiter20topk_softplus_kernelI6__half12hip_bfloat16Dv1_fLb1ELi1EEEvPKT_PKT0_PfPimiiif,"axG",@progbits,_ZN5aiter20topk_softplus_kernelI6__half12hip_bfloat16Dv1_fLb1ELi1EEEvPKT_PKT0_PfPimiiif,comdat
	.protected	_ZN5aiter20topk_softplus_kernelI6__half12hip_bfloat16Dv1_fLb1ELi1EEEvPKT_PKT0_PfPimiiif ; -- Begin function _ZN5aiter20topk_softplus_kernelI6__half12hip_bfloat16Dv1_fLb1ELi1EEEvPKT_PKT0_PfPimiiif
	.globl	_ZN5aiter20topk_softplus_kernelI6__half12hip_bfloat16Dv1_fLb1ELi1EEEvPKT_PKT0_PfPimiiif
	.p2align	8
	.type	_ZN5aiter20topk_softplus_kernelI6__half12hip_bfloat16Dv1_fLb1ELi1EEEvPKT_PKT0_PfPimiiif,@function
_ZN5aiter20topk_softplus_kernelI6__half12hip_bfloat16Dv1_fLb1ELi1EEEvPKT_PKT0_PfPimiiif: ; @_ZN5aiter20topk_softplus_kernelI6__half12hip_bfloat16Dv1_fLb1ELi1EEEvPKT_PKT0_PfPimiiif
; %bb.0:
	s_clause 0x1
	s_load_b64 s[12:13], s[0:1], 0x28
	s_load_b256 s[4:11], s[0:1], 0x0
	v_lshl_add_u32 v4, v0, 2, 0
	s_waitcnt lgkmcnt(0)
	s_mul_i32 s16, s15, s12
	v_cmp_gt_i32_e64 s2, s12, v0
	s_ashr_i32 s17, s16, 31
	s_delay_alu instid0(SALU_CYCLE_1) | instskip(NEXT) | instid1(SALU_CYCLE_1)
	s_lshl_b64 s[16:17], s[16:17], 1
	s_add_u32 s3, s4, s16
	s_addc_u32 s4, s5, s17
	s_and_saveexec_b32 s5, s2
	s_cbranch_execz .LBB183_5
; %bb.1:
	s_load_b32 s16, s[0:1], 0x44
	s_cmp_lg_u64 s[6:7], 0
	v_lshl_add_u32 v5, v0, 2, 0
	v_mov_b32_e32 v1, v0
	s_cselect_b32 s14, -1, 0
	s_mov_b32 s17, 0
	s_mov_b32 s19, 0xbfb8aa3b
	s_waitcnt lgkmcnt(0)
	s_and_b32 s16, s16, 0xffff
	s_delay_alu instid0(SALU_CYCLE_1)
	s_lshl_b32 s18, s16, 2
	s_set_inst_prefetch_distance 0x1
	s_branch .LBB183_3
	.p2align	6
.LBB183_2:                              ;   in Loop: Header=BB183_3 Depth=1
	v_add_nc_u32_e32 v1, s16, v1
	ds_store_b32 v5, v6
	v_add_nc_u32_e32 v5, s18, v5
	v_cmp_le_i32_e32 vcc_lo, s12, v1
	s_or_b32 s17, vcc_lo, s17
	s_delay_alu instid0(SALU_CYCLE_1)
	s_and_not1_b32 exec_lo, exec_lo, s17
	s_cbranch_execz .LBB183_5
.LBB183_3:                              ; =>This Inner Loop Header: Depth=1
	v_ashrrev_i32_e32 v2, 31, v1
	s_delay_alu instid0(VALU_DEP_1) | instskip(NEXT) | instid1(VALU_DEP_1)
	v_lshlrev_b64 v[2:3], 1, v[1:2]
	v_add_co_u32 v6, vcc_lo, s3, v2
	s_delay_alu instid0(VALU_DEP_2) | instskip(SKIP_3) | instid1(VALU_DEP_1)
	v_add_co_ci_u32_e32 v7, vcc_lo, s4, v3, vcc_lo
	global_load_u16 v6, v[6:7], off
	s_waitcnt vmcnt(0)
	v_cvt_f32_f16_e32 v7, v6
	v_mul_f32_e32 v7, 0xbfb8aa3b, v7
	s_delay_alu instid0(VALU_DEP_1) | instskip(SKIP_1) | instid1(VALU_DEP_1)
	v_cmp_gt_f32_e32 vcc_lo, 0xc2fc0000, v7
	v_cndmask_b32_e64 v7, 0, 0x42800000, vcc_lo
	v_fma_mix_f32 v6, v6, s19, v7 op_sel_hi:[1,0,0]
	v_cndmask_b32_e64 v7, 1.0, 0x1f800000, vcc_lo
	s_and_not1_b32 vcc_lo, exec_lo, s14
	s_delay_alu instid0(VALU_DEP_2) | instskip(SKIP_2) | instid1(VALU_DEP_1)
	v_exp_f32_e32 v6, v6
	s_waitcnt_depctr 0xfff
	v_fma_f32 v6, v6, v7, 1.0
	v_rcp_f32_e32 v6, v6
	s_cbranch_vccnz .LBB183_2
; %bb.4:                                ;   in Loop: Header=BB183_3 Depth=1
	v_add_co_u32 v2, vcc_lo, s6, v2
	v_add_co_ci_u32_e32 v3, vcc_lo, s7, v3, vcc_lo
	global_load_u16 v2, v[2:3], off
	s_waitcnt vmcnt(0)
	v_lshlrev_b32_e32 v2, 16, v2
	s_delay_alu instid0(VALU_DEP_1)
	v_add_f32_e32 v6, v6, v2
	s_branch .LBB183_2
.LBB183_5:
	s_set_inst_prefetch_distance 0x2
	s_or_b32 exec_lo, exec_lo, s5
	v_add_nc_u32_e32 v1, s12, v0
	s_mov_b32 s5, exec_lo
	s_delay_alu instid0(VALU_DEP_1)
	v_cmpx_gt_i32_e64 s12, v1
	s_cbranch_execz .LBB183_10
; %bb.6:
	s_load_b32 s16, s[0:1], 0x44
	s_cmp_lg_u64 s[6:7], 0
	v_lshl_add_u32 v5, v1, 2, 0
	s_cselect_b32 s14, -1, 0
	s_mov_b32 s17, 0
	s_mov_b32 s19, 0xbfb8aa3b
	s_waitcnt lgkmcnt(0)
	s_and_b32 s16, s16, 0xffff
	s_delay_alu instid0(SALU_CYCLE_1)
	s_lshl_b32 s18, s16, 2
	s_set_inst_prefetch_distance 0x1
	s_branch .LBB183_8
	.p2align	6
.LBB183_7:                              ;   in Loop: Header=BB183_8 Depth=1
	v_add_nc_u32_e32 v1, s16, v1
	v_add_nc_u32_e32 v5, s18, v5
	s_delay_alu instid0(VALU_DEP_2) | instskip(SKIP_1) | instid1(SALU_CYCLE_1)
	v_cmp_le_i32_e32 vcc_lo, s12, v1
	s_or_b32 s17, vcc_lo, s17
	s_and_not1_b32 exec_lo, exec_lo, s17
	s_cbranch_execz .LBB183_10
.LBB183_8:                              ; =>This Inner Loop Header: Depth=1
	v_ashrrev_i32_e32 v2, 31, v1
	s_delay_alu instid0(VALU_DEP_1) | instskip(NEXT) | instid1(VALU_DEP_1)
	v_lshlrev_b64 v[2:3], 1, v[1:2]
	v_add_co_u32 v6, vcc_lo, s3, v2
	s_delay_alu instid0(VALU_DEP_2) | instskip(SKIP_3) | instid1(VALU_DEP_1)
	v_add_co_ci_u32_e32 v7, vcc_lo, s4, v3, vcc_lo
	global_load_u16 v6, v[6:7], off
	s_waitcnt vmcnt(0)
	v_cvt_f32_f16_e32 v7, v6
	v_mul_f32_e32 v7, 0xbfb8aa3b, v7
	s_delay_alu instid0(VALU_DEP_1) | instskip(SKIP_1) | instid1(VALU_DEP_1)
	v_cmp_gt_f32_e32 vcc_lo, 0xc2fc0000, v7
	v_cndmask_b32_e64 v7, 0, 0x42800000, vcc_lo
	v_fma_mix_f32 v6, v6, s19, v7 op_sel_hi:[1,0,0]
	v_cndmask_b32_e64 v7, 1.0, 0x1f800000, vcc_lo
	s_and_not1_b32 vcc_lo, exec_lo, s14
	s_delay_alu instid0(VALU_DEP_2) | instskip(SKIP_2) | instid1(VALU_DEP_1)
	v_exp_f32_e32 v6, v6
	s_waitcnt_depctr 0xfff
	v_fma_f32 v6, v6, v7, 1.0
	v_rcp_f32_e32 v6, v6
	ds_store_b32 v5, v6
	s_cbranch_vccnz .LBB183_7
; %bb.9:                                ;   in Loop: Header=BB183_8 Depth=1
	v_add_co_u32 v2, vcc_lo, s6, v2
	v_add_co_ci_u32_e32 v3, vcc_lo, s7, v3, vcc_lo
	global_load_u16 v2, v[2:3], off
	s_waitcnt vmcnt(0)
	v_lshlrev_b32_e32 v2, 16, v2
	s_delay_alu instid0(VALU_DEP_1)
	v_add_f32_e32 v2, v6, v2
	ds_store_b32 v5, v2
	s_branch .LBB183_7
.LBB183_10:
	s_set_inst_prefetch_distance 0x2
	s_or_b32 exec_lo, exec_lo, s5
	v_mov_b32_e32 v2, 0
	s_cmp_lt_i32 s13, 1
	s_waitcnt lgkmcnt(0)
	s_barrier
	buffer_gl0_inv
	s_cbranch_scc1 .LBB183_19
; %bb.11:
	s_add_u32 s4, s0, 56
	s_addc_u32 s5, s1, 0
	v_dual_mov_b32 v2, 0 :: v_dual_mov_b32 v5, 0
	v_dual_mov_b32 v6, 0xff800000 :: v_dual_mov_b32 v1, 0
	v_mov_b32_e32 v3, 0
	s_cmp_lg_u64 s[6:7], 0
	s_mov_b32 s14, 0
	s_cselect_b32 s3, -1, 0
	s_mov_b32 s18, 0x76543210
	s_branch .LBB183_13
.LBB183_12:                             ;   in Loop: Header=BB183_13 Depth=1
	v_cmp_eq_u32_e32 vcc_lo, s14, v0
	s_delay_alu instid0(VALU_DEP_2) | instskip(NEXT) | instid1(VALU_DEP_2)
	s_lshl_b32 s17, s16, 2
	v_add_f32_e32 v3, v3, v9
	s_add_i32 s17, s17, 0
	s_add_i32 s14, s14, 1
	v_cndmask_b32_e64 v1, v1, s16, vcc_lo
	v_dual_mov_b32 v7, s17 :: v_dual_cndmask_b32 v2, v2, v9
	s_cmp_eq_u32 s14, s13
	ds_store_b32 v7, v6
	s_cbranch_scc1 .LBB183_20
.LBB183_13:                             ; =>This Loop Header: Depth=1
                                        ;     Child Loop BB183_15 Depth 2
	v_dual_mov_b32 v7, s14 :: v_dual_mov_b32 v8, 0xff800000
	s_and_saveexec_b32 s16, s2
	s_cbranch_execz .LBB183_17
; %bb.14:                               ;   in Loop: Header=BB183_13 Depth=1
	s_load_b32 s17, s[4:5], 0xc
	v_dual_mov_b32 v7, s14 :: v_dual_mov_b32 v8, 0xff800000
	v_mov_b32_e32 v9, v4
	v_mov_b32_e32 v10, v0
	s_mov_b32 s19, 0
	s_waitcnt lgkmcnt(0)
	s_and_b32 s17, s17, 0xffff
	s_delay_alu instid0(SALU_CYCLE_1)
	s_lshl_b32 s20, s17, 2
.LBB183_15:                             ;   Parent Loop BB183_13 Depth=1
                                        ; =>  This Inner Loop Header: Depth=2
	ds_load_b32 v11, v9
	v_add_nc_u32_e32 v9, s20, v9
	s_waitcnt lgkmcnt(0)
	v_cmp_gt_f32_e32 vcc_lo, v11, v8
	v_dual_cndmask_b32 v8, v8, v11 :: v_dual_cndmask_b32 v7, v7, v10
	v_add_nc_u32_e32 v10, s17, v10
	s_delay_alu instid0(VALU_DEP_1) | instskip(SKIP_1) | instid1(SALU_CYCLE_1)
	v_cmp_le_i32_e32 vcc_lo, s12, v10
	s_or_b32 s19, vcc_lo, s19
	s_and_not1_b32 exec_lo, exec_lo, s19
	s_cbranch_execnz .LBB183_15
; %bb.16:                               ;   in Loop: Header=BB183_13 Depth=1
	s_or_b32 exec_lo, exec_lo, s19
.LBB183_17:                             ;   in Loop: Header=BB183_13 Depth=1
	s_delay_alu instid0(SALU_CYCLE_1)
	s_or_b32 exec_lo, exec_lo, s16
	;;#ASMSTART
	v_max_f32 v9, v8, v8 quad_perm:[1,0,3,2] row_mask:0xf bank_mask:0xf bound_ctrl:1
	;;#ASMEND
	;;#ASMSTART
	v_max_f32 v10, v9, v9 quad_perm:[2,3,0,1] row_mask:0xf bank_mask:0xf bound_ctrl:1
	;;#ASMEND
	;;#ASMSTART
	v_max_f32 v9, v10, v10 row_half_mirror row_mask:0xf bank_mask:0xf bound_ctrl:1
	;;#ASMEND
	;;#ASMSTART
	v_max_f32 v10, v9, v9 row_mirror row_mask:0xf bank_mask:0xf bound_ctrl:1
	;;#ASMEND
	v_permlanex16_b32 v9, v10, s18, 0xfedcba98 op_sel:[1,1]
	s_delay_alu instid0(VALU_DEP_1) | instskip(NEXT) | instid1(VALU_DEP_1)
	v_dual_max_f32 v10, v10, v10 :: v_dual_max_f32 v9, v9, v9
	v_max_f32_e32 v9, v10, v9
	s_delay_alu instid0(VALU_DEP_1)
	v_cmp_eq_f32_e32 vcc_lo, v8, v9
	s_ctz_i32_b32 s16, vcc_lo
	s_cmp_lg_u32 vcc_lo, 0
	s_cselect_b32 s16, s16, 0
	s_and_b32 vcc_lo, exec_lo, s3
	v_readlane_b32 s16, v7, s16
	s_cbranch_vccz .LBB183_12
; %bb.18:                               ;   in Loop: Header=BB183_13 Depth=1
	s_delay_alu instid0(VALU_DEP_1) | instskip(NEXT) | instid1(SALU_CYCLE_1)
	s_ashr_i32 s17, s16, 31
	s_lshl_b64 s[20:21], s[16:17], 1
	s_delay_alu instid0(SALU_CYCLE_1) | instskip(SKIP_4) | instid1(VALU_DEP_1)
	s_add_u32 s20, s6, s20
	s_addc_u32 s21, s7, s21
	global_load_u16 v7, v5, s[20:21]
	s_waitcnt vmcnt(0)
	v_lshlrev_b32_e32 v7, 16, v7
	v_sub_f32_e32 v9, v9, v7
	s_branch .LBB183_12
.LBB183_19:
	v_mov_b32_e32 v1, 0
	v_mov_b32_e32 v3, 0
.LBB183_20:
	s_mov_b32 s2, exec_lo
	v_cmpx_gt_i32_e64 s13, v0
	s_cbranch_execz .LBB183_23
; %bb.21:
	s_clause 0x1
	s_load_b32 s2, s[0:1], 0x34
	s_load_b32 s3, s[0:1], 0x44
	v_max_f32_e32 v3, v3, v3
	s_load_b64 s[0:1], s[0:1], 0x20
	s_ashr_i32 s4, s15, 31
	s_delay_alu instid0(VALU_DEP_1) | instskip(SKIP_1) | instid1(VALU_DEP_1)
	v_max_f32_e32 v3, 0x1e3ce508, v3
	s_waitcnt lgkmcnt(0)
	v_div_scale_f32 v4, null, v3, v3, s2
	v_div_scale_f32 v7, vcc_lo, s2, v3, s2
	s_mul_i32 s1, s15, s1
	s_delay_alu instid0(VALU_DEP_2) | instskip(SKIP_4) | instid1(VALU_DEP_1)
	v_rcp_f32_e32 v5, v4
	s_mul_i32 s4, s4, s0
	s_and_b32 s3, s3, 0xffff
	s_waitcnt_depctr 0xfff
	v_fma_f32 v6, -v4, v5, 1.0
	v_fmac_f32_e32 v5, v6, v5
	s_delay_alu instid0(VALU_DEP_1) | instskip(NEXT) | instid1(VALU_DEP_1)
	v_mul_f32_e32 v6, v7, v5
	v_fma_f32 v8, -v4, v6, v7
	s_delay_alu instid0(VALU_DEP_1) | instskip(NEXT) | instid1(VALU_DEP_1)
	v_fmac_f32_e32 v6, v8, v5
	v_fma_f32 v4, -v4, v6, v7
	s_delay_alu instid0(VALU_DEP_1) | instskip(NEXT) | instid1(VALU_DEP_1)
	v_div_fmas_f32 v4, v4, v5, v6
	v_div_fixup_f32 v3, v4, v3, s2
	s_mul_hi_u32 s2, s15, s0
	s_delay_alu instid0(SALU_CYCLE_1) | instskip(SKIP_1) | instid1(VALU_DEP_1)
	s_add_i32 s1, s2, s1
	s_mul_i32 s2, s15, s0
	v_mul_f32_e32 v2, v2, v3
	s_add_i32 s1, s1, s4
	s_mov_b32 s4, 0
	.p2align	6
.LBB183_22:                             ; =>This Inner Loop Header: Depth=1
	v_ashrrev_i32_e32 v4, 31, v0
	v_add_co_u32 v3, vcc_lo, s2, v0
	v_add_nc_u32_e32 v0, s3, v0
	s_delay_alu instid0(VALU_DEP_3) | instskip(NEXT) | instid1(VALU_DEP_2)
	v_add_co_ci_u32_e32 v4, vcc_lo, s1, v4, vcc_lo
	v_cmp_le_i32_e32 vcc_lo, s13, v0
	s_delay_alu instid0(VALU_DEP_2) | instskip(SKIP_1) | instid1(VALU_DEP_1)
	v_lshlrev_b64 v[3:4], 2, v[3:4]
	s_or_b32 s4, vcc_lo, s4
	v_add_co_u32 v5, s0, s8, v3
	s_delay_alu instid0(VALU_DEP_1) | instskip(SKIP_1) | instid1(VALU_DEP_1)
	v_add_co_ci_u32_e64 v6, s0, s9, v4, s0
	v_add_co_u32 v3, s0, s10, v3
	v_add_co_ci_u32_e64 v4, s0, s11, v4, s0
	global_store_b32 v[5:6], v2, off
	global_store_b32 v[3:4], v1, off
	s_and_not1_b32 exec_lo, exec_lo, s4
	s_cbranch_execnz .LBB183_22
.LBB183_23:
	s_nop 0
	s_sendmsg sendmsg(MSG_DEALLOC_VGPRS)
	s_endpgm
	.section	.rodata,"a",@progbits
	.p2align	6, 0x0
	.amdhsa_kernel _ZN5aiter20topk_softplus_kernelI6__half12hip_bfloat16Dv1_fLb1ELi1EEEvPKT_PKT0_PfPimiiif
		.amdhsa_group_segment_fixed_size 0
		.amdhsa_private_segment_fixed_size 0
		.amdhsa_kernarg_size 312
		.amdhsa_user_sgpr_count 15
		.amdhsa_user_sgpr_dispatch_ptr 0
		.amdhsa_user_sgpr_queue_ptr 0
		.amdhsa_user_sgpr_kernarg_segment_ptr 1
		.amdhsa_user_sgpr_dispatch_id 0
		.amdhsa_user_sgpr_private_segment_size 0
		.amdhsa_wavefront_size32 1
		.amdhsa_uses_dynamic_stack 0
		.amdhsa_enable_private_segment 0
		.amdhsa_system_sgpr_workgroup_id_x 1
		.amdhsa_system_sgpr_workgroup_id_y 0
		.amdhsa_system_sgpr_workgroup_id_z 0
		.amdhsa_system_sgpr_workgroup_info 0
		.amdhsa_system_vgpr_workitem_id 0
		.amdhsa_next_free_vgpr 12
		.amdhsa_next_free_sgpr 22
		.amdhsa_reserve_vcc 1
		.amdhsa_float_round_mode_32 0
		.amdhsa_float_round_mode_16_64 0
		.amdhsa_float_denorm_mode_32 3
		.amdhsa_float_denorm_mode_16_64 3
		.amdhsa_dx10_clamp 1
		.amdhsa_ieee_mode 1
		.amdhsa_fp16_overflow 0
		.amdhsa_workgroup_processor_mode 1
		.amdhsa_memory_ordered 1
		.amdhsa_forward_progress 0
		.amdhsa_shared_vgpr_count 0
		.amdhsa_exception_fp_ieee_invalid_op 0
		.amdhsa_exception_fp_denorm_src 0
		.amdhsa_exception_fp_ieee_div_zero 0
		.amdhsa_exception_fp_ieee_overflow 0
		.amdhsa_exception_fp_ieee_underflow 0
		.amdhsa_exception_fp_ieee_inexact 0
		.amdhsa_exception_int_div_zero 0
	.end_amdhsa_kernel
	.section	.text._ZN5aiter20topk_softplus_kernelI6__half12hip_bfloat16Dv1_fLb1ELi1EEEvPKT_PKT0_PfPimiiif,"axG",@progbits,_ZN5aiter20topk_softplus_kernelI6__half12hip_bfloat16Dv1_fLb1ELi1EEEvPKT_PKT0_PfPimiiif,comdat
.Lfunc_end183:
	.size	_ZN5aiter20topk_softplus_kernelI6__half12hip_bfloat16Dv1_fLb1ELi1EEEvPKT_PKT0_PfPimiiif, .Lfunc_end183-_ZN5aiter20topk_softplus_kernelI6__half12hip_bfloat16Dv1_fLb1ELi1EEEvPKT_PKT0_PfPimiiif
                                        ; -- End function
	.section	.AMDGPU.csdata,"",@progbits
; Kernel info:
; codeLenInByte = 1464
; NumSgprs: 24
; NumVgprs: 12
; ScratchSize: 0
; MemoryBound: 0
; FloatMode: 240
; IeeeMode: 1
; LDSByteSize: 0 bytes/workgroup (compile time only)
; SGPRBlocks: 2
; VGPRBlocks: 1
; NumSGPRsForWavesPerEU: 24
; NumVGPRsForWavesPerEU: 12
; Occupancy: 16
; WaveLimiterHint : 0
; COMPUTE_PGM_RSRC2:SCRATCH_EN: 0
; COMPUTE_PGM_RSRC2:USER_SGPR: 15
; COMPUTE_PGM_RSRC2:TRAP_HANDLER: 0
; COMPUTE_PGM_RSRC2:TGID_X_EN: 1
; COMPUTE_PGM_RSRC2:TGID_Y_EN: 0
; COMPUTE_PGM_RSRC2:TGID_Z_EN: 0
; COMPUTE_PGM_RSRC2:TIDIG_COMP_CNT: 0
	.section	.text._ZN5aiter20topk_softplus_kernelI6__half12hip_bfloat16Dv1_fLb0ELi1EEEvPKT_PKT0_PfPimiiif,"axG",@progbits,_ZN5aiter20topk_softplus_kernelI6__half12hip_bfloat16Dv1_fLb0ELi1EEEvPKT_PKT0_PfPimiiif,comdat
	.protected	_ZN5aiter20topk_softplus_kernelI6__half12hip_bfloat16Dv1_fLb0ELi1EEEvPKT_PKT0_PfPimiiif ; -- Begin function _ZN5aiter20topk_softplus_kernelI6__half12hip_bfloat16Dv1_fLb0ELi1EEEvPKT_PKT0_PfPimiiif
	.globl	_ZN5aiter20topk_softplus_kernelI6__half12hip_bfloat16Dv1_fLb0ELi1EEEvPKT_PKT0_PfPimiiif
	.p2align	8
	.type	_ZN5aiter20topk_softplus_kernelI6__half12hip_bfloat16Dv1_fLb0ELi1EEEvPKT_PKT0_PfPimiiif,@function
_ZN5aiter20topk_softplus_kernelI6__half12hip_bfloat16Dv1_fLb0ELi1EEEvPKT_PKT0_PfPimiiif: ; @_ZN5aiter20topk_softplus_kernelI6__half12hip_bfloat16Dv1_fLb0ELi1EEEvPKT_PKT0_PfPimiiif
; %bb.0:
	s_clause 0x1
	s_load_b64 s[12:13], s[0:1], 0x28
	s_load_b256 s[4:11], s[0:1], 0x0
	v_lshl_add_u32 v4, v0, 2, 0
	s_waitcnt lgkmcnt(0)
	s_mul_i32 s16, s15, s12
	v_cmp_gt_i32_e64 s2, s12, v0
	s_ashr_i32 s17, s16, 31
	s_delay_alu instid0(SALU_CYCLE_1) | instskip(NEXT) | instid1(SALU_CYCLE_1)
	s_lshl_b64 s[16:17], s[16:17], 1
	s_add_u32 s3, s4, s16
	s_addc_u32 s4, s5, s17
	s_and_saveexec_b32 s5, s2
	s_cbranch_execz .LBB184_5
; %bb.1:
	s_load_b32 s16, s[0:1], 0x44
	s_cmp_lg_u64 s[6:7], 0
	v_lshl_add_u32 v5, v0, 2, 0
	v_mov_b32_e32 v1, v0
	s_cselect_b32 s14, -1, 0
	s_mov_b32 s17, 0
	s_mov_b32 s19, 0xbfb8aa3b
	s_waitcnt lgkmcnt(0)
	s_and_b32 s16, s16, 0xffff
	s_delay_alu instid0(SALU_CYCLE_1)
	s_lshl_b32 s18, s16, 2
	s_set_inst_prefetch_distance 0x1
	s_branch .LBB184_3
	.p2align	6
.LBB184_2:                              ;   in Loop: Header=BB184_3 Depth=1
	v_add_nc_u32_e32 v1, s16, v1
	ds_store_b32 v5, v6
	v_add_nc_u32_e32 v5, s18, v5
	v_cmp_le_i32_e32 vcc_lo, s12, v1
	s_or_b32 s17, vcc_lo, s17
	s_delay_alu instid0(SALU_CYCLE_1)
	s_and_not1_b32 exec_lo, exec_lo, s17
	s_cbranch_execz .LBB184_5
.LBB184_3:                              ; =>This Inner Loop Header: Depth=1
	v_ashrrev_i32_e32 v2, 31, v1
	s_delay_alu instid0(VALU_DEP_1) | instskip(NEXT) | instid1(VALU_DEP_1)
	v_lshlrev_b64 v[2:3], 1, v[1:2]
	v_add_co_u32 v6, vcc_lo, s3, v2
	s_delay_alu instid0(VALU_DEP_2) | instskip(SKIP_3) | instid1(VALU_DEP_1)
	v_add_co_ci_u32_e32 v7, vcc_lo, s4, v3, vcc_lo
	global_load_u16 v6, v[6:7], off
	s_waitcnt vmcnt(0)
	v_cvt_f32_f16_e32 v7, v6
	v_mul_f32_e32 v7, 0xbfb8aa3b, v7
	s_delay_alu instid0(VALU_DEP_1) | instskip(SKIP_1) | instid1(VALU_DEP_1)
	v_cmp_gt_f32_e32 vcc_lo, 0xc2fc0000, v7
	v_cndmask_b32_e64 v7, 0, 0x42800000, vcc_lo
	v_fma_mix_f32 v6, v6, s19, v7 op_sel_hi:[1,0,0]
	v_cndmask_b32_e64 v7, 1.0, 0x1f800000, vcc_lo
	s_and_not1_b32 vcc_lo, exec_lo, s14
	s_delay_alu instid0(VALU_DEP_2) | instskip(SKIP_2) | instid1(VALU_DEP_1)
	v_exp_f32_e32 v6, v6
	s_waitcnt_depctr 0xfff
	v_fma_f32 v6, v6, v7, 1.0
	v_rcp_f32_e32 v6, v6
	s_cbranch_vccnz .LBB184_2
; %bb.4:                                ;   in Loop: Header=BB184_3 Depth=1
	v_add_co_u32 v2, vcc_lo, s6, v2
	v_add_co_ci_u32_e32 v3, vcc_lo, s7, v3, vcc_lo
	global_load_u16 v2, v[2:3], off
	s_waitcnt vmcnt(0)
	v_lshlrev_b32_e32 v2, 16, v2
	s_delay_alu instid0(VALU_DEP_1)
	v_add_f32_e32 v6, v6, v2
	s_branch .LBB184_2
.LBB184_5:
	s_set_inst_prefetch_distance 0x2
	s_or_b32 exec_lo, exec_lo, s5
	v_add_nc_u32_e32 v1, s12, v0
	s_mov_b32 s5, exec_lo
	s_delay_alu instid0(VALU_DEP_1)
	v_cmpx_gt_i32_e64 s12, v1
	s_cbranch_execz .LBB184_10
; %bb.6:
	s_load_b32 s16, s[0:1], 0x44
	s_cmp_lg_u64 s[6:7], 0
	v_lshl_add_u32 v5, v1, 2, 0
	s_cselect_b32 s14, -1, 0
	s_mov_b32 s17, 0
	s_mov_b32 s19, 0xbfb8aa3b
	s_waitcnt lgkmcnt(0)
	s_and_b32 s16, s16, 0xffff
	s_delay_alu instid0(SALU_CYCLE_1)
	s_lshl_b32 s18, s16, 2
	s_set_inst_prefetch_distance 0x1
	s_branch .LBB184_8
	.p2align	6
.LBB184_7:                              ;   in Loop: Header=BB184_8 Depth=1
	v_add_nc_u32_e32 v1, s16, v1
	v_add_nc_u32_e32 v5, s18, v5
	s_delay_alu instid0(VALU_DEP_2) | instskip(SKIP_1) | instid1(SALU_CYCLE_1)
	v_cmp_le_i32_e32 vcc_lo, s12, v1
	s_or_b32 s17, vcc_lo, s17
	s_and_not1_b32 exec_lo, exec_lo, s17
	s_cbranch_execz .LBB184_10
.LBB184_8:                              ; =>This Inner Loop Header: Depth=1
	v_ashrrev_i32_e32 v2, 31, v1
	s_delay_alu instid0(VALU_DEP_1) | instskip(NEXT) | instid1(VALU_DEP_1)
	v_lshlrev_b64 v[2:3], 1, v[1:2]
	v_add_co_u32 v6, vcc_lo, s3, v2
	s_delay_alu instid0(VALU_DEP_2) | instskip(SKIP_3) | instid1(VALU_DEP_1)
	v_add_co_ci_u32_e32 v7, vcc_lo, s4, v3, vcc_lo
	global_load_u16 v6, v[6:7], off
	s_waitcnt vmcnt(0)
	v_cvt_f32_f16_e32 v7, v6
	v_mul_f32_e32 v7, 0xbfb8aa3b, v7
	s_delay_alu instid0(VALU_DEP_1) | instskip(SKIP_1) | instid1(VALU_DEP_1)
	v_cmp_gt_f32_e32 vcc_lo, 0xc2fc0000, v7
	v_cndmask_b32_e64 v7, 0, 0x42800000, vcc_lo
	v_fma_mix_f32 v6, v6, s19, v7 op_sel_hi:[1,0,0]
	v_cndmask_b32_e64 v7, 1.0, 0x1f800000, vcc_lo
	s_and_not1_b32 vcc_lo, exec_lo, s14
	s_delay_alu instid0(VALU_DEP_2) | instskip(SKIP_2) | instid1(VALU_DEP_1)
	v_exp_f32_e32 v6, v6
	s_waitcnt_depctr 0xfff
	v_fma_f32 v6, v6, v7, 1.0
	v_rcp_f32_e32 v6, v6
	ds_store_b32 v5, v6
	s_cbranch_vccnz .LBB184_7
; %bb.9:                                ;   in Loop: Header=BB184_8 Depth=1
	v_add_co_u32 v2, vcc_lo, s6, v2
	v_add_co_ci_u32_e32 v3, vcc_lo, s7, v3, vcc_lo
	global_load_u16 v2, v[2:3], off
	s_waitcnt vmcnt(0)
	v_lshlrev_b32_e32 v2, 16, v2
	s_delay_alu instid0(VALU_DEP_1)
	v_add_f32_e32 v2, v6, v2
	ds_store_b32 v5, v2
	s_branch .LBB184_7
.LBB184_10:
	s_set_inst_prefetch_distance 0x2
	s_or_b32 exec_lo, exec_lo, s5
	s_cmp_lt_i32 s13, 1
	s_waitcnt lgkmcnt(0)
	s_barrier
	buffer_gl0_inv
	s_cbranch_scc1 .LBB184_19
; %bb.11:
	s_add_u32 s4, s0, 56
	s_addc_u32 s5, s1, 0
	v_dual_mov_b32 v3, 0 :: v_dual_mov_b32 v2, 0
	v_mov_b32_e32 v1, 0
	v_mov_b32_e32 v5, 0xff800000
	s_cmp_lg_u64 s[6:7], 0
	s_mov_b32 s14, 0
	s_cselect_b32 s3, -1, 0
	s_mov_b32 s18, 0x76543210
	s_branch .LBB184_13
.LBB184_12:                             ;   in Loop: Header=BB184_13 Depth=1
	v_cmp_eq_u32_e32 vcc_lo, s14, v0
	s_delay_alu instid0(VALU_DEP_2)
	s_lshl_b32 s17, s16, 2
	s_add_i32 s14, s14, 1
	s_add_i32 s17, s17, 0
	s_cmp_eq_u32 s14, s13
	v_cndmask_b32_e64 v1, v1, s16, vcc_lo
	v_mov_b32_e32 v6, s17
	v_cndmask_b32_e32 v2, v2, v8, vcc_lo
	ds_store_b32 v6, v5
	s_cbranch_scc1 .LBB184_20
.LBB184_13:                             ; =>This Loop Header: Depth=1
                                        ;     Child Loop BB184_15 Depth 2
	v_dual_mov_b32 v6, s14 :: v_dual_mov_b32 v7, 0xff800000
	s_and_saveexec_b32 s16, s2
	s_cbranch_execz .LBB184_17
; %bb.14:                               ;   in Loop: Header=BB184_13 Depth=1
	s_load_b32 s17, s[4:5], 0xc
	v_dual_mov_b32 v6, s14 :: v_dual_mov_b32 v7, 0xff800000
	v_mov_b32_e32 v8, v4
	v_mov_b32_e32 v9, v0
	s_mov_b32 s19, 0
	s_waitcnt lgkmcnt(0)
	s_and_b32 s17, s17, 0xffff
	s_delay_alu instid0(SALU_CYCLE_1)
	s_lshl_b32 s20, s17, 2
.LBB184_15:                             ;   Parent Loop BB184_13 Depth=1
                                        ; =>  This Inner Loop Header: Depth=2
	ds_load_b32 v10, v8
	v_add_nc_u32_e32 v8, s20, v8
	s_waitcnt lgkmcnt(0)
	v_cmp_gt_f32_e32 vcc_lo, v10, v7
	v_dual_cndmask_b32 v7, v7, v10 :: v_dual_cndmask_b32 v6, v6, v9
	v_add_nc_u32_e32 v9, s17, v9
	s_delay_alu instid0(VALU_DEP_1) | instskip(SKIP_1) | instid1(SALU_CYCLE_1)
	v_cmp_le_i32_e32 vcc_lo, s12, v9
	s_or_b32 s19, vcc_lo, s19
	s_and_not1_b32 exec_lo, exec_lo, s19
	s_cbranch_execnz .LBB184_15
; %bb.16:                               ;   in Loop: Header=BB184_13 Depth=1
	s_or_b32 exec_lo, exec_lo, s19
.LBB184_17:                             ;   in Loop: Header=BB184_13 Depth=1
	s_delay_alu instid0(SALU_CYCLE_1)
	s_or_b32 exec_lo, exec_lo, s16
	;;#ASMSTART
	v_max_f32 v8, v7, v7 quad_perm:[1,0,3,2] row_mask:0xf bank_mask:0xf bound_ctrl:1
	;;#ASMEND
	;;#ASMSTART
	v_max_f32 v9, v8, v8 quad_perm:[2,3,0,1] row_mask:0xf bank_mask:0xf bound_ctrl:1
	;;#ASMEND
	;;#ASMSTART
	v_max_f32 v8, v9, v9 row_half_mirror row_mask:0xf bank_mask:0xf bound_ctrl:1
	;;#ASMEND
	;;#ASMSTART
	v_max_f32 v9, v8, v8 row_mirror row_mask:0xf bank_mask:0xf bound_ctrl:1
	;;#ASMEND
	v_permlanex16_b32 v8, v9, s18, 0xfedcba98 op_sel:[1,1]
	s_delay_alu instid0(VALU_DEP_1) | instskip(NEXT) | instid1(VALU_DEP_1)
	v_dual_max_f32 v9, v9, v9 :: v_dual_max_f32 v8, v8, v8
	v_max_f32_e32 v8, v9, v8
	s_delay_alu instid0(VALU_DEP_1)
	v_cmp_eq_f32_e32 vcc_lo, v7, v8
	s_ctz_i32_b32 s16, vcc_lo
	s_cmp_lg_u32 vcc_lo, 0
	s_cselect_b32 s16, s16, 0
	s_and_b32 vcc_lo, exec_lo, s3
	v_readlane_b32 s16, v6, s16
	s_cbranch_vccz .LBB184_12
; %bb.18:                               ;   in Loop: Header=BB184_13 Depth=1
	s_delay_alu instid0(VALU_DEP_1) | instskip(NEXT) | instid1(SALU_CYCLE_1)
	s_ashr_i32 s17, s16, 31
	s_lshl_b64 s[20:21], s[16:17], 1
	s_delay_alu instid0(SALU_CYCLE_1) | instskip(SKIP_4) | instid1(VALU_DEP_1)
	s_add_u32 s20, s6, s20
	s_addc_u32 s21, s7, s21
	global_load_u16 v6, v3, s[20:21]
	s_waitcnt vmcnt(0)
	v_lshlrev_b32_e32 v6, 16, v6
	v_sub_f32_e32 v8, v8, v6
	s_branch .LBB184_12
.LBB184_19:
	v_dual_mov_b32 v2, 0 :: v_dual_mov_b32 v1, 0
.LBB184_20:
	s_mov_b32 s2, exec_lo
	v_cmpx_gt_i32_e64 s13, v0
	s_cbranch_execz .LBB184_23
; %bb.21:
	s_clause 0x2
	s_load_b32 s4, s[0:1], 0x34
	s_load_b64 s[2:3], s[0:1], 0x20
	s_load_b32 s0, s[0:1], 0x44
	s_ashr_i32 s1, s15, 31
	s_waitcnt lgkmcnt(0)
	v_mul_f32_e32 v2, s4, v2
	s_mul_i32 s3, s15, s3
	s_mul_hi_u32 s4, s15, s2
	s_mul_i32 s5, s1, s2
	s_add_i32 s3, s4, s3
	s_mul_i32 s1, s15, s2
	s_and_b32 s2, s0, 0xffff
	s_add_i32 s3, s3, s5
	s_mov_b32 s4, 0
	.p2align	6
.LBB184_22:                             ; =>This Inner Loop Header: Depth=1
	v_ashrrev_i32_e32 v4, 31, v0
	v_add_co_u32 v3, vcc_lo, s1, v0
	v_add_nc_u32_e32 v0, s2, v0
	s_delay_alu instid0(VALU_DEP_3) | instskip(NEXT) | instid1(VALU_DEP_2)
	v_add_co_ci_u32_e32 v4, vcc_lo, s3, v4, vcc_lo
	v_cmp_le_i32_e32 vcc_lo, s13, v0
	s_delay_alu instid0(VALU_DEP_2) | instskip(SKIP_1) | instid1(VALU_DEP_1)
	v_lshlrev_b64 v[3:4], 2, v[3:4]
	s_or_b32 s4, vcc_lo, s4
	v_add_co_u32 v5, s0, s8, v3
	s_delay_alu instid0(VALU_DEP_1) | instskip(SKIP_1) | instid1(VALU_DEP_1)
	v_add_co_ci_u32_e64 v6, s0, s9, v4, s0
	v_add_co_u32 v3, s0, s10, v3
	v_add_co_ci_u32_e64 v4, s0, s11, v4, s0
	global_store_b32 v[5:6], v2, off
	global_store_b32 v[3:4], v1, off
	s_and_not1_b32 exec_lo, exec_lo, s4
	s_cbranch_execnz .LBB184_22
.LBB184_23:
	s_nop 0
	s_sendmsg sendmsg(MSG_DEALLOC_VGPRS)
	s_endpgm
	.section	.rodata,"a",@progbits
	.p2align	6, 0x0
	.amdhsa_kernel _ZN5aiter20topk_softplus_kernelI6__half12hip_bfloat16Dv1_fLb0ELi1EEEvPKT_PKT0_PfPimiiif
		.amdhsa_group_segment_fixed_size 0
		.amdhsa_private_segment_fixed_size 0
		.amdhsa_kernarg_size 312
		.amdhsa_user_sgpr_count 15
		.amdhsa_user_sgpr_dispatch_ptr 0
		.amdhsa_user_sgpr_queue_ptr 0
		.amdhsa_user_sgpr_kernarg_segment_ptr 1
		.amdhsa_user_sgpr_dispatch_id 0
		.amdhsa_user_sgpr_private_segment_size 0
		.amdhsa_wavefront_size32 1
		.amdhsa_uses_dynamic_stack 0
		.amdhsa_enable_private_segment 0
		.amdhsa_system_sgpr_workgroup_id_x 1
		.amdhsa_system_sgpr_workgroup_id_y 0
		.amdhsa_system_sgpr_workgroup_id_z 0
		.amdhsa_system_sgpr_workgroup_info 0
		.amdhsa_system_vgpr_workitem_id 0
		.amdhsa_next_free_vgpr 11
		.amdhsa_next_free_sgpr 22
		.amdhsa_reserve_vcc 1
		.amdhsa_float_round_mode_32 0
		.amdhsa_float_round_mode_16_64 0
		.amdhsa_float_denorm_mode_32 3
		.amdhsa_float_denorm_mode_16_64 3
		.amdhsa_dx10_clamp 1
		.amdhsa_ieee_mode 1
		.amdhsa_fp16_overflow 0
		.amdhsa_workgroup_processor_mode 1
		.amdhsa_memory_ordered 1
		.amdhsa_forward_progress 0
		.amdhsa_shared_vgpr_count 0
		.amdhsa_exception_fp_ieee_invalid_op 0
		.amdhsa_exception_fp_denorm_src 0
		.amdhsa_exception_fp_ieee_div_zero 0
		.amdhsa_exception_fp_ieee_overflow 0
		.amdhsa_exception_fp_ieee_underflow 0
		.amdhsa_exception_fp_ieee_inexact 0
		.amdhsa_exception_int_div_zero 0
	.end_amdhsa_kernel
	.section	.text._ZN5aiter20topk_softplus_kernelI6__half12hip_bfloat16Dv1_fLb0ELi1EEEvPKT_PKT0_PfPimiiif,"axG",@progbits,_ZN5aiter20topk_softplus_kernelI6__half12hip_bfloat16Dv1_fLb0ELi1EEEvPKT_PKT0_PfPimiiif,comdat
.Lfunc_end184:
	.size	_ZN5aiter20topk_softplus_kernelI6__half12hip_bfloat16Dv1_fLb0ELi1EEEvPKT_PKT0_PfPimiiif, .Lfunc_end184-_ZN5aiter20topk_softplus_kernelI6__half12hip_bfloat16Dv1_fLb0ELi1EEEvPKT_PKT0_PfPimiiif
                                        ; -- End function
	.section	.AMDGPU.csdata,"",@progbits
; Kernel info:
; codeLenInByte = 1340
; NumSgprs: 24
; NumVgprs: 11
; ScratchSize: 0
; MemoryBound: 0
; FloatMode: 240
; IeeeMode: 1
; LDSByteSize: 0 bytes/workgroup (compile time only)
; SGPRBlocks: 2
; VGPRBlocks: 1
; NumSGPRsForWavesPerEU: 24
; NumVGPRsForWavesPerEU: 11
; Occupancy: 16
; WaveLimiterHint : 0
; COMPUTE_PGM_RSRC2:SCRATCH_EN: 0
; COMPUTE_PGM_RSRC2:USER_SGPR: 15
; COMPUTE_PGM_RSRC2:TRAP_HANDLER: 0
; COMPUTE_PGM_RSRC2:TGID_X_EN: 1
; COMPUTE_PGM_RSRC2:TGID_Y_EN: 0
; COMPUTE_PGM_RSRC2:TGID_Z_EN: 0
; COMPUTE_PGM_RSRC2:TIDIG_COMP_CNT: 0
	.section	.text._ZN5aiter20topk_softplus_kernelI6__half12hip_bfloat16Dv4_fLb1ELi2EEEvPKT_PKT0_PfPimiiif,"axG",@progbits,_ZN5aiter20topk_softplus_kernelI6__half12hip_bfloat16Dv4_fLb1ELi2EEEvPKT_PKT0_PfPimiiif,comdat
	.protected	_ZN5aiter20topk_softplus_kernelI6__half12hip_bfloat16Dv4_fLb1ELi2EEEvPKT_PKT0_PfPimiiif ; -- Begin function _ZN5aiter20topk_softplus_kernelI6__half12hip_bfloat16Dv4_fLb1ELi2EEEvPKT_PKT0_PfPimiiif
	.globl	_ZN5aiter20topk_softplus_kernelI6__half12hip_bfloat16Dv4_fLb1ELi2EEEvPKT_PKT0_PfPimiiif
	.p2align	8
	.type	_ZN5aiter20topk_softplus_kernelI6__half12hip_bfloat16Dv4_fLb1ELi2EEEvPKT_PKT0_PfPimiiif,@function
_ZN5aiter20topk_softplus_kernelI6__half12hip_bfloat16Dv4_fLb1ELi2EEEvPKT_PKT0_PfPimiiif: ; @_ZN5aiter20topk_softplus_kernelI6__half12hip_bfloat16Dv4_fLb1ELi2EEEvPKT_PKT0_PfPimiiif
; %bb.0:
	s_clause 0x1
	s_load_b64 s[12:13], s[0:1], 0x28
	s_load_b256 s[4:11], s[0:1], 0x0
	v_lshl_add_u32 v3, v0, 4, 0
	s_waitcnt lgkmcnt(0)
	s_ashr_i32 s2, s12, 31
	s_mul_i32 s16, s15, s12
	s_lshr_b32 s2, s2, 30
	s_ashr_i32 s17, s16, 31
	s_add_i32 s2, s12, s2
	s_delay_alu instid0(SALU_CYCLE_1) | instskip(NEXT) | instid1(SALU_CYCLE_1)
	s_ashr_i32 s14, s2, 2
	v_cmp_gt_i32_e64 s2, s14, v0
	s_delay_alu instid0(VALU_DEP_1)
	s_and_saveexec_b32 s18, s2
	s_cbranch_execz .LBB185_3
; %bb.1:
	s_load_b32 s3, s[0:1], 0x44
	v_lshlrev_b32_e32 v1, 3, v0
	s_lshl_b64 s[20:21], s[16:17], 1
	v_lshl_add_u32 v4, v0, 4, 0
	v_mov_b32_e32 v5, v0
	s_waitcnt lgkmcnt(0)
	s_and_b32 s19, s3, 0xffff
	s_add_u32 s3, s4, s20
	s_addc_u32 s20, s5, s21
	v_add_co_u32 v1, s3, s3, v1
	s_delay_alu instid0(VALU_DEP_1)
	v_add_co_ci_u32_e64 v2, null, s20, 0, s3
	s_mov_b32 s20, 0
	s_lshl_b32 s21, s19, 3
	s_lshl_b32 s22, s19, 4
	.p2align	6
.LBB185_2:                              ; =>This Inner Loop Header: Depth=1
	global_load_b64 v[6:7], v[1:2], off
	v_add_nc_u32_e32 v5, s19, v5
	v_add_co_u32 v1, vcc_lo, v1, s21
	v_add_co_ci_u32_e32 v2, vcc_lo, 0, v2, vcc_lo
	s_delay_alu instid0(VALU_DEP_3) | instskip(NEXT) | instid1(VALU_DEP_1)
	v_cmp_le_i32_e64 s3, s14, v5
	s_or_b32 s20, s3, s20
	s_waitcnt vmcnt(0)
	v_lshrrev_b32_e32 v9, 16, v6
	v_lshrrev_b32_e32 v10, 16, v7
	v_cvt_f32_f16_e32 v6, v6
	v_cvt_f32_f16_e32 v8, v7
	s_delay_alu instid0(VALU_DEP_4) | instskip(NEXT) | instid1(VALU_DEP_4)
	v_cvt_f32_f16_e32 v7, v9
	v_cvt_f32_f16_e32 v9, v10
	ds_store_b128 v4, v[6:9]
	v_add_nc_u32_e32 v4, s22, v4
	s_and_not1_b32 exec_lo, exec_lo, s20
	s_cbranch_execnz .LBB185_2
.LBB185_3:
	s_or_b32 exec_lo, exec_lo, s18
	v_lshl_add_u32 v1, s14, 2, v0
	v_lshlrev_b32_e32 v4, 2, v0
	s_mov_b32 s3, exec_lo
	s_delay_alu instid0(VALU_DEP_2)
	v_cmpx_gt_i32_e64 s12, v1
	s_cbranch_execz .LBB185_6
; %bb.4:
	s_load_b32 s18, s[0:1], 0x44
	s_lshl_b64 s[16:17], s[16:17], 1
	v_lshlrev_b32_e32 v2, 2, v0
	s_add_u32 s4, s4, s16
	s_addc_u32 s5, s5, s17
	s_lshl_b32 s16, s14, 4
	s_mov_b32 s17, 0
	v_add3_u32 v5, 0, s16, v2
	s_waitcnt lgkmcnt(0)
	s_and_b32 s16, s18, 0xffff
	s_delay_alu instid0(SALU_CYCLE_1)
	s_lshl_b32 s18, s16, 2
	.p2align	6
.LBB185_5:                              ; =>This Inner Loop Header: Depth=1
	v_ashrrev_i32_e32 v2, 31, v1
	s_delay_alu instid0(VALU_DEP_1) | instskip(SKIP_1) | instid1(VALU_DEP_2)
	v_lshlrev_b64 v[6:7], 1, v[1:2]
	v_add_nc_u32_e32 v1, s16, v1
	v_add_co_u32 v6, vcc_lo, s4, v6
	s_delay_alu instid0(VALU_DEP_3) | instskip(NEXT) | instid1(VALU_DEP_3)
	v_add_co_ci_u32_e32 v7, vcc_lo, s5, v7, vcc_lo
	v_cmp_le_i32_e32 vcc_lo, s12, v1
	global_load_u16 v2, v[6:7], off
	s_or_b32 s17, vcc_lo, s17
	s_waitcnt vmcnt(0)
	v_cvt_f32_f16_e32 v2, v2
	ds_store_b32 v5, v2
	v_add_nc_u32_e32 v5, s18, v5
	s_and_not1_b32 exec_lo, exec_lo, s17
	s_cbranch_execnz .LBB185_5
.LBB185_6:
	s_or_b32 exec_lo, exec_lo, s3
	v_cmp_gt_i32_e32 vcc_lo, s12, v0
	v_mov_b32_e32 v2, 0xff800000
	s_waitcnt lgkmcnt(0)
	s_barrier
	buffer_gl0_inv
	s_and_saveexec_b32 s4, vcc_lo
	s_cbranch_execz .LBB185_10
; %bb.7:
	s_load_b32 s3, s[0:1], 0x44
	v_lshl_add_u32 v1, v0, 2, 0
	v_dual_mov_b32 v2, 0xff800000 :: v_dual_mov_b32 v5, v0
	s_mov_b32 s5, 0
	s_waitcnt lgkmcnt(0)
	s_and_b32 s16, s3, 0xffff
	s_delay_alu instid0(SALU_CYCLE_1)
	s_lshl_b32 s17, s16, 2
.LBB185_8:                              ; =>This Inner Loop Header: Depth=1
	ds_load_b32 v6, v1
	v_dual_max_f32 v2, v2, v2 :: v_dual_add_nc_u32 v5, s16, v5
	v_add_nc_u32_e32 v1, s17, v1
	s_delay_alu instid0(VALU_DEP_2) | instskip(NEXT) | instid1(VALU_DEP_1)
	v_cmp_le_i32_e64 s3, s12, v5
	s_or_b32 s5, s3, s5
	s_waitcnt lgkmcnt(0)
	v_max_f32_e32 v6, v6, v6
	s_delay_alu instid0(VALU_DEP_1)
	v_max_f32_e32 v2, v2, v6
	s_and_not1_b32 exec_lo, exec_lo, s5
	s_cbranch_execnz .LBB185_8
; %bb.9:
	s_or_b32 exec_lo, exec_lo, s5
.LBB185_10:
	s_delay_alu instid0(SALU_CYCLE_1)
	s_or_b32 exec_lo, exec_lo, s4
	v_mov_b32_e32 v1, 0
	;;#ASMSTART
	v_max_f32 v5, v2, v2 quad_perm:[1,0,3,2] row_mask:0xf bank_mask:0xf bound_ctrl:1
	;;#ASMEND
	;;#ASMSTART
	v_max_f32 v2, v5, v5 quad_perm:[2,3,0,1] row_mask:0xf bank_mask:0xf bound_ctrl:1
	;;#ASMEND
	;;#ASMSTART
	v_max_f32 v5, v2, v2 row_half_mirror row_mask:0xf bank_mask:0xf bound_ctrl:1
	;;#ASMEND
	;;#ASMSTART
	v_max_f32 v2, v5, v5 row_mirror row_mask:0xf bank_mask:0xf bound_ctrl:1
	;;#ASMEND
	s_and_saveexec_b32 s4, vcc_lo
	s_cbranch_execz .LBB185_14
; %bb.11:
	s_load_b32 s3, s[0:1], 0x44
	s_mov_b32 s5, 0x76543210
	v_lshl_add_u32 v5, v0, 2, 0
	v_permlanex16_b32 v1, v2, s5, 0xfedcba98 op_sel:[1,1]
	v_mov_b32_e32 v6, v0
	s_mov_b32 s5, 0
	s_delay_alu instid0(VALU_DEP_2) | instskip(NEXT) | instid1(VALU_DEP_1)
	v_dual_max_f32 v2, v2, v2 :: v_dual_max_f32 v1, v1, v1
	v_dual_max_f32 v2, v2, v1 :: v_dual_mov_b32 v1, 0
	s_waitcnt lgkmcnt(0)
	s_and_b32 s16, s3, 0xffff
	s_delay_alu instid0(SALU_CYCLE_1)
	s_lshl_b32 s17, s16, 2
	.p2align	6
.LBB185_12:                             ; =>This Inner Loop Header: Depth=1
	ds_load_b32 v7, v5
	s_waitcnt lgkmcnt(0)
	v_sub_f32_e32 v7, v7, v2
	s_delay_alu instid0(VALU_DEP_1) | instskip(NEXT) | instid1(VALU_DEP_1)
	v_mul_f32_e32 v8, 0x3fb8aa3b, v7
	v_cmp_gt_f32_e64 s3, 0xc2fc0000, v8
	s_delay_alu instid0(VALU_DEP_1) | instskip(NEXT) | instid1(VALU_DEP_1)
	v_cndmask_b32_e64 v8, 0, 0x42800000, s3
	v_fmac_f32_e32 v8, 0x3fb8aa3b, v7
	s_delay_alu instid0(VALU_DEP_1) | instskip(SKIP_3) | instid1(VALU_DEP_1)
	v_exp_f32_e32 v7, v8
	v_cndmask_b32_e64 v8, 1.0, 0x1f800000, s3
	s_waitcnt_depctr 0xfff
	v_dual_mul_f32 v9, v7, v8 :: v_dual_add_nc_u32 v6, s16, v6
	v_cmp_le_i32_e64 s3, s12, v6
	v_fmac_f32_e32 v1, v7, v8
	ds_store_b32 v5, v9
	v_add_nc_u32_e32 v5, s17, v5
	s_or_b32 s5, s3, s5
	s_delay_alu instid0(SALU_CYCLE_1)
	s_and_not1_b32 exec_lo, exec_lo, s5
	s_cbranch_execnz .LBB185_12
; %bb.13:
	s_or_b32 exec_lo, exec_lo, s5
.LBB185_14:
	s_delay_alu instid0(SALU_CYCLE_1) | instskip(SKIP_1) | instid1(VALU_DEP_1)
	s_or_b32 exec_lo, exec_lo, s4
	v_mov_b32_dpp v2, v1 quad_perm:[1,0,3,2] row_mask:0xf bank_mask:0xf
	v_add_f32_e32 v1, v1, v2
	s_delay_alu instid0(VALU_DEP_1) | instskip(NEXT) | instid1(VALU_DEP_1)
	v_mov_b32_dpp v2, v1 quad_perm:[2,3,0,1] row_mask:0xf bank_mask:0xf
	v_add_f32_e32 v1, v1, v2
	s_delay_alu instid0(VALU_DEP_1) | instskip(NEXT) | instid1(VALU_DEP_1)
	v_mov_b32_dpp v2, v1 row_xmask:7 row_mask:0xf bank_mask:0xf
	v_add_f32_e32 v1, v1, v2
	s_delay_alu instid0(VALU_DEP_1)
	v_mov_b32_dpp v2, v1 row_xmask:15 row_mask:0xf bank_mask:0xf
	s_and_saveexec_b32 s3, vcc_lo
	s_cbranch_execz .LBB185_19
; %bb.15:
	s_delay_alu instid0(VALU_DEP_1)
	v_add_f32_e32 v1, v1, v2
	s_load_b32 s5, s[0:1], 0x44
	s_mov_b32 s4, 0x76543210
	s_cmp_lg_u64 s[6:7], 0
	v_lshl_add_u32 v6, v0, 2, 0
	v_permlanex16_b32 v2, v1, s4, 0xfedcba98 op_sel:[1,1]
	s_cselect_b32 s4, -1, 0
	s_mov_b32 s16, 0
	s_delay_alu instid0(VALU_DEP_1) | instskip(NEXT) | instid1(VALU_DEP_1)
	v_add_f32_e32 v1, v1, v2
	v_rcp_f32_e32 v5, v1
	v_mov_b32_e32 v1, v0
	s_waitcnt lgkmcnt(0)
	s_and_b32 s5, s5, 0xffff
	s_delay_alu instid0(SALU_CYCLE_1)
	s_lshl_b32 s17, s5, 2
	s_set_inst_prefetch_distance 0x1
	s_branch .LBB185_17
	.p2align	6
.LBB185_16:                             ;   in Loop: Header=BB185_17 Depth=1
	v_add_nc_u32_e32 v1, s5, v1
	v_add_nc_u32_e32 v6, s17, v6
	s_delay_alu instid0(VALU_DEP_2) | instskip(SKIP_1) | instid1(SALU_CYCLE_1)
	v_cmp_le_i32_e32 vcc_lo, s12, v1
	s_or_b32 s16, vcc_lo, s16
	s_and_not1_b32 exec_lo, exec_lo, s16
	s_cbranch_execz .LBB185_19
.LBB185_17:                             ; =>This Inner Loop Header: Depth=1
	ds_load_b32 v2, v6
	s_and_not1_b32 vcc_lo, exec_lo, s4
	s_waitcnt lgkmcnt(0)
	v_mul_f32_e32 v7, v5, v2
	ds_store_b32 v6, v7
	s_cbranch_vccnz .LBB185_16
; %bb.18:                               ;   in Loop: Header=BB185_17 Depth=1
	v_ashrrev_i32_e32 v2, 31, v1
	s_delay_alu instid0(VALU_DEP_1) | instskip(NEXT) | instid1(VALU_DEP_1)
	v_lshlrev_b64 v[8:9], 1, v[1:2]
	v_add_co_u32 v8, vcc_lo, s6, v8
	s_delay_alu instid0(VALU_DEP_2) | instskip(SKIP_3) | instid1(VALU_DEP_1)
	v_add_co_ci_u32_e32 v9, vcc_lo, s7, v9, vcc_lo
	global_load_u16 v2, v[8:9], off
	s_waitcnt vmcnt(0)
	v_lshlrev_b32_e32 v2, 16, v2
	v_add_f32_e32 v2, v7, v2
	ds_store_b32 v6, v2
	s_branch .LBB185_16
.LBB185_19:
	s_set_inst_prefetch_distance 0x2
	s_or_b32 exec_lo, exec_lo, s3
	v_mov_b32_e32 v2, 0
	s_cmp_lt_i32 s13, 1
	s_waitcnt lgkmcnt(0)
	s_barrier
	buffer_gl0_inv
	s_cbranch_scc1 .LBB185_28
; %bb.20:
	s_add_u32 s4, s0, 56
	s_addc_u32 s5, s1, 0
	v_dual_mov_b32 v2, 0 :: v_dual_mov_b32 v7, 0xff800000
	v_dual_mov_b32 v6, 0 :: v_dual_mov_b32 v1, 0
	v_mov_b32_e32 v5, 0
	s_cmp_lg_u64 s[6:7], 0
	s_mov_b32 s18, 0
	s_cselect_b32 s12, -1, 0
	s_mov_b32 s19, 0x76543210
	s_branch .LBB185_22
.LBB185_21:                             ;   in Loop: Header=BB185_22 Depth=1
	v_cmp_eq_u32_e32 vcc_lo, s18, v0
	s_delay_alu instid0(VALU_DEP_2)
	s_lshl_b32 s3, s16, 2
	s_add_i32 s18, s18, 1
	s_add_i32 s3, s3, 0
	v_add_f32_e32 v5, v5, v10
	v_cndmask_b32_e64 v1, v1, s16, vcc_lo
	v_mov_b32_e32 v8, s3
	v_cndmask_b32_e32 v2, v2, v10, vcc_lo
	s_cmp_eq_u32 s18, s13
	ds_store_b32 v8, v7
	s_cbranch_scc1 .LBB185_29
.LBB185_22:                             ; =>This Loop Header: Depth=1
                                        ;     Child Loop BB185_24 Depth 2
	v_dual_mov_b32 v8, s18 :: v_dual_mov_b32 v9, 0xff800000
	s_and_saveexec_b32 s16, s2
	s_cbranch_execz .LBB185_26
; %bb.23:                               ;   in Loop: Header=BB185_22 Depth=1
	s_load_b32 s3, s[4:5], 0xc
	v_dual_mov_b32 v8, s18 :: v_dual_mov_b32 v9, 0xff800000
	v_dual_mov_b32 v10, v3 :: v_dual_mov_b32 v11, v4
	v_mov_b32_e32 v12, v0
	s_mov_b32 s21, 0
	s_waitcnt lgkmcnt(0)
	s_and_b32 s17, s3, 0xffff
	s_delay_alu instid0(SALU_CYCLE_1)
	s_lshl_b32 s20, s17, 2
	s_lshl_b32 s22, s17, 4
	.p2align	6
.LBB185_24:                             ;   Parent Loop BB185_22 Depth=1
                                        ; =>  This Inner Loop Header: Depth=2
	ds_load_b128 v[13:16], v10
	v_add_nc_u32_e32 v12, s17, v12
	s_delay_alu instid0(VALU_DEP_1) | instskip(NEXT) | instid1(VALU_DEP_1)
	v_cmp_le_i32_e64 s3, s14, v12
	s_or_b32 s21, s3, s21
	s_waitcnt lgkmcnt(0)
	v_cmp_gt_f32_e32 vcc_lo, v13, v9
	v_dual_cndmask_b32 v9, v9, v13 :: v_dual_cndmask_b32 v8, v8, v11
	s_delay_alu instid0(VALU_DEP_1) | instskip(SKIP_2) | instid1(VALU_DEP_1)
	v_cmp_gt_f32_e32 vcc_lo, v14, v9
	v_dual_cndmask_b32 v9, v9, v14 :: v_dual_add_nc_u32 v14, 2, v11
	v_add_nc_u32_e32 v13, 1, v11
	v_cndmask_b32_e32 v8, v8, v13, vcc_lo
	s_delay_alu instid0(VALU_DEP_3) | instskip(SKIP_1) | instid1(VALU_DEP_3)
	v_cmp_gt_f32_e32 vcc_lo, v15, v9
	v_add_nc_u32_e32 v13, 3, v11
	v_dual_cndmask_b32 v9, v9, v15 :: v_dual_cndmask_b32 v8, v8, v14
	s_delay_alu instid0(VALU_DEP_1) | instskip(SKIP_1) | instid1(VALU_DEP_3)
	v_cmp_gt_f32_e32 vcc_lo, v16, v9
	v_add_nc_u32_e32 v10, s22, v10
	v_dual_cndmask_b32 v8, v8, v13 :: v_dual_add_nc_u32 v11, s20, v11
	v_cndmask_b32_e32 v9, v9, v16, vcc_lo
	s_and_not1_b32 exec_lo, exec_lo, s21
	s_cbranch_execnz .LBB185_24
; %bb.25:                               ;   in Loop: Header=BB185_22 Depth=1
	s_or_b32 exec_lo, exec_lo, s21
.LBB185_26:                             ;   in Loop: Header=BB185_22 Depth=1
	s_delay_alu instid0(SALU_CYCLE_1)
	s_or_b32 exec_lo, exec_lo, s16
	;;#ASMSTART
	v_max_f32 v10, v9, v9 quad_perm:[1,0,3,2] row_mask:0xf bank_mask:0xf bound_ctrl:1
	;;#ASMEND
	;;#ASMSTART
	v_max_f32 v11, v10, v10 quad_perm:[2,3,0,1] row_mask:0xf bank_mask:0xf bound_ctrl:1
	;;#ASMEND
	;;#ASMSTART
	v_max_f32 v10, v11, v11 row_half_mirror row_mask:0xf bank_mask:0xf bound_ctrl:1
	;;#ASMEND
	;;#ASMSTART
	v_max_f32 v11, v10, v10 row_mirror row_mask:0xf bank_mask:0xf bound_ctrl:1
	;;#ASMEND
	v_permlanex16_b32 v10, v11, s19, 0xfedcba98 op_sel:[1,1]
	s_delay_alu instid0(VALU_DEP_1) | instskip(NEXT) | instid1(VALU_DEP_1)
	v_dual_max_f32 v11, v11, v11 :: v_dual_max_f32 v10, v10, v10
	v_max_f32_e32 v10, v11, v10
	s_delay_alu instid0(VALU_DEP_1)
	v_cmp_eq_f32_e32 vcc_lo, v9, v10
	s_ctz_i32_b32 s3, vcc_lo
	s_cmp_lg_u32 vcc_lo, 0
	s_cselect_b32 s3, s3, 0
	s_and_b32 vcc_lo, exec_lo, s12
	v_readlane_b32 s16, v8, s3
	s_cbranch_vccz .LBB185_21
; %bb.27:                               ;   in Loop: Header=BB185_22 Depth=1
	s_delay_alu instid0(VALU_DEP_1) | instskip(NEXT) | instid1(SALU_CYCLE_1)
	s_ashr_i32 s17, s16, 31
	s_lshl_b64 s[20:21], s[16:17], 1
	s_delay_alu instid0(SALU_CYCLE_1) | instskip(SKIP_4) | instid1(VALU_DEP_1)
	s_add_u32 s20, s6, s20
	s_addc_u32 s21, s7, s21
	global_load_u16 v8, v6, s[20:21]
	s_waitcnt vmcnt(0)
	v_lshlrev_b32_e32 v8, 16, v8
	v_sub_f32_e32 v10, v10, v8
	s_branch .LBB185_21
.LBB185_28:
	v_mov_b32_e32 v1, 0
	v_mov_b32_e32 v5, 0
.LBB185_29:
	s_mov_b32 s2, exec_lo
	v_cmpx_gt_i32_e64 s13, v0
	s_cbranch_execz .LBB185_32
; %bb.30:
	s_clause 0x1
	s_load_b32 s2, s[0:1], 0x34
	s_load_b32 s3, s[0:1], 0x44
	v_max_f32_e32 v3, v5, v5
	s_load_b64 s[0:1], s[0:1], 0x20
	s_ashr_i32 s4, s15, 31
	s_delay_alu instid0(VALU_DEP_1) | instskip(SKIP_1) | instid1(VALU_DEP_1)
	v_max_f32_e32 v3, 0x1e3ce508, v3
	s_waitcnt lgkmcnt(0)
	v_div_scale_f32 v4, null, v3, v3, s2
	v_div_scale_f32 v7, vcc_lo, s2, v3, s2
	s_mul_i32 s1, s15, s1
	s_delay_alu instid0(VALU_DEP_2) | instskip(SKIP_4) | instid1(VALU_DEP_1)
	v_rcp_f32_e32 v5, v4
	s_mul_i32 s4, s4, s0
	s_and_b32 s3, s3, 0xffff
	s_waitcnt_depctr 0xfff
	v_fma_f32 v6, -v4, v5, 1.0
	v_fmac_f32_e32 v5, v6, v5
	s_delay_alu instid0(VALU_DEP_1) | instskip(NEXT) | instid1(VALU_DEP_1)
	v_mul_f32_e32 v6, v7, v5
	v_fma_f32 v8, -v4, v6, v7
	s_delay_alu instid0(VALU_DEP_1) | instskip(NEXT) | instid1(VALU_DEP_1)
	v_fmac_f32_e32 v6, v8, v5
	v_fma_f32 v4, -v4, v6, v7
	s_delay_alu instid0(VALU_DEP_1) | instskip(NEXT) | instid1(VALU_DEP_1)
	v_div_fmas_f32 v4, v4, v5, v6
	v_div_fixup_f32 v3, v4, v3, s2
	s_mul_hi_u32 s2, s15, s0
	s_delay_alu instid0(SALU_CYCLE_1) | instskip(SKIP_1) | instid1(VALU_DEP_1)
	s_add_i32 s1, s2, s1
	s_mul_i32 s2, s15, s0
	v_mul_f32_e32 v2, v2, v3
	s_add_i32 s1, s1, s4
	s_mov_b32 s4, 0
	.p2align	6
.LBB185_31:                             ; =>This Inner Loop Header: Depth=1
	v_ashrrev_i32_e32 v4, 31, v0
	v_add_co_u32 v3, vcc_lo, s2, v0
	v_add_nc_u32_e32 v0, s3, v0
	s_delay_alu instid0(VALU_DEP_3) | instskip(NEXT) | instid1(VALU_DEP_2)
	v_add_co_ci_u32_e32 v4, vcc_lo, s1, v4, vcc_lo
	v_cmp_le_i32_e32 vcc_lo, s13, v0
	s_delay_alu instid0(VALU_DEP_2) | instskip(SKIP_1) | instid1(VALU_DEP_1)
	v_lshlrev_b64 v[3:4], 2, v[3:4]
	s_or_b32 s4, vcc_lo, s4
	v_add_co_u32 v5, s0, s8, v3
	s_delay_alu instid0(VALU_DEP_1) | instskip(SKIP_1) | instid1(VALU_DEP_1)
	v_add_co_ci_u32_e64 v6, s0, s9, v4, s0
	v_add_co_u32 v3, s0, s10, v3
	v_add_co_ci_u32_e64 v4, s0, s11, v4, s0
	global_store_b32 v[5:6], v2, off
	global_store_b32 v[3:4], v1, off
	s_and_not1_b32 exec_lo, exec_lo, s4
	s_cbranch_execnz .LBB185_31
.LBB185_32:
	s_nop 0
	s_sendmsg sendmsg(MSG_DEALLOC_VGPRS)
	s_endpgm
	.section	.rodata,"a",@progbits
	.p2align	6, 0x0
	.amdhsa_kernel _ZN5aiter20topk_softplus_kernelI6__half12hip_bfloat16Dv4_fLb1ELi2EEEvPKT_PKT0_PfPimiiif
		.amdhsa_group_segment_fixed_size 0
		.amdhsa_private_segment_fixed_size 0
		.amdhsa_kernarg_size 312
		.amdhsa_user_sgpr_count 15
		.amdhsa_user_sgpr_dispatch_ptr 0
		.amdhsa_user_sgpr_queue_ptr 0
		.amdhsa_user_sgpr_kernarg_segment_ptr 1
		.amdhsa_user_sgpr_dispatch_id 0
		.amdhsa_user_sgpr_private_segment_size 0
		.amdhsa_wavefront_size32 1
		.amdhsa_uses_dynamic_stack 0
		.amdhsa_enable_private_segment 0
		.amdhsa_system_sgpr_workgroup_id_x 1
		.amdhsa_system_sgpr_workgroup_id_y 0
		.amdhsa_system_sgpr_workgroup_id_z 0
		.amdhsa_system_sgpr_workgroup_info 0
		.amdhsa_system_vgpr_workitem_id 0
		.amdhsa_next_free_vgpr 17
		.amdhsa_next_free_sgpr 23
		.amdhsa_reserve_vcc 1
		.amdhsa_float_round_mode_32 0
		.amdhsa_float_round_mode_16_64 0
		.amdhsa_float_denorm_mode_32 3
		.amdhsa_float_denorm_mode_16_64 3
		.amdhsa_dx10_clamp 1
		.amdhsa_ieee_mode 1
		.amdhsa_fp16_overflow 0
		.amdhsa_workgroup_processor_mode 1
		.amdhsa_memory_ordered 1
		.amdhsa_forward_progress 0
		.amdhsa_shared_vgpr_count 0
		.amdhsa_exception_fp_ieee_invalid_op 0
		.amdhsa_exception_fp_denorm_src 0
		.amdhsa_exception_fp_ieee_div_zero 0
		.amdhsa_exception_fp_ieee_overflow 0
		.amdhsa_exception_fp_ieee_underflow 0
		.amdhsa_exception_fp_ieee_inexact 0
		.amdhsa_exception_int_div_zero 0
	.end_amdhsa_kernel
	.section	.text._ZN5aiter20topk_softplus_kernelI6__half12hip_bfloat16Dv4_fLb1ELi2EEEvPKT_PKT0_PfPimiiif,"axG",@progbits,_ZN5aiter20topk_softplus_kernelI6__half12hip_bfloat16Dv4_fLb1ELi2EEEvPKT_PKT0_PfPimiiif,comdat
.Lfunc_end185:
	.size	_ZN5aiter20topk_softplus_kernelI6__half12hip_bfloat16Dv4_fLb1ELi2EEEvPKT_PKT0_PfPimiiif, .Lfunc_end185-_ZN5aiter20topk_softplus_kernelI6__half12hip_bfloat16Dv4_fLb1ELi2EEEvPKT_PKT0_PfPimiiif
                                        ; -- End function
	.section	.AMDGPU.csdata,"",@progbits
; Kernel info:
; codeLenInByte = 2084
; NumSgprs: 25
; NumVgprs: 17
; ScratchSize: 0
; MemoryBound: 0
; FloatMode: 240
; IeeeMode: 1
; LDSByteSize: 0 bytes/workgroup (compile time only)
; SGPRBlocks: 3
; VGPRBlocks: 2
; NumSGPRsForWavesPerEU: 25
; NumVGPRsForWavesPerEU: 17
; Occupancy: 16
; WaveLimiterHint : 0
; COMPUTE_PGM_RSRC2:SCRATCH_EN: 0
; COMPUTE_PGM_RSRC2:USER_SGPR: 15
; COMPUTE_PGM_RSRC2:TRAP_HANDLER: 0
; COMPUTE_PGM_RSRC2:TGID_X_EN: 1
; COMPUTE_PGM_RSRC2:TGID_Y_EN: 0
; COMPUTE_PGM_RSRC2:TGID_Z_EN: 0
; COMPUTE_PGM_RSRC2:TIDIG_COMP_CNT: 0
	.section	.text._ZN5aiter20topk_softplus_kernelI6__half12hip_bfloat16Dv4_fLb0ELi2EEEvPKT_PKT0_PfPimiiif,"axG",@progbits,_ZN5aiter20topk_softplus_kernelI6__half12hip_bfloat16Dv4_fLb0ELi2EEEvPKT_PKT0_PfPimiiif,comdat
	.protected	_ZN5aiter20topk_softplus_kernelI6__half12hip_bfloat16Dv4_fLb0ELi2EEEvPKT_PKT0_PfPimiiif ; -- Begin function _ZN5aiter20topk_softplus_kernelI6__half12hip_bfloat16Dv4_fLb0ELi2EEEvPKT_PKT0_PfPimiiif
	.globl	_ZN5aiter20topk_softplus_kernelI6__half12hip_bfloat16Dv4_fLb0ELi2EEEvPKT_PKT0_PfPimiiif
	.p2align	8
	.type	_ZN5aiter20topk_softplus_kernelI6__half12hip_bfloat16Dv4_fLb0ELi2EEEvPKT_PKT0_PfPimiiif,@function
_ZN5aiter20topk_softplus_kernelI6__half12hip_bfloat16Dv4_fLb0ELi2EEEvPKT_PKT0_PfPimiiif: ; @_ZN5aiter20topk_softplus_kernelI6__half12hip_bfloat16Dv4_fLb0ELi2EEEvPKT_PKT0_PfPimiiif
; %bb.0:
	s_clause 0x1
	s_load_b64 s[12:13], s[0:1], 0x28
	s_load_b256 s[4:11], s[0:1], 0x0
	v_lshl_add_u32 v3, v0, 4, 0
	s_waitcnt lgkmcnt(0)
	s_ashr_i32 s2, s12, 31
	s_mul_i32 s16, s15, s12
	s_lshr_b32 s2, s2, 30
	s_ashr_i32 s17, s16, 31
	s_add_i32 s2, s12, s2
	s_delay_alu instid0(SALU_CYCLE_1) | instskip(NEXT) | instid1(SALU_CYCLE_1)
	s_ashr_i32 s14, s2, 2
	v_cmp_gt_i32_e64 s2, s14, v0
	s_delay_alu instid0(VALU_DEP_1)
	s_and_saveexec_b32 s18, s2
	s_cbranch_execz .LBB186_3
; %bb.1:
	s_load_b32 s3, s[0:1], 0x44
	v_lshlrev_b32_e32 v1, 3, v0
	s_lshl_b64 s[20:21], s[16:17], 1
	v_lshl_add_u32 v4, v0, 4, 0
	v_mov_b32_e32 v5, v0
	s_waitcnt lgkmcnt(0)
	s_and_b32 s19, s3, 0xffff
	s_add_u32 s3, s4, s20
	s_addc_u32 s20, s5, s21
	v_add_co_u32 v1, s3, s3, v1
	s_delay_alu instid0(VALU_DEP_1)
	v_add_co_ci_u32_e64 v2, null, s20, 0, s3
	s_mov_b32 s20, 0
	s_lshl_b32 s21, s19, 3
	s_lshl_b32 s22, s19, 4
	.p2align	6
.LBB186_2:                              ; =>This Inner Loop Header: Depth=1
	global_load_b64 v[6:7], v[1:2], off
	v_add_nc_u32_e32 v5, s19, v5
	v_add_co_u32 v1, vcc_lo, v1, s21
	v_add_co_ci_u32_e32 v2, vcc_lo, 0, v2, vcc_lo
	s_delay_alu instid0(VALU_DEP_3) | instskip(NEXT) | instid1(VALU_DEP_1)
	v_cmp_le_i32_e64 s3, s14, v5
	s_or_b32 s20, s3, s20
	s_waitcnt vmcnt(0)
	v_lshrrev_b32_e32 v9, 16, v6
	v_lshrrev_b32_e32 v10, 16, v7
	v_cvt_f32_f16_e32 v6, v6
	v_cvt_f32_f16_e32 v8, v7
	s_delay_alu instid0(VALU_DEP_4) | instskip(NEXT) | instid1(VALU_DEP_4)
	v_cvt_f32_f16_e32 v7, v9
	v_cvt_f32_f16_e32 v9, v10
	ds_store_b128 v4, v[6:9]
	v_add_nc_u32_e32 v4, s22, v4
	s_and_not1_b32 exec_lo, exec_lo, s20
	s_cbranch_execnz .LBB186_2
.LBB186_3:
	s_or_b32 exec_lo, exec_lo, s18
	v_lshl_add_u32 v1, s14, 2, v0
	v_lshlrev_b32_e32 v4, 2, v0
	s_mov_b32 s3, exec_lo
	s_delay_alu instid0(VALU_DEP_2)
	v_cmpx_gt_i32_e64 s12, v1
	s_cbranch_execz .LBB186_6
; %bb.4:
	s_load_b32 s18, s[0:1], 0x44
	s_lshl_b64 s[16:17], s[16:17], 1
	v_lshlrev_b32_e32 v2, 2, v0
	s_add_u32 s4, s4, s16
	s_addc_u32 s5, s5, s17
	s_lshl_b32 s16, s14, 4
	s_mov_b32 s17, 0
	v_add3_u32 v5, 0, s16, v2
	s_waitcnt lgkmcnt(0)
	s_and_b32 s16, s18, 0xffff
	s_delay_alu instid0(SALU_CYCLE_1)
	s_lshl_b32 s18, s16, 2
	.p2align	6
.LBB186_5:                              ; =>This Inner Loop Header: Depth=1
	v_ashrrev_i32_e32 v2, 31, v1
	s_delay_alu instid0(VALU_DEP_1) | instskip(SKIP_1) | instid1(VALU_DEP_2)
	v_lshlrev_b64 v[6:7], 1, v[1:2]
	v_add_nc_u32_e32 v1, s16, v1
	v_add_co_u32 v6, vcc_lo, s4, v6
	s_delay_alu instid0(VALU_DEP_3) | instskip(NEXT) | instid1(VALU_DEP_3)
	v_add_co_ci_u32_e32 v7, vcc_lo, s5, v7, vcc_lo
	v_cmp_le_i32_e32 vcc_lo, s12, v1
	global_load_u16 v2, v[6:7], off
	s_or_b32 s17, vcc_lo, s17
	s_waitcnt vmcnt(0)
	v_cvt_f32_f16_e32 v2, v2
	ds_store_b32 v5, v2
	v_add_nc_u32_e32 v5, s18, v5
	s_and_not1_b32 exec_lo, exec_lo, s17
	s_cbranch_execnz .LBB186_5
.LBB186_6:
	s_or_b32 exec_lo, exec_lo, s3
	v_cmp_gt_i32_e32 vcc_lo, s12, v0
	v_mov_b32_e32 v2, 0xff800000
	s_waitcnt lgkmcnt(0)
	s_barrier
	buffer_gl0_inv
	s_and_saveexec_b32 s4, vcc_lo
	s_cbranch_execz .LBB186_10
; %bb.7:
	s_load_b32 s3, s[0:1], 0x44
	v_lshl_add_u32 v1, v0, 2, 0
	v_dual_mov_b32 v2, 0xff800000 :: v_dual_mov_b32 v5, v0
	s_mov_b32 s5, 0
	s_waitcnt lgkmcnt(0)
	s_and_b32 s16, s3, 0xffff
	s_delay_alu instid0(SALU_CYCLE_1)
	s_lshl_b32 s17, s16, 2
.LBB186_8:                              ; =>This Inner Loop Header: Depth=1
	ds_load_b32 v6, v1
	v_dual_max_f32 v2, v2, v2 :: v_dual_add_nc_u32 v5, s16, v5
	v_add_nc_u32_e32 v1, s17, v1
	s_delay_alu instid0(VALU_DEP_2) | instskip(NEXT) | instid1(VALU_DEP_1)
	v_cmp_le_i32_e64 s3, s12, v5
	s_or_b32 s5, s3, s5
	s_waitcnt lgkmcnt(0)
	v_max_f32_e32 v6, v6, v6
	s_delay_alu instid0(VALU_DEP_1)
	v_max_f32_e32 v2, v2, v6
	s_and_not1_b32 exec_lo, exec_lo, s5
	s_cbranch_execnz .LBB186_8
; %bb.9:
	s_or_b32 exec_lo, exec_lo, s5
.LBB186_10:
	s_delay_alu instid0(SALU_CYCLE_1)
	s_or_b32 exec_lo, exec_lo, s4
	v_mov_b32_e32 v1, 0
	;;#ASMSTART
	v_max_f32 v5, v2, v2 quad_perm:[1,0,3,2] row_mask:0xf bank_mask:0xf bound_ctrl:1
	;;#ASMEND
	;;#ASMSTART
	v_max_f32 v2, v5, v5 quad_perm:[2,3,0,1] row_mask:0xf bank_mask:0xf bound_ctrl:1
	;;#ASMEND
	;;#ASMSTART
	v_max_f32 v5, v2, v2 row_half_mirror row_mask:0xf bank_mask:0xf bound_ctrl:1
	;;#ASMEND
	;;#ASMSTART
	v_max_f32 v2, v5, v5 row_mirror row_mask:0xf bank_mask:0xf bound_ctrl:1
	;;#ASMEND
	s_and_saveexec_b32 s4, vcc_lo
	s_cbranch_execz .LBB186_14
; %bb.11:
	s_load_b32 s3, s[0:1], 0x44
	s_mov_b32 s5, 0x76543210
	v_lshl_add_u32 v5, v0, 2, 0
	v_permlanex16_b32 v1, v2, s5, 0xfedcba98 op_sel:[1,1]
	v_mov_b32_e32 v6, v0
	s_mov_b32 s5, 0
	s_delay_alu instid0(VALU_DEP_2) | instskip(NEXT) | instid1(VALU_DEP_1)
	v_dual_max_f32 v2, v2, v2 :: v_dual_max_f32 v1, v1, v1
	v_dual_max_f32 v2, v2, v1 :: v_dual_mov_b32 v1, 0
	s_waitcnt lgkmcnt(0)
	s_and_b32 s16, s3, 0xffff
	s_delay_alu instid0(SALU_CYCLE_1)
	s_lshl_b32 s17, s16, 2
	.p2align	6
.LBB186_12:                             ; =>This Inner Loop Header: Depth=1
	ds_load_b32 v7, v5
	s_waitcnt lgkmcnt(0)
	v_sub_f32_e32 v7, v7, v2
	s_delay_alu instid0(VALU_DEP_1) | instskip(NEXT) | instid1(VALU_DEP_1)
	v_mul_f32_e32 v8, 0x3fb8aa3b, v7
	v_cmp_gt_f32_e64 s3, 0xc2fc0000, v8
	s_delay_alu instid0(VALU_DEP_1) | instskip(NEXT) | instid1(VALU_DEP_1)
	v_cndmask_b32_e64 v8, 0, 0x42800000, s3
	v_fmac_f32_e32 v8, 0x3fb8aa3b, v7
	s_delay_alu instid0(VALU_DEP_1) | instskip(SKIP_3) | instid1(VALU_DEP_1)
	v_exp_f32_e32 v7, v8
	v_cndmask_b32_e64 v8, 1.0, 0x1f800000, s3
	s_waitcnt_depctr 0xfff
	v_dual_mul_f32 v9, v7, v8 :: v_dual_add_nc_u32 v6, s16, v6
	v_cmp_le_i32_e64 s3, s12, v6
	v_fmac_f32_e32 v1, v7, v8
	ds_store_b32 v5, v9
	v_add_nc_u32_e32 v5, s17, v5
	s_or_b32 s5, s3, s5
	s_delay_alu instid0(SALU_CYCLE_1)
	s_and_not1_b32 exec_lo, exec_lo, s5
	s_cbranch_execnz .LBB186_12
; %bb.13:
	s_or_b32 exec_lo, exec_lo, s5
.LBB186_14:
	s_delay_alu instid0(SALU_CYCLE_1) | instskip(SKIP_1) | instid1(VALU_DEP_1)
	s_or_b32 exec_lo, exec_lo, s4
	v_mov_b32_dpp v2, v1 quad_perm:[1,0,3,2] row_mask:0xf bank_mask:0xf
	v_add_f32_e32 v1, v1, v2
	s_delay_alu instid0(VALU_DEP_1) | instskip(NEXT) | instid1(VALU_DEP_1)
	v_mov_b32_dpp v2, v1 quad_perm:[2,3,0,1] row_mask:0xf bank_mask:0xf
	v_add_f32_e32 v1, v1, v2
	s_delay_alu instid0(VALU_DEP_1) | instskip(NEXT) | instid1(VALU_DEP_1)
	v_mov_b32_dpp v2, v1 row_xmask:7 row_mask:0xf bank_mask:0xf
	v_add_f32_e32 v1, v1, v2
	s_delay_alu instid0(VALU_DEP_1)
	v_mov_b32_dpp v2, v1 row_xmask:15 row_mask:0xf bank_mask:0xf
	s_and_saveexec_b32 s3, vcc_lo
	s_cbranch_execz .LBB186_19
; %bb.15:
	s_delay_alu instid0(VALU_DEP_1)
	v_add_f32_e32 v1, v1, v2
	s_load_b32 s5, s[0:1], 0x44
	s_mov_b32 s4, 0x76543210
	s_cmp_lg_u64 s[6:7], 0
	v_lshl_add_u32 v6, v0, 2, 0
	v_permlanex16_b32 v2, v1, s4, 0xfedcba98 op_sel:[1,1]
	s_cselect_b32 s4, -1, 0
	s_mov_b32 s16, 0
	s_delay_alu instid0(VALU_DEP_1) | instskip(NEXT) | instid1(VALU_DEP_1)
	v_add_f32_e32 v1, v1, v2
	v_rcp_f32_e32 v5, v1
	v_mov_b32_e32 v1, v0
	s_waitcnt lgkmcnt(0)
	s_and_b32 s5, s5, 0xffff
	s_delay_alu instid0(SALU_CYCLE_1)
	s_lshl_b32 s17, s5, 2
	s_set_inst_prefetch_distance 0x1
	s_branch .LBB186_17
	.p2align	6
.LBB186_16:                             ;   in Loop: Header=BB186_17 Depth=1
	v_add_nc_u32_e32 v1, s5, v1
	v_add_nc_u32_e32 v6, s17, v6
	s_delay_alu instid0(VALU_DEP_2) | instskip(SKIP_1) | instid1(SALU_CYCLE_1)
	v_cmp_le_i32_e32 vcc_lo, s12, v1
	s_or_b32 s16, vcc_lo, s16
	s_and_not1_b32 exec_lo, exec_lo, s16
	s_cbranch_execz .LBB186_19
.LBB186_17:                             ; =>This Inner Loop Header: Depth=1
	ds_load_b32 v2, v6
	s_and_not1_b32 vcc_lo, exec_lo, s4
	s_waitcnt lgkmcnt(0)
	v_mul_f32_e32 v7, v5, v2
	ds_store_b32 v6, v7
	s_cbranch_vccnz .LBB186_16
; %bb.18:                               ;   in Loop: Header=BB186_17 Depth=1
	v_ashrrev_i32_e32 v2, 31, v1
	s_delay_alu instid0(VALU_DEP_1) | instskip(NEXT) | instid1(VALU_DEP_1)
	v_lshlrev_b64 v[8:9], 1, v[1:2]
	v_add_co_u32 v8, vcc_lo, s6, v8
	s_delay_alu instid0(VALU_DEP_2) | instskip(SKIP_3) | instid1(VALU_DEP_1)
	v_add_co_ci_u32_e32 v9, vcc_lo, s7, v9, vcc_lo
	global_load_u16 v2, v[8:9], off
	s_waitcnt vmcnt(0)
	v_lshlrev_b32_e32 v2, 16, v2
	v_add_f32_e32 v2, v7, v2
	ds_store_b32 v6, v2
	s_branch .LBB186_16
.LBB186_19:
	s_set_inst_prefetch_distance 0x2
	s_or_b32 exec_lo, exec_lo, s3
	s_cmp_lt_i32 s13, 1
	s_waitcnt lgkmcnt(0)
	s_barrier
	buffer_gl0_inv
	s_cbranch_scc1 .LBB186_28
; %bb.20:
	s_add_u32 s4, s0, 56
	s_addc_u32 s5, s1, 0
	v_dual_mov_b32 v5, 0 :: v_dual_mov_b32 v6, 0xff800000
	v_dual_mov_b32 v1, 0 :: v_dual_mov_b32 v2, 0
	s_cmp_lg_u64 s[6:7], 0
	s_mov_b32 s18, 0
	s_cselect_b32 s12, -1, 0
	s_mov_b32 s19, 0x76543210
	s_branch .LBB186_22
.LBB186_21:                             ;   in Loop: Header=BB186_22 Depth=1
	v_cmp_eq_u32_e32 vcc_lo, s18, v0
	s_delay_alu instid0(VALU_DEP_2)
	s_lshl_b32 s3, s16, 2
	s_add_i32 s18, s18, 1
	s_add_i32 s3, s3, 0
	s_cmp_eq_u32 s18, s13
	v_cndmask_b32_e64 v1, v1, s16, vcc_lo
	v_dual_mov_b32 v7, s3 :: v_dual_cndmask_b32 v2, v2, v9
	ds_store_b32 v7, v6
	s_cbranch_scc1 .LBB186_29
.LBB186_22:                             ; =>This Loop Header: Depth=1
                                        ;     Child Loop BB186_24 Depth 2
	v_dual_mov_b32 v7, s18 :: v_dual_mov_b32 v8, 0xff800000
	s_and_saveexec_b32 s16, s2
	s_cbranch_execz .LBB186_26
; %bb.23:                               ;   in Loop: Header=BB186_22 Depth=1
	s_load_b32 s3, s[4:5], 0xc
	v_dual_mov_b32 v7, s18 :: v_dual_mov_b32 v8, 0xff800000
	v_dual_mov_b32 v9, v3 :: v_dual_mov_b32 v10, v4
	v_mov_b32_e32 v11, v0
	s_mov_b32 s21, 0
	s_waitcnt lgkmcnt(0)
	s_and_b32 s17, s3, 0xffff
	s_delay_alu instid0(SALU_CYCLE_1)
	s_lshl_b32 s20, s17, 2
	s_lshl_b32 s22, s17, 4
	.p2align	6
.LBB186_24:                             ;   Parent Loop BB186_22 Depth=1
                                        ; =>  This Inner Loop Header: Depth=2
	ds_load_b128 v[12:15], v9
	v_add_nc_u32_e32 v11, s17, v11
	s_delay_alu instid0(VALU_DEP_1) | instskip(NEXT) | instid1(VALU_DEP_1)
	v_cmp_le_i32_e64 s3, s14, v11
	s_or_b32 s21, s3, s21
	s_waitcnt lgkmcnt(0)
	v_cmp_gt_f32_e32 vcc_lo, v12, v8
	v_dual_cndmask_b32 v8, v8, v12 :: v_dual_cndmask_b32 v7, v7, v10
	s_delay_alu instid0(VALU_DEP_1) | instskip(SKIP_2) | instid1(VALU_DEP_1)
	v_cmp_gt_f32_e32 vcc_lo, v13, v8
	v_dual_cndmask_b32 v8, v8, v13 :: v_dual_add_nc_u32 v13, 2, v10
	v_add_nc_u32_e32 v12, 1, v10
	v_cndmask_b32_e32 v7, v7, v12, vcc_lo
	s_delay_alu instid0(VALU_DEP_3) | instskip(SKIP_1) | instid1(VALU_DEP_3)
	v_cmp_gt_f32_e32 vcc_lo, v14, v8
	v_add_nc_u32_e32 v12, 3, v10
	v_dual_cndmask_b32 v8, v8, v14 :: v_dual_cndmask_b32 v7, v7, v13
	s_delay_alu instid0(VALU_DEP_1) | instskip(SKIP_1) | instid1(VALU_DEP_3)
	v_cmp_gt_f32_e32 vcc_lo, v15, v8
	v_add_nc_u32_e32 v9, s22, v9
	v_dual_cndmask_b32 v7, v7, v12 :: v_dual_add_nc_u32 v10, s20, v10
	v_cndmask_b32_e32 v8, v8, v15, vcc_lo
	s_and_not1_b32 exec_lo, exec_lo, s21
	s_cbranch_execnz .LBB186_24
; %bb.25:                               ;   in Loop: Header=BB186_22 Depth=1
	s_or_b32 exec_lo, exec_lo, s21
.LBB186_26:                             ;   in Loop: Header=BB186_22 Depth=1
	s_delay_alu instid0(SALU_CYCLE_1)
	s_or_b32 exec_lo, exec_lo, s16
	;;#ASMSTART
	v_max_f32 v9, v8, v8 quad_perm:[1,0,3,2] row_mask:0xf bank_mask:0xf bound_ctrl:1
	;;#ASMEND
	;;#ASMSTART
	v_max_f32 v10, v9, v9 quad_perm:[2,3,0,1] row_mask:0xf bank_mask:0xf bound_ctrl:1
	;;#ASMEND
	;;#ASMSTART
	v_max_f32 v9, v10, v10 row_half_mirror row_mask:0xf bank_mask:0xf bound_ctrl:1
	;;#ASMEND
	;;#ASMSTART
	v_max_f32 v10, v9, v9 row_mirror row_mask:0xf bank_mask:0xf bound_ctrl:1
	;;#ASMEND
	v_permlanex16_b32 v9, v10, s19, 0xfedcba98 op_sel:[1,1]
	s_delay_alu instid0(VALU_DEP_1) | instskip(NEXT) | instid1(VALU_DEP_1)
	v_dual_max_f32 v10, v10, v10 :: v_dual_max_f32 v9, v9, v9
	v_max_f32_e32 v9, v10, v9
	s_delay_alu instid0(VALU_DEP_1)
	v_cmp_eq_f32_e32 vcc_lo, v8, v9
	s_ctz_i32_b32 s3, vcc_lo
	s_cmp_lg_u32 vcc_lo, 0
	s_cselect_b32 s3, s3, 0
	s_and_b32 vcc_lo, exec_lo, s12
	v_readlane_b32 s16, v7, s3
	s_cbranch_vccz .LBB186_21
; %bb.27:                               ;   in Loop: Header=BB186_22 Depth=1
	s_delay_alu instid0(VALU_DEP_1) | instskip(NEXT) | instid1(SALU_CYCLE_1)
	s_ashr_i32 s17, s16, 31
	s_lshl_b64 s[20:21], s[16:17], 1
	s_delay_alu instid0(SALU_CYCLE_1) | instskip(SKIP_4) | instid1(VALU_DEP_1)
	s_add_u32 s20, s6, s20
	s_addc_u32 s21, s7, s21
	global_load_u16 v7, v5, s[20:21]
	s_waitcnt vmcnt(0)
	v_lshlrev_b32_e32 v7, 16, v7
	v_sub_f32_e32 v9, v9, v7
	s_branch .LBB186_21
.LBB186_28:
	v_dual_mov_b32 v2, 0 :: v_dual_mov_b32 v1, 0
.LBB186_29:
	s_mov_b32 s2, exec_lo
	v_cmpx_gt_i32_e64 s13, v0
	s_cbranch_execz .LBB186_32
; %bb.30:
	s_clause 0x2
	s_load_b32 s4, s[0:1], 0x34
	s_load_b64 s[2:3], s[0:1], 0x20
	s_load_b32 s0, s[0:1], 0x44
	s_ashr_i32 s1, s15, 31
	s_waitcnt lgkmcnt(0)
	v_mul_f32_e32 v2, s4, v2
	s_mul_i32 s3, s15, s3
	s_mul_hi_u32 s4, s15, s2
	s_mul_i32 s5, s1, s2
	s_add_i32 s3, s4, s3
	s_mul_i32 s1, s15, s2
	s_and_b32 s2, s0, 0xffff
	s_add_i32 s3, s3, s5
	s_mov_b32 s4, 0
	.p2align	6
.LBB186_31:                             ; =>This Inner Loop Header: Depth=1
	v_ashrrev_i32_e32 v4, 31, v0
	v_add_co_u32 v3, vcc_lo, s1, v0
	v_add_nc_u32_e32 v0, s2, v0
	s_delay_alu instid0(VALU_DEP_3) | instskip(NEXT) | instid1(VALU_DEP_2)
	v_add_co_ci_u32_e32 v4, vcc_lo, s3, v4, vcc_lo
	v_cmp_le_i32_e32 vcc_lo, s13, v0
	s_delay_alu instid0(VALU_DEP_2) | instskip(SKIP_1) | instid1(VALU_DEP_1)
	v_lshlrev_b64 v[3:4], 2, v[3:4]
	s_or_b32 s4, vcc_lo, s4
	v_add_co_u32 v5, s0, s8, v3
	s_delay_alu instid0(VALU_DEP_1) | instskip(SKIP_1) | instid1(VALU_DEP_1)
	v_add_co_ci_u32_e64 v6, s0, s9, v4, s0
	v_add_co_u32 v3, s0, s10, v3
	v_add_co_ci_u32_e64 v4, s0, s11, v4, s0
	global_store_b32 v[5:6], v2, off
	global_store_b32 v[3:4], v1, off
	s_and_not1_b32 exec_lo, exec_lo, s4
	s_cbranch_execnz .LBB186_31
.LBB186_32:
	s_nop 0
	s_sendmsg sendmsg(MSG_DEALLOC_VGPRS)
	s_endpgm
	.section	.rodata,"a",@progbits
	.p2align	6, 0x0
	.amdhsa_kernel _ZN5aiter20topk_softplus_kernelI6__half12hip_bfloat16Dv4_fLb0ELi2EEEvPKT_PKT0_PfPimiiif
		.amdhsa_group_segment_fixed_size 0
		.amdhsa_private_segment_fixed_size 0
		.amdhsa_kernarg_size 312
		.amdhsa_user_sgpr_count 15
		.amdhsa_user_sgpr_dispatch_ptr 0
		.amdhsa_user_sgpr_queue_ptr 0
		.amdhsa_user_sgpr_kernarg_segment_ptr 1
		.amdhsa_user_sgpr_dispatch_id 0
		.amdhsa_user_sgpr_private_segment_size 0
		.amdhsa_wavefront_size32 1
		.amdhsa_uses_dynamic_stack 0
		.amdhsa_enable_private_segment 0
		.amdhsa_system_sgpr_workgroup_id_x 1
		.amdhsa_system_sgpr_workgroup_id_y 0
		.amdhsa_system_sgpr_workgroup_id_z 0
		.amdhsa_system_sgpr_workgroup_info 0
		.amdhsa_system_vgpr_workitem_id 0
		.amdhsa_next_free_vgpr 16
		.amdhsa_next_free_sgpr 23
		.amdhsa_reserve_vcc 1
		.amdhsa_float_round_mode_32 0
		.amdhsa_float_round_mode_16_64 0
		.amdhsa_float_denorm_mode_32 3
		.amdhsa_float_denorm_mode_16_64 3
		.amdhsa_dx10_clamp 1
		.amdhsa_ieee_mode 1
		.amdhsa_fp16_overflow 0
		.amdhsa_workgroup_processor_mode 1
		.amdhsa_memory_ordered 1
		.amdhsa_forward_progress 0
		.amdhsa_shared_vgpr_count 0
		.amdhsa_exception_fp_ieee_invalid_op 0
		.amdhsa_exception_fp_denorm_src 0
		.amdhsa_exception_fp_ieee_div_zero 0
		.amdhsa_exception_fp_ieee_overflow 0
		.amdhsa_exception_fp_ieee_underflow 0
		.amdhsa_exception_fp_ieee_inexact 0
		.amdhsa_exception_int_div_zero 0
	.end_amdhsa_kernel
	.section	.text._ZN5aiter20topk_softplus_kernelI6__half12hip_bfloat16Dv4_fLb0ELi2EEEvPKT_PKT0_PfPimiiif,"axG",@progbits,_ZN5aiter20topk_softplus_kernelI6__half12hip_bfloat16Dv4_fLb0ELi2EEEvPKT_PKT0_PfPimiiif,comdat
.Lfunc_end186:
	.size	_ZN5aiter20topk_softplus_kernelI6__half12hip_bfloat16Dv4_fLb0ELi2EEEvPKT_PKT0_PfPimiiif, .Lfunc_end186-_ZN5aiter20topk_softplus_kernelI6__half12hip_bfloat16Dv4_fLb0ELi2EEEvPKT_PKT0_PfPimiiif
                                        ; -- End function
	.section	.AMDGPU.csdata,"",@progbits
; Kernel info:
; codeLenInByte = 1960
; NumSgprs: 25
; NumVgprs: 16
; ScratchSize: 0
; MemoryBound: 0
; FloatMode: 240
; IeeeMode: 1
; LDSByteSize: 0 bytes/workgroup (compile time only)
; SGPRBlocks: 3
; VGPRBlocks: 1
; NumSGPRsForWavesPerEU: 25
; NumVGPRsForWavesPerEU: 16
; Occupancy: 16
; WaveLimiterHint : 0
; COMPUTE_PGM_RSRC2:SCRATCH_EN: 0
; COMPUTE_PGM_RSRC2:USER_SGPR: 15
; COMPUTE_PGM_RSRC2:TRAP_HANDLER: 0
; COMPUTE_PGM_RSRC2:TGID_X_EN: 1
; COMPUTE_PGM_RSRC2:TGID_Y_EN: 0
; COMPUTE_PGM_RSRC2:TGID_Z_EN: 0
; COMPUTE_PGM_RSRC2:TIDIG_COMP_CNT: 0
	.section	.text._ZN5aiter20topk_softplus_kernelI6__half12hip_bfloat16Dv2_fLb1ELi2EEEvPKT_PKT0_PfPimiiif,"axG",@progbits,_ZN5aiter20topk_softplus_kernelI6__half12hip_bfloat16Dv2_fLb1ELi2EEEvPKT_PKT0_PfPimiiif,comdat
	.protected	_ZN5aiter20topk_softplus_kernelI6__half12hip_bfloat16Dv2_fLb1ELi2EEEvPKT_PKT0_PfPimiiif ; -- Begin function _ZN5aiter20topk_softplus_kernelI6__half12hip_bfloat16Dv2_fLb1ELi2EEEvPKT_PKT0_PfPimiiif
	.globl	_ZN5aiter20topk_softplus_kernelI6__half12hip_bfloat16Dv2_fLb1ELi2EEEvPKT_PKT0_PfPimiiif
	.p2align	8
	.type	_ZN5aiter20topk_softplus_kernelI6__half12hip_bfloat16Dv2_fLb1ELi2EEEvPKT_PKT0_PfPimiiif,@function
_ZN5aiter20topk_softplus_kernelI6__half12hip_bfloat16Dv2_fLb1ELi2EEEvPKT_PKT0_PfPimiiif: ; @_ZN5aiter20topk_softplus_kernelI6__half12hip_bfloat16Dv2_fLb1ELi2EEEvPKT_PKT0_PfPimiiif
; %bb.0:
	s_clause 0x1
	s_load_b64 s[12:13], s[0:1], 0x28
	s_load_b256 s[4:11], s[0:1], 0x0
	v_lshl_add_u32 v3, v0, 3, 0
	s_waitcnt lgkmcnt(0)
	s_lshr_b32 s2, s12, 31
	s_mul_i32 s16, s15, s12
	s_add_i32 s2, s12, s2
	s_ashr_i32 s17, s16, 31
	s_ashr_i32 s14, s2, 1
	s_delay_alu instid0(SALU_CYCLE_1) | instskip(NEXT) | instid1(VALU_DEP_1)
	v_cmp_gt_i32_e64 s2, s14, v0
	s_and_saveexec_b32 s18, s2
	s_cbranch_execz .LBB187_3
; %bb.1:
	s_load_b32 s3, s[0:1], 0x44
	v_lshlrev_b32_e32 v1, 2, v0
	s_lshl_b64 s[20:21], s[16:17], 1
	v_lshl_add_u32 v4, v0, 3, 0
	v_mov_b32_e32 v5, v0
	s_waitcnt lgkmcnt(0)
	s_and_b32 s19, s3, 0xffff
	s_add_u32 s3, s4, s20
	s_addc_u32 s20, s5, s21
	v_add_co_u32 v1, s3, s3, v1
	s_delay_alu instid0(VALU_DEP_1)
	v_add_co_ci_u32_e64 v2, null, s20, 0, s3
	s_mov_b32 s20, 0
	s_lshl_b32 s21, s19, 2
	s_lshl_b32 s22, s19, 3
	.p2align	6
.LBB187_2:                              ; =>This Inner Loop Header: Depth=1
	global_load_b32 v6, v[1:2], off
	v_add_nc_u32_e32 v5, s19, v5
	v_add_co_u32 v1, vcc_lo, v1, s21
	v_add_co_ci_u32_e32 v2, vcc_lo, 0, v2, vcc_lo
	s_delay_alu instid0(VALU_DEP_3) | instskip(NEXT) | instid1(VALU_DEP_1)
	v_cmp_le_i32_e64 s3, s14, v5
	s_or_b32 s20, s3, s20
	s_waitcnt vmcnt(0)
	v_lshrrev_b32_e32 v7, 16, v6
	v_cvt_f32_f16_e32 v6, v6
	s_delay_alu instid0(VALU_DEP_2)
	v_cvt_f32_f16_e32 v7, v7
	ds_store_b64 v4, v[6:7]
	v_add_nc_u32_e32 v4, s22, v4
	s_and_not1_b32 exec_lo, exec_lo, s20
	s_cbranch_execnz .LBB187_2
.LBB187_3:
	s_or_b32 exec_lo, exec_lo, s18
	v_lshl_add_u32 v1, s14, 1, v0
	s_mov_b32 s3, exec_lo
	s_delay_alu instid0(VALU_DEP_1)
	v_cmpx_gt_i32_e64 s12, v1
	s_cbranch_execz .LBB187_6
; %bb.4:
	s_load_b32 s18, s[0:1], 0x44
	s_lshl_b64 s[16:17], s[16:17], 1
	v_lshlrev_b32_e32 v2, 2, v0
	s_add_u32 s4, s4, s16
	s_addc_u32 s5, s5, s17
	s_lshl_b32 s16, s14, 3
	s_mov_b32 s17, 0
	v_add3_u32 v4, 0, s16, v2
	s_waitcnt lgkmcnt(0)
	s_and_b32 s16, s18, 0xffff
	s_delay_alu instid0(SALU_CYCLE_1)
	s_lshl_b32 s18, s16, 2
	.p2align	6
.LBB187_5:                              ; =>This Inner Loop Header: Depth=1
	v_ashrrev_i32_e32 v2, 31, v1
	s_delay_alu instid0(VALU_DEP_1) | instskip(SKIP_1) | instid1(VALU_DEP_2)
	v_lshlrev_b64 v[5:6], 1, v[1:2]
	v_add_nc_u32_e32 v1, s16, v1
	v_add_co_u32 v5, vcc_lo, s4, v5
	s_delay_alu instid0(VALU_DEP_3) | instskip(NEXT) | instid1(VALU_DEP_3)
	v_add_co_ci_u32_e32 v6, vcc_lo, s5, v6, vcc_lo
	v_cmp_le_i32_e32 vcc_lo, s12, v1
	global_load_u16 v2, v[5:6], off
	s_or_b32 s17, vcc_lo, s17
	s_waitcnt vmcnt(0)
	v_cvt_f32_f16_e32 v2, v2
	ds_store_b32 v4, v2
	v_add_nc_u32_e32 v4, s18, v4
	s_and_not1_b32 exec_lo, exec_lo, s17
	s_cbranch_execnz .LBB187_5
.LBB187_6:
	s_or_b32 exec_lo, exec_lo, s3
	v_cmp_gt_i32_e32 vcc_lo, s12, v0
	v_mov_b32_e32 v2, 0xff800000
	s_waitcnt lgkmcnt(0)
	s_barrier
	buffer_gl0_inv
	s_and_saveexec_b32 s4, vcc_lo
	s_cbranch_execz .LBB187_10
; %bb.7:
	s_load_b32 s3, s[0:1], 0x44
	v_lshl_add_u32 v1, v0, 2, 0
	v_mov_b32_e32 v2, 0xff800000
	v_mov_b32_e32 v4, v0
	s_mov_b32 s5, 0
	s_waitcnt lgkmcnt(0)
	s_and_b32 s16, s3, 0xffff
	s_delay_alu instid0(SALU_CYCLE_1)
	s_lshl_b32 s17, s16, 2
.LBB187_8:                              ; =>This Inner Loop Header: Depth=1
	ds_load_b32 v5, v1
	v_add_nc_u32_e32 v4, s16, v4
	v_dual_max_f32 v2, v2, v2 :: v_dual_add_nc_u32 v1, s17, v1
	s_waitcnt lgkmcnt(0)
	v_max_f32_e32 v5, v5, v5
	s_delay_alu instid0(VALU_DEP_3) | instskip(NEXT) | instid1(VALU_DEP_2)
	v_cmp_le_i32_e64 s3, s12, v4
	v_max_f32_e32 v2, v2, v5
	s_delay_alu instid0(VALU_DEP_2) | instskip(NEXT) | instid1(SALU_CYCLE_1)
	s_or_b32 s5, s3, s5
	s_and_not1_b32 exec_lo, exec_lo, s5
	s_cbranch_execnz .LBB187_8
; %bb.9:
	s_or_b32 exec_lo, exec_lo, s5
.LBB187_10:
	s_delay_alu instid0(SALU_CYCLE_1)
	s_or_b32 exec_lo, exec_lo, s4
	v_mov_b32_e32 v1, 0
	;;#ASMSTART
	v_max_f32 v4, v2, v2 quad_perm:[1,0,3,2] row_mask:0xf bank_mask:0xf bound_ctrl:1
	;;#ASMEND
	;;#ASMSTART
	v_max_f32 v2, v4, v4 quad_perm:[2,3,0,1] row_mask:0xf bank_mask:0xf bound_ctrl:1
	;;#ASMEND
	;;#ASMSTART
	v_max_f32 v4, v2, v2 row_half_mirror row_mask:0xf bank_mask:0xf bound_ctrl:1
	;;#ASMEND
	;;#ASMSTART
	v_max_f32 v2, v4, v4 row_mirror row_mask:0xf bank_mask:0xf bound_ctrl:1
	;;#ASMEND
	s_and_saveexec_b32 s4, vcc_lo
	s_cbranch_execz .LBB187_14
; %bb.11:
	s_load_b32 s3, s[0:1], 0x44
	s_mov_b32 s5, 0x76543210
	v_lshl_add_u32 v4, v0, 2, 0
	v_permlanex16_b32 v1, v2, s5, 0xfedcba98 op_sel:[1,1]
	v_mov_b32_e32 v5, v0
	s_mov_b32 s5, 0
	s_delay_alu instid0(VALU_DEP_2) | instskip(NEXT) | instid1(VALU_DEP_1)
	v_dual_max_f32 v2, v2, v2 :: v_dual_max_f32 v1, v1, v1
	v_dual_max_f32 v2, v2, v1 :: v_dual_mov_b32 v1, 0
	s_waitcnt lgkmcnt(0)
	s_and_b32 s16, s3, 0xffff
	s_delay_alu instid0(SALU_CYCLE_1)
	s_lshl_b32 s17, s16, 2
	.p2align	6
.LBB187_12:                             ; =>This Inner Loop Header: Depth=1
	ds_load_b32 v6, v4
	s_waitcnt lgkmcnt(0)
	v_dual_sub_f32 v6, v6, v2 :: v_dual_add_nc_u32 v5, s16, v5
	s_delay_alu instid0(VALU_DEP_1) | instskip(NEXT) | instid1(VALU_DEP_1)
	v_mul_f32_e32 v7, 0x3fb8aa3b, v6
	v_cmp_gt_f32_e64 s3, 0xc2fc0000, v7
	s_delay_alu instid0(VALU_DEP_1) | instskip(NEXT) | instid1(VALU_DEP_1)
	v_cndmask_b32_e64 v7, 0, 0x42800000, s3
	v_fmac_f32_e32 v7, 0x3fb8aa3b, v6
	s_delay_alu instid0(VALU_DEP_1) | instskip(SKIP_2) | instid1(VALU_DEP_1)
	v_exp_f32_e32 v6, v7
	v_cndmask_b32_e64 v7, 1.0, 0x1f800000, s3
	v_cmp_le_i32_e64 s3, s12, v5
	s_or_b32 s5, s3, s5
	s_waitcnt_depctr 0xfff
	v_mul_f32_e32 v8, v6, v7
	v_fmac_f32_e32 v1, v6, v7
	ds_store_b32 v4, v8
	v_add_nc_u32_e32 v4, s17, v4
	s_and_not1_b32 exec_lo, exec_lo, s5
	s_cbranch_execnz .LBB187_12
; %bb.13:
	s_or_b32 exec_lo, exec_lo, s5
.LBB187_14:
	s_delay_alu instid0(SALU_CYCLE_1) | instskip(SKIP_1) | instid1(VALU_DEP_1)
	s_or_b32 exec_lo, exec_lo, s4
	v_mov_b32_dpp v2, v1 quad_perm:[1,0,3,2] row_mask:0xf bank_mask:0xf
	v_add_f32_e32 v1, v1, v2
	s_delay_alu instid0(VALU_DEP_1) | instskip(NEXT) | instid1(VALU_DEP_1)
	v_mov_b32_dpp v2, v1 quad_perm:[2,3,0,1] row_mask:0xf bank_mask:0xf
	v_add_f32_e32 v1, v1, v2
	s_delay_alu instid0(VALU_DEP_1) | instskip(NEXT) | instid1(VALU_DEP_1)
	v_mov_b32_dpp v2, v1 row_xmask:7 row_mask:0xf bank_mask:0xf
	v_add_f32_e32 v1, v1, v2
	s_delay_alu instid0(VALU_DEP_1)
	v_mov_b32_dpp v2, v1 row_xmask:15 row_mask:0xf bank_mask:0xf
	s_and_saveexec_b32 s3, vcc_lo
	s_cbranch_execz .LBB187_19
; %bb.15:
	s_delay_alu instid0(VALU_DEP_1)
	v_add_f32_e32 v1, v1, v2
	s_load_b32 s5, s[0:1], 0x44
	s_mov_b32 s4, 0x76543210
	s_cmp_lg_u64 s[6:7], 0
	v_lshl_add_u32 v5, v0, 2, 0
	v_permlanex16_b32 v2, v1, s4, 0xfedcba98 op_sel:[1,1]
	s_cselect_b32 s4, -1, 0
	s_mov_b32 s16, 0
	s_delay_alu instid0(VALU_DEP_1) | instskip(NEXT) | instid1(VALU_DEP_1)
	v_add_f32_e32 v1, v1, v2
	v_rcp_f32_e32 v4, v1
	v_mov_b32_e32 v1, v0
	s_waitcnt lgkmcnt(0)
	s_and_b32 s5, s5, 0xffff
	s_delay_alu instid0(SALU_CYCLE_1)
	s_lshl_b32 s17, s5, 2
	s_set_inst_prefetch_distance 0x1
	s_branch .LBB187_17
	.p2align	6
.LBB187_16:                             ;   in Loop: Header=BB187_17 Depth=1
	v_add_nc_u32_e32 v1, s5, v1
	v_add_nc_u32_e32 v5, s17, v5
	s_delay_alu instid0(VALU_DEP_2) | instskip(SKIP_1) | instid1(SALU_CYCLE_1)
	v_cmp_le_i32_e32 vcc_lo, s12, v1
	s_or_b32 s16, vcc_lo, s16
	s_and_not1_b32 exec_lo, exec_lo, s16
	s_cbranch_execz .LBB187_19
.LBB187_17:                             ; =>This Inner Loop Header: Depth=1
	ds_load_b32 v2, v5
	s_and_not1_b32 vcc_lo, exec_lo, s4
	s_waitcnt lgkmcnt(0)
	v_mul_f32_e32 v6, v4, v2
	ds_store_b32 v5, v6
	s_cbranch_vccnz .LBB187_16
; %bb.18:                               ;   in Loop: Header=BB187_17 Depth=1
	v_ashrrev_i32_e32 v2, 31, v1
	s_delay_alu instid0(VALU_DEP_1) | instskip(NEXT) | instid1(VALU_DEP_1)
	v_lshlrev_b64 v[7:8], 1, v[1:2]
	v_add_co_u32 v7, vcc_lo, s6, v7
	s_delay_alu instid0(VALU_DEP_2) | instskip(SKIP_3) | instid1(VALU_DEP_1)
	v_add_co_ci_u32_e32 v8, vcc_lo, s7, v8, vcc_lo
	global_load_u16 v2, v[7:8], off
	s_waitcnt vmcnt(0)
	v_lshlrev_b32_e32 v2, 16, v2
	v_add_f32_e32 v2, v6, v2
	ds_store_b32 v5, v2
	s_branch .LBB187_16
.LBB187_19:
	s_set_inst_prefetch_distance 0x2
	s_or_b32 exec_lo, exec_lo, s3
	v_mov_b32_e32 v2, 0
	s_cmp_lt_i32 s13, 1
	s_waitcnt lgkmcnt(0)
	s_barrier
	buffer_gl0_inv
	s_cbranch_scc1 .LBB187_28
; %bb.20:
	s_add_u32 s4, s0, 56
	s_addc_u32 s5, s1, 0
	v_dual_mov_b32 v2, 0 :: v_dual_lshlrev_b32 v5, 1, v0
	v_dual_mov_b32 v6, 0 :: v_dual_mov_b32 v7, 0xff800000
	v_dual_mov_b32 v1, 0 :: v_dual_mov_b32 v4, 0
	s_cmp_lg_u64 s[6:7], 0
	s_mov_b32 s18, 0
	s_cselect_b32 s12, -1, 0
	s_mov_b32 s19, 0x76543210
	s_branch .LBB187_22
.LBB187_21:                             ;   in Loop: Header=BB187_22 Depth=1
	v_cmp_eq_u32_e32 vcc_lo, s18, v0
	s_delay_alu instid0(VALU_DEP_2) | instskip(NEXT) | instid1(VALU_DEP_2)
	s_lshl_b32 s3, s16, 2
	v_add_f32_e32 v4, v4, v10
	s_add_i32 s3, s3, 0
	s_add_i32 s18, s18, 1
	v_cndmask_b32_e64 v1, v1, s16, vcc_lo
	v_mov_b32_e32 v8, s3
	v_cndmask_b32_e32 v2, v2, v10, vcc_lo
	s_cmp_eq_u32 s18, s13
	ds_store_b32 v8, v7
	s_cbranch_scc1 .LBB187_29
.LBB187_22:                             ; =>This Loop Header: Depth=1
                                        ;     Child Loop BB187_24 Depth 2
	v_dual_mov_b32 v8, s18 :: v_dual_mov_b32 v9, 0xff800000
	s_and_saveexec_b32 s16, s2
	s_cbranch_execz .LBB187_26
; %bb.23:                               ;   in Loop: Header=BB187_22 Depth=1
	s_load_b32 s3, s[4:5], 0xc
	v_dual_mov_b32 v8, s18 :: v_dual_mov_b32 v9, 0xff800000
	v_dual_mov_b32 v10, v3 :: v_dual_mov_b32 v11, v5
	v_mov_b32_e32 v12, v0
	s_mov_b32 s21, 0
	s_waitcnt lgkmcnt(0)
	s_and_b32 s17, s3, 0xffff
	s_delay_alu instid0(SALU_CYCLE_1)
	s_lshl_b32 s20, s17, 1
	s_lshl_b32 s22, s17, 3
	.p2align	6
.LBB187_24:                             ;   Parent Loop BB187_22 Depth=1
                                        ; =>  This Inner Loop Header: Depth=2
	ds_load_b64 v[13:14], v10
	v_add_nc_u32_e32 v10, s22, v10
	v_add_nc_u32_e32 v12, s17, v12
	s_delay_alu instid0(VALU_DEP_1) | instskip(NEXT) | instid1(VALU_DEP_1)
	v_cmp_le_i32_e64 s3, s14, v12
	s_or_b32 s21, s3, s21
	s_waitcnt lgkmcnt(0)
	v_cmp_gt_f32_e32 vcc_lo, v13, v9
	v_cndmask_b32_e32 v9, v9, v13, vcc_lo
	v_add_nc_u32_e32 v13, 1, v11
	v_cndmask_b32_e32 v8, v8, v11, vcc_lo
	s_delay_alu instid0(VALU_DEP_3) | instskip(SKIP_1) | instid1(VALU_DEP_3)
	v_cmp_gt_f32_e32 vcc_lo, v14, v9
	v_cndmask_b32_e32 v9, v9, v14, vcc_lo
	v_dual_cndmask_b32 v8, v8, v13 :: v_dual_add_nc_u32 v11, s20, v11
	s_and_not1_b32 exec_lo, exec_lo, s21
	s_cbranch_execnz .LBB187_24
; %bb.25:                               ;   in Loop: Header=BB187_22 Depth=1
	s_or_b32 exec_lo, exec_lo, s21
.LBB187_26:                             ;   in Loop: Header=BB187_22 Depth=1
	s_delay_alu instid0(SALU_CYCLE_1)
	s_or_b32 exec_lo, exec_lo, s16
	;;#ASMSTART
	v_max_f32 v10, v9, v9 quad_perm:[1,0,3,2] row_mask:0xf bank_mask:0xf bound_ctrl:1
	;;#ASMEND
	;;#ASMSTART
	v_max_f32 v11, v10, v10 quad_perm:[2,3,0,1] row_mask:0xf bank_mask:0xf bound_ctrl:1
	;;#ASMEND
	;;#ASMSTART
	v_max_f32 v10, v11, v11 row_half_mirror row_mask:0xf bank_mask:0xf bound_ctrl:1
	;;#ASMEND
	;;#ASMSTART
	v_max_f32 v11, v10, v10 row_mirror row_mask:0xf bank_mask:0xf bound_ctrl:1
	;;#ASMEND
	v_permlanex16_b32 v10, v11, s19, 0xfedcba98 op_sel:[1,1]
	s_delay_alu instid0(VALU_DEP_1) | instskip(NEXT) | instid1(VALU_DEP_1)
	v_dual_max_f32 v11, v11, v11 :: v_dual_max_f32 v10, v10, v10
	v_max_f32_e32 v10, v11, v10
	s_delay_alu instid0(VALU_DEP_1)
	v_cmp_eq_f32_e32 vcc_lo, v9, v10
	s_ctz_i32_b32 s3, vcc_lo
	s_cmp_lg_u32 vcc_lo, 0
	s_cselect_b32 s3, s3, 0
	s_and_b32 vcc_lo, exec_lo, s12
	v_readlane_b32 s16, v8, s3
	s_cbranch_vccz .LBB187_21
; %bb.27:                               ;   in Loop: Header=BB187_22 Depth=1
	s_delay_alu instid0(VALU_DEP_1) | instskip(NEXT) | instid1(SALU_CYCLE_1)
	s_ashr_i32 s17, s16, 31
	s_lshl_b64 s[20:21], s[16:17], 1
	s_delay_alu instid0(SALU_CYCLE_1) | instskip(SKIP_4) | instid1(VALU_DEP_1)
	s_add_u32 s20, s6, s20
	s_addc_u32 s21, s7, s21
	global_load_u16 v8, v6, s[20:21]
	s_waitcnt vmcnt(0)
	v_lshlrev_b32_e32 v8, 16, v8
	v_sub_f32_e32 v10, v10, v8
	s_branch .LBB187_21
.LBB187_28:
	v_dual_mov_b32 v1, 0 :: v_dual_mov_b32 v4, 0
.LBB187_29:
	s_mov_b32 s2, exec_lo
	v_cmpx_gt_i32_e64 s13, v0
	s_cbranch_execz .LBB187_32
; %bb.30:
	s_clause 0x1
	s_load_b32 s2, s[0:1], 0x34
	s_load_b32 s3, s[0:1], 0x44
	v_max_f32_e32 v3, v4, v4
	s_load_b64 s[0:1], s[0:1], 0x20
	s_ashr_i32 s4, s15, 31
	s_delay_alu instid0(VALU_DEP_1) | instskip(SKIP_1) | instid1(VALU_DEP_1)
	v_max_f32_e32 v3, 0x1e3ce508, v3
	s_waitcnt lgkmcnt(0)
	v_div_scale_f32 v4, null, v3, v3, s2
	v_div_scale_f32 v7, vcc_lo, s2, v3, s2
	s_mul_i32 s1, s15, s1
	s_delay_alu instid0(VALU_DEP_2) | instskip(SKIP_4) | instid1(VALU_DEP_1)
	v_rcp_f32_e32 v5, v4
	s_mul_i32 s4, s4, s0
	s_and_b32 s3, s3, 0xffff
	s_waitcnt_depctr 0xfff
	v_fma_f32 v6, -v4, v5, 1.0
	v_fmac_f32_e32 v5, v6, v5
	s_delay_alu instid0(VALU_DEP_1) | instskip(NEXT) | instid1(VALU_DEP_1)
	v_mul_f32_e32 v6, v7, v5
	v_fma_f32 v8, -v4, v6, v7
	s_delay_alu instid0(VALU_DEP_1) | instskip(NEXT) | instid1(VALU_DEP_1)
	v_fmac_f32_e32 v6, v8, v5
	v_fma_f32 v4, -v4, v6, v7
	s_delay_alu instid0(VALU_DEP_1) | instskip(NEXT) | instid1(VALU_DEP_1)
	v_div_fmas_f32 v4, v4, v5, v6
	v_div_fixup_f32 v3, v4, v3, s2
	s_mul_hi_u32 s2, s15, s0
	s_delay_alu instid0(SALU_CYCLE_1) | instskip(SKIP_1) | instid1(VALU_DEP_1)
	s_add_i32 s1, s2, s1
	s_mul_i32 s2, s15, s0
	v_mul_f32_e32 v2, v2, v3
	s_add_i32 s1, s1, s4
	s_mov_b32 s4, 0
	.p2align	6
.LBB187_31:                             ; =>This Inner Loop Header: Depth=1
	v_ashrrev_i32_e32 v4, 31, v0
	v_add_co_u32 v3, vcc_lo, s2, v0
	v_add_nc_u32_e32 v0, s3, v0
	s_delay_alu instid0(VALU_DEP_3) | instskip(NEXT) | instid1(VALU_DEP_2)
	v_add_co_ci_u32_e32 v4, vcc_lo, s1, v4, vcc_lo
	v_cmp_le_i32_e32 vcc_lo, s13, v0
	s_delay_alu instid0(VALU_DEP_2) | instskip(SKIP_1) | instid1(VALU_DEP_1)
	v_lshlrev_b64 v[3:4], 2, v[3:4]
	s_or_b32 s4, vcc_lo, s4
	v_add_co_u32 v5, s0, s8, v3
	s_delay_alu instid0(VALU_DEP_1) | instskip(SKIP_1) | instid1(VALU_DEP_1)
	v_add_co_ci_u32_e64 v6, s0, s9, v4, s0
	v_add_co_u32 v3, s0, s10, v3
	v_add_co_ci_u32_e64 v4, s0, s11, v4, s0
	global_store_b32 v[5:6], v2, off
	global_store_b32 v[3:4], v1, off
	s_and_not1_b32 exec_lo, exec_lo, s4
	s_cbranch_execnz .LBB187_31
.LBB187_32:
	s_nop 0
	s_sendmsg sendmsg(MSG_DEALLOC_VGPRS)
	s_endpgm
	.section	.rodata,"a",@progbits
	.p2align	6, 0x0
	.amdhsa_kernel _ZN5aiter20topk_softplus_kernelI6__half12hip_bfloat16Dv2_fLb1ELi2EEEvPKT_PKT0_PfPimiiif
		.amdhsa_group_segment_fixed_size 0
		.amdhsa_private_segment_fixed_size 0
		.amdhsa_kernarg_size 312
		.amdhsa_user_sgpr_count 15
		.amdhsa_user_sgpr_dispatch_ptr 0
		.amdhsa_user_sgpr_queue_ptr 0
		.amdhsa_user_sgpr_kernarg_segment_ptr 1
		.amdhsa_user_sgpr_dispatch_id 0
		.amdhsa_user_sgpr_private_segment_size 0
		.amdhsa_wavefront_size32 1
		.amdhsa_uses_dynamic_stack 0
		.amdhsa_enable_private_segment 0
		.amdhsa_system_sgpr_workgroup_id_x 1
		.amdhsa_system_sgpr_workgroup_id_y 0
		.amdhsa_system_sgpr_workgroup_id_z 0
		.amdhsa_system_sgpr_workgroup_info 0
		.amdhsa_system_vgpr_workitem_id 0
		.amdhsa_next_free_vgpr 15
		.amdhsa_next_free_sgpr 23
		.amdhsa_reserve_vcc 1
		.amdhsa_float_round_mode_32 0
		.amdhsa_float_round_mode_16_64 0
		.amdhsa_float_denorm_mode_32 3
		.amdhsa_float_denorm_mode_16_64 3
		.amdhsa_dx10_clamp 1
		.amdhsa_ieee_mode 1
		.amdhsa_fp16_overflow 0
		.amdhsa_workgroup_processor_mode 1
		.amdhsa_memory_ordered 1
		.amdhsa_forward_progress 0
		.amdhsa_shared_vgpr_count 0
		.amdhsa_exception_fp_ieee_invalid_op 0
		.amdhsa_exception_fp_denorm_src 0
		.amdhsa_exception_fp_ieee_div_zero 0
		.amdhsa_exception_fp_ieee_overflow 0
		.amdhsa_exception_fp_ieee_underflow 0
		.amdhsa_exception_fp_ieee_inexact 0
		.amdhsa_exception_int_div_zero 0
	.end_amdhsa_kernel
	.section	.text._ZN5aiter20topk_softplus_kernelI6__half12hip_bfloat16Dv2_fLb1ELi2EEEvPKT_PKT0_PfPimiiif,"axG",@progbits,_ZN5aiter20topk_softplus_kernelI6__half12hip_bfloat16Dv2_fLb1ELi2EEEvPKT_PKT0_PfPimiiif,comdat
.Lfunc_end187:
	.size	_ZN5aiter20topk_softplus_kernelI6__half12hip_bfloat16Dv2_fLb1ELi2EEEvPKT_PKT0_PfPimiiif, .Lfunc_end187-_ZN5aiter20topk_softplus_kernelI6__half12hip_bfloat16Dv2_fLb1ELi2EEEvPKT_PKT0_PfPimiiif
                                        ; -- End function
	.section	.AMDGPU.csdata,"",@progbits
; Kernel info:
; codeLenInByte = 2020
; NumSgprs: 25
; NumVgprs: 15
; ScratchSize: 0
; MemoryBound: 0
; FloatMode: 240
; IeeeMode: 1
; LDSByteSize: 0 bytes/workgroup (compile time only)
; SGPRBlocks: 3
; VGPRBlocks: 1
; NumSGPRsForWavesPerEU: 25
; NumVGPRsForWavesPerEU: 15
; Occupancy: 16
; WaveLimiterHint : 0
; COMPUTE_PGM_RSRC2:SCRATCH_EN: 0
; COMPUTE_PGM_RSRC2:USER_SGPR: 15
; COMPUTE_PGM_RSRC2:TRAP_HANDLER: 0
; COMPUTE_PGM_RSRC2:TGID_X_EN: 1
; COMPUTE_PGM_RSRC2:TGID_Y_EN: 0
; COMPUTE_PGM_RSRC2:TGID_Z_EN: 0
; COMPUTE_PGM_RSRC2:TIDIG_COMP_CNT: 0
	.section	.text._ZN5aiter20topk_softplus_kernelI6__half12hip_bfloat16Dv2_fLb0ELi2EEEvPKT_PKT0_PfPimiiif,"axG",@progbits,_ZN5aiter20topk_softplus_kernelI6__half12hip_bfloat16Dv2_fLb0ELi2EEEvPKT_PKT0_PfPimiiif,comdat
	.protected	_ZN5aiter20topk_softplus_kernelI6__half12hip_bfloat16Dv2_fLb0ELi2EEEvPKT_PKT0_PfPimiiif ; -- Begin function _ZN5aiter20topk_softplus_kernelI6__half12hip_bfloat16Dv2_fLb0ELi2EEEvPKT_PKT0_PfPimiiif
	.globl	_ZN5aiter20topk_softplus_kernelI6__half12hip_bfloat16Dv2_fLb0ELi2EEEvPKT_PKT0_PfPimiiif
	.p2align	8
	.type	_ZN5aiter20topk_softplus_kernelI6__half12hip_bfloat16Dv2_fLb0ELi2EEEvPKT_PKT0_PfPimiiif,@function
_ZN5aiter20topk_softplus_kernelI6__half12hip_bfloat16Dv2_fLb0ELi2EEEvPKT_PKT0_PfPimiiif: ; @_ZN5aiter20topk_softplus_kernelI6__half12hip_bfloat16Dv2_fLb0ELi2EEEvPKT_PKT0_PfPimiiif
; %bb.0:
	s_clause 0x1
	s_load_b64 s[12:13], s[0:1], 0x28
	s_load_b256 s[4:11], s[0:1], 0x0
	v_lshl_add_u32 v3, v0, 3, 0
	s_waitcnt lgkmcnt(0)
	s_lshr_b32 s2, s12, 31
	s_mul_i32 s16, s15, s12
	s_add_i32 s2, s12, s2
	s_ashr_i32 s17, s16, 31
	s_ashr_i32 s14, s2, 1
	s_delay_alu instid0(SALU_CYCLE_1) | instskip(NEXT) | instid1(VALU_DEP_1)
	v_cmp_gt_i32_e64 s2, s14, v0
	s_and_saveexec_b32 s18, s2
	s_cbranch_execz .LBB188_3
; %bb.1:
	s_load_b32 s3, s[0:1], 0x44
	v_lshlrev_b32_e32 v1, 2, v0
	s_lshl_b64 s[20:21], s[16:17], 1
	v_lshl_add_u32 v4, v0, 3, 0
	v_mov_b32_e32 v5, v0
	s_waitcnt lgkmcnt(0)
	s_and_b32 s19, s3, 0xffff
	s_add_u32 s3, s4, s20
	s_addc_u32 s20, s5, s21
	v_add_co_u32 v1, s3, s3, v1
	s_delay_alu instid0(VALU_DEP_1)
	v_add_co_ci_u32_e64 v2, null, s20, 0, s3
	s_mov_b32 s20, 0
	s_lshl_b32 s21, s19, 2
	s_lshl_b32 s22, s19, 3
	.p2align	6
.LBB188_2:                              ; =>This Inner Loop Header: Depth=1
	global_load_b32 v6, v[1:2], off
	v_add_nc_u32_e32 v5, s19, v5
	v_add_co_u32 v1, vcc_lo, v1, s21
	v_add_co_ci_u32_e32 v2, vcc_lo, 0, v2, vcc_lo
	s_delay_alu instid0(VALU_DEP_3) | instskip(NEXT) | instid1(VALU_DEP_1)
	v_cmp_le_i32_e64 s3, s14, v5
	s_or_b32 s20, s3, s20
	s_waitcnt vmcnt(0)
	v_lshrrev_b32_e32 v7, 16, v6
	v_cvt_f32_f16_e32 v6, v6
	s_delay_alu instid0(VALU_DEP_2)
	v_cvt_f32_f16_e32 v7, v7
	ds_store_b64 v4, v[6:7]
	v_add_nc_u32_e32 v4, s22, v4
	s_and_not1_b32 exec_lo, exec_lo, s20
	s_cbranch_execnz .LBB188_2
.LBB188_3:
	s_or_b32 exec_lo, exec_lo, s18
	v_lshl_add_u32 v1, s14, 1, v0
	s_mov_b32 s3, exec_lo
	s_delay_alu instid0(VALU_DEP_1)
	v_cmpx_gt_i32_e64 s12, v1
	s_cbranch_execz .LBB188_6
; %bb.4:
	s_load_b32 s18, s[0:1], 0x44
	s_lshl_b64 s[16:17], s[16:17], 1
	v_lshlrev_b32_e32 v2, 2, v0
	s_add_u32 s4, s4, s16
	s_addc_u32 s5, s5, s17
	s_lshl_b32 s16, s14, 3
	s_mov_b32 s17, 0
	v_add3_u32 v4, 0, s16, v2
	s_waitcnt lgkmcnt(0)
	s_and_b32 s16, s18, 0xffff
	s_delay_alu instid0(SALU_CYCLE_1)
	s_lshl_b32 s18, s16, 2
	.p2align	6
.LBB188_5:                              ; =>This Inner Loop Header: Depth=1
	v_ashrrev_i32_e32 v2, 31, v1
	s_delay_alu instid0(VALU_DEP_1) | instskip(SKIP_1) | instid1(VALU_DEP_2)
	v_lshlrev_b64 v[5:6], 1, v[1:2]
	v_add_nc_u32_e32 v1, s16, v1
	v_add_co_u32 v5, vcc_lo, s4, v5
	s_delay_alu instid0(VALU_DEP_3) | instskip(NEXT) | instid1(VALU_DEP_3)
	v_add_co_ci_u32_e32 v6, vcc_lo, s5, v6, vcc_lo
	v_cmp_le_i32_e32 vcc_lo, s12, v1
	global_load_u16 v2, v[5:6], off
	s_or_b32 s17, vcc_lo, s17
	s_waitcnt vmcnt(0)
	v_cvt_f32_f16_e32 v2, v2
	ds_store_b32 v4, v2
	v_add_nc_u32_e32 v4, s18, v4
	s_and_not1_b32 exec_lo, exec_lo, s17
	s_cbranch_execnz .LBB188_5
.LBB188_6:
	s_or_b32 exec_lo, exec_lo, s3
	v_cmp_gt_i32_e32 vcc_lo, s12, v0
	v_mov_b32_e32 v2, 0xff800000
	s_waitcnt lgkmcnt(0)
	s_barrier
	buffer_gl0_inv
	s_and_saveexec_b32 s4, vcc_lo
	s_cbranch_execz .LBB188_10
; %bb.7:
	s_load_b32 s3, s[0:1], 0x44
	v_lshl_add_u32 v1, v0, 2, 0
	v_mov_b32_e32 v2, 0xff800000
	v_mov_b32_e32 v4, v0
	s_mov_b32 s5, 0
	s_waitcnt lgkmcnt(0)
	s_and_b32 s16, s3, 0xffff
	s_delay_alu instid0(SALU_CYCLE_1)
	s_lshl_b32 s17, s16, 2
.LBB188_8:                              ; =>This Inner Loop Header: Depth=1
	ds_load_b32 v5, v1
	v_add_nc_u32_e32 v4, s16, v4
	v_dual_max_f32 v2, v2, v2 :: v_dual_add_nc_u32 v1, s17, v1
	s_waitcnt lgkmcnt(0)
	v_max_f32_e32 v5, v5, v5
	s_delay_alu instid0(VALU_DEP_3) | instskip(NEXT) | instid1(VALU_DEP_2)
	v_cmp_le_i32_e64 s3, s12, v4
	v_max_f32_e32 v2, v2, v5
	s_delay_alu instid0(VALU_DEP_2) | instskip(NEXT) | instid1(SALU_CYCLE_1)
	s_or_b32 s5, s3, s5
	s_and_not1_b32 exec_lo, exec_lo, s5
	s_cbranch_execnz .LBB188_8
; %bb.9:
	s_or_b32 exec_lo, exec_lo, s5
.LBB188_10:
	s_delay_alu instid0(SALU_CYCLE_1)
	s_or_b32 exec_lo, exec_lo, s4
	v_mov_b32_e32 v1, 0
	;;#ASMSTART
	v_max_f32 v4, v2, v2 quad_perm:[1,0,3,2] row_mask:0xf bank_mask:0xf bound_ctrl:1
	;;#ASMEND
	;;#ASMSTART
	v_max_f32 v2, v4, v4 quad_perm:[2,3,0,1] row_mask:0xf bank_mask:0xf bound_ctrl:1
	;;#ASMEND
	;;#ASMSTART
	v_max_f32 v4, v2, v2 row_half_mirror row_mask:0xf bank_mask:0xf bound_ctrl:1
	;;#ASMEND
	;;#ASMSTART
	v_max_f32 v2, v4, v4 row_mirror row_mask:0xf bank_mask:0xf bound_ctrl:1
	;;#ASMEND
	s_and_saveexec_b32 s4, vcc_lo
	s_cbranch_execz .LBB188_14
; %bb.11:
	s_load_b32 s3, s[0:1], 0x44
	s_mov_b32 s5, 0x76543210
	v_lshl_add_u32 v4, v0, 2, 0
	v_permlanex16_b32 v1, v2, s5, 0xfedcba98 op_sel:[1,1]
	v_mov_b32_e32 v5, v0
	s_mov_b32 s5, 0
	s_delay_alu instid0(VALU_DEP_2) | instskip(NEXT) | instid1(VALU_DEP_1)
	v_dual_max_f32 v2, v2, v2 :: v_dual_max_f32 v1, v1, v1
	v_dual_max_f32 v2, v2, v1 :: v_dual_mov_b32 v1, 0
	s_waitcnt lgkmcnt(0)
	s_and_b32 s16, s3, 0xffff
	s_delay_alu instid0(SALU_CYCLE_1)
	s_lshl_b32 s17, s16, 2
	.p2align	6
.LBB188_12:                             ; =>This Inner Loop Header: Depth=1
	ds_load_b32 v6, v4
	s_waitcnt lgkmcnt(0)
	v_dual_sub_f32 v6, v6, v2 :: v_dual_add_nc_u32 v5, s16, v5
	s_delay_alu instid0(VALU_DEP_1) | instskip(NEXT) | instid1(VALU_DEP_1)
	v_mul_f32_e32 v7, 0x3fb8aa3b, v6
	v_cmp_gt_f32_e64 s3, 0xc2fc0000, v7
	s_delay_alu instid0(VALU_DEP_1) | instskip(NEXT) | instid1(VALU_DEP_1)
	v_cndmask_b32_e64 v7, 0, 0x42800000, s3
	v_fmac_f32_e32 v7, 0x3fb8aa3b, v6
	s_delay_alu instid0(VALU_DEP_1) | instskip(SKIP_2) | instid1(VALU_DEP_1)
	v_exp_f32_e32 v6, v7
	v_cndmask_b32_e64 v7, 1.0, 0x1f800000, s3
	v_cmp_le_i32_e64 s3, s12, v5
	s_or_b32 s5, s3, s5
	s_waitcnt_depctr 0xfff
	v_mul_f32_e32 v8, v6, v7
	v_fmac_f32_e32 v1, v6, v7
	ds_store_b32 v4, v8
	v_add_nc_u32_e32 v4, s17, v4
	s_and_not1_b32 exec_lo, exec_lo, s5
	s_cbranch_execnz .LBB188_12
; %bb.13:
	s_or_b32 exec_lo, exec_lo, s5
.LBB188_14:
	s_delay_alu instid0(SALU_CYCLE_1) | instskip(SKIP_1) | instid1(VALU_DEP_1)
	s_or_b32 exec_lo, exec_lo, s4
	v_mov_b32_dpp v2, v1 quad_perm:[1,0,3,2] row_mask:0xf bank_mask:0xf
	v_add_f32_e32 v1, v1, v2
	s_delay_alu instid0(VALU_DEP_1) | instskip(NEXT) | instid1(VALU_DEP_1)
	v_mov_b32_dpp v2, v1 quad_perm:[2,3,0,1] row_mask:0xf bank_mask:0xf
	v_add_f32_e32 v1, v1, v2
	s_delay_alu instid0(VALU_DEP_1) | instskip(NEXT) | instid1(VALU_DEP_1)
	v_mov_b32_dpp v2, v1 row_xmask:7 row_mask:0xf bank_mask:0xf
	v_add_f32_e32 v1, v1, v2
	s_delay_alu instid0(VALU_DEP_1)
	v_mov_b32_dpp v2, v1 row_xmask:15 row_mask:0xf bank_mask:0xf
	s_and_saveexec_b32 s3, vcc_lo
	s_cbranch_execz .LBB188_19
; %bb.15:
	s_delay_alu instid0(VALU_DEP_1)
	v_add_f32_e32 v1, v1, v2
	s_load_b32 s5, s[0:1], 0x44
	s_mov_b32 s4, 0x76543210
	s_cmp_lg_u64 s[6:7], 0
	v_lshl_add_u32 v5, v0, 2, 0
	v_permlanex16_b32 v2, v1, s4, 0xfedcba98 op_sel:[1,1]
	s_cselect_b32 s4, -1, 0
	s_mov_b32 s16, 0
	s_delay_alu instid0(VALU_DEP_1) | instskip(NEXT) | instid1(VALU_DEP_1)
	v_add_f32_e32 v1, v1, v2
	v_rcp_f32_e32 v4, v1
	v_mov_b32_e32 v1, v0
	s_waitcnt lgkmcnt(0)
	s_and_b32 s5, s5, 0xffff
	s_delay_alu instid0(SALU_CYCLE_1)
	s_lshl_b32 s17, s5, 2
	s_set_inst_prefetch_distance 0x1
	s_branch .LBB188_17
	.p2align	6
.LBB188_16:                             ;   in Loop: Header=BB188_17 Depth=1
	v_add_nc_u32_e32 v1, s5, v1
	v_add_nc_u32_e32 v5, s17, v5
	s_delay_alu instid0(VALU_DEP_2) | instskip(SKIP_1) | instid1(SALU_CYCLE_1)
	v_cmp_le_i32_e32 vcc_lo, s12, v1
	s_or_b32 s16, vcc_lo, s16
	s_and_not1_b32 exec_lo, exec_lo, s16
	s_cbranch_execz .LBB188_19
.LBB188_17:                             ; =>This Inner Loop Header: Depth=1
	ds_load_b32 v2, v5
	s_and_not1_b32 vcc_lo, exec_lo, s4
	s_waitcnt lgkmcnt(0)
	v_mul_f32_e32 v6, v4, v2
	ds_store_b32 v5, v6
	s_cbranch_vccnz .LBB188_16
; %bb.18:                               ;   in Loop: Header=BB188_17 Depth=1
	v_ashrrev_i32_e32 v2, 31, v1
	s_delay_alu instid0(VALU_DEP_1) | instskip(NEXT) | instid1(VALU_DEP_1)
	v_lshlrev_b64 v[7:8], 1, v[1:2]
	v_add_co_u32 v7, vcc_lo, s6, v7
	s_delay_alu instid0(VALU_DEP_2) | instskip(SKIP_3) | instid1(VALU_DEP_1)
	v_add_co_ci_u32_e32 v8, vcc_lo, s7, v8, vcc_lo
	global_load_u16 v2, v[7:8], off
	s_waitcnt vmcnt(0)
	v_lshlrev_b32_e32 v2, 16, v2
	v_add_f32_e32 v2, v6, v2
	ds_store_b32 v5, v2
	s_branch .LBB188_16
.LBB188_19:
	s_set_inst_prefetch_distance 0x2
	s_or_b32 exec_lo, exec_lo, s3
	s_cmp_lt_i32 s13, 1
	s_waitcnt lgkmcnt(0)
	s_barrier
	buffer_gl0_inv
	s_cbranch_scc1 .LBB188_28
; %bb.20:
	s_add_u32 s4, s0, 56
	s_addc_u32 s5, s1, 0
	v_dual_mov_b32 v5, 0 :: v_dual_lshlrev_b32 v4, 1, v0
	v_dual_mov_b32 v1, 0 :: v_dual_mov_b32 v6, 0xff800000
	v_mov_b32_e32 v2, 0
	s_cmp_lg_u64 s[6:7], 0
	s_mov_b32 s18, 0
	s_cselect_b32 s12, -1, 0
	s_mov_b32 s19, 0x76543210
	s_branch .LBB188_22
.LBB188_21:                             ;   in Loop: Header=BB188_22 Depth=1
	v_cmp_eq_u32_e32 vcc_lo, s18, v0
	s_delay_alu instid0(VALU_DEP_2)
	s_lshl_b32 s3, s16, 2
	s_add_i32 s18, s18, 1
	s_add_i32 s3, s3, 0
	s_cmp_eq_u32 s18, s13
	v_cndmask_b32_e64 v1, v1, s16, vcc_lo
	v_dual_mov_b32 v7, s3 :: v_dual_cndmask_b32 v2, v2, v9
	ds_store_b32 v7, v6
	s_cbranch_scc1 .LBB188_29
.LBB188_22:                             ; =>This Loop Header: Depth=1
                                        ;     Child Loop BB188_24 Depth 2
	v_dual_mov_b32 v7, s18 :: v_dual_mov_b32 v8, 0xff800000
	s_and_saveexec_b32 s16, s2
	s_cbranch_execz .LBB188_26
; %bb.23:                               ;   in Loop: Header=BB188_22 Depth=1
	s_load_b32 s3, s[4:5], 0xc
	v_dual_mov_b32 v7, s18 :: v_dual_mov_b32 v8, 0xff800000
	v_dual_mov_b32 v9, v3 :: v_dual_mov_b32 v10, v4
	v_mov_b32_e32 v11, v0
	s_mov_b32 s21, 0
	s_waitcnt lgkmcnt(0)
	s_and_b32 s17, s3, 0xffff
	s_delay_alu instid0(SALU_CYCLE_1)
	s_lshl_b32 s20, s17, 1
	s_lshl_b32 s22, s17, 3
	.p2align	6
.LBB188_24:                             ;   Parent Loop BB188_22 Depth=1
                                        ; =>  This Inner Loop Header: Depth=2
	ds_load_b64 v[12:13], v9
	v_add_nc_u32_e32 v9, s22, v9
	v_add_nc_u32_e32 v11, s17, v11
	s_delay_alu instid0(VALU_DEP_1) | instskip(NEXT) | instid1(VALU_DEP_1)
	v_cmp_le_i32_e64 s3, s14, v11
	s_or_b32 s21, s3, s21
	s_waitcnt lgkmcnt(0)
	v_cmp_gt_f32_e32 vcc_lo, v12, v8
	v_cndmask_b32_e32 v8, v8, v12, vcc_lo
	v_add_nc_u32_e32 v12, 1, v10
	v_cndmask_b32_e32 v7, v7, v10, vcc_lo
	s_delay_alu instid0(VALU_DEP_3) | instskip(SKIP_1) | instid1(VALU_DEP_3)
	v_cmp_gt_f32_e32 vcc_lo, v13, v8
	v_cndmask_b32_e32 v8, v8, v13, vcc_lo
	v_dual_cndmask_b32 v7, v7, v12 :: v_dual_add_nc_u32 v10, s20, v10
	s_and_not1_b32 exec_lo, exec_lo, s21
	s_cbranch_execnz .LBB188_24
; %bb.25:                               ;   in Loop: Header=BB188_22 Depth=1
	s_or_b32 exec_lo, exec_lo, s21
.LBB188_26:                             ;   in Loop: Header=BB188_22 Depth=1
	s_delay_alu instid0(SALU_CYCLE_1)
	s_or_b32 exec_lo, exec_lo, s16
	;;#ASMSTART
	v_max_f32 v9, v8, v8 quad_perm:[1,0,3,2] row_mask:0xf bank_mask:0xf bound_ctrl:1
	;;#ASMEND
	;;#ASMSTART
	v_max_f32 v10, v9, v9 quad_perm:[2,3,0,1] row_mask:0xf bank_mask:0xf bound_ctrl:1
	;;#ASMEND
	;;#ASMSTART
	v_max_f32 v9, v10, v10 row_half_mirror row_mask:0xf bank_mask:0xf bound_ctrl:1
	;;#ASMEND
	;;#ASMSTART
	v_max_f32 v10, v9, v9 row_mirror row_mask:0xf bank_mask:0xf bound_ctrl:1
	;;#ASMEND
	v_permlanex16_b32 v9, v10, s19, 0xfedcba98 op_sel:[1,1]
	s_delay_alu instid0(VALU_DEP_1) | instskip(NEXT) | instid1(VALU_DEP_1)
	v_dual_max_f32 v10, v10, v10 :: v_dual_max_f32 v9, v9, v9
	v_max_f32_e32 v9, v10, v9
	s_delay_alu instid0(VALU_DEP_1)
	v_cmp_eq_f32_e32 vcc_lo, v8, v9
	s_ctz_i32_b32 s3, vcc_lo
	s_cmp_lg_u32 vcc_lo, 0
	s_cselect_b32 s3, s3, 0
	s_and_b32 vcc_lo, exec_lo, s12
	v_readlane_b32 s16, v7, s3
	s_cbranch_vccz .LBB188_21
; %bb.27:                               ;   in Loop: Header=BB188_22 Depth=1
	s_delay_alu instid0(VALU_DEP_1) | instskip(NEXT) | instid1(SALU_CYCLE_1)
	s_ashr_i32 s17, s16, 31
	s_lshl_b64 s[20:21], s[16:17], 1
	s_delay_alu instid0(SALU_CYCLE_1) | instskip(SKIP_4) | instid1(VALU_DEP_1)
	s_add_u32 s20, s6, s20
	s_addc_u32 s21, s7, s21
	global_load_u16 v7, v5, s[20:21]
	s_waitcnt vmcnt(0)
	v_lshlrev_b32_e32 v7, 16, v7
	v_sub_f32_e32 v9, v9, v7
	s_branch .LBB188_21
.LBB188_28:
	v_dual_mov_b32 v2, 0 :: v_dual_mov_b32 v1, 0
.LBB188_29:
	s_mov_b32 s2, exec_lo
	v_cmpx_gt_i32_e64 s13, v0
	s_cbranch_execz .LBB188_32
; %bb.30:
	s_clause 0x2
	s_load_b32 s4, s[0:1], 0x34
	s_load_b64 s[2:3], s[0:1], 0x20
	s_load_b32 s0, s[0:1], 0x44
	s_ashr_i32 s1, s15, 31
	s_waitcnt lgkmcnt(0)
	v_mul_f32_e32 v2, s4, v2
	s_mul_i32 s3, s15, s3
	s_mul_hi_u32 s4, s15, s2
	s_mul_i32 s5, s1, s2
	s_add_i32 s3, s4, s3
	s_mul_i32 s1, s15, s2
	s_and_b32 s2, s0, 0xffff
	s_add_i32 s3, s3, s5
	s_mov_b32 s4, 0
	.p2align	6
.LBB188_31:                             ; =>This Inner Loop Header: Depth=1
	v_ashrrev_i32_e32 v4, 31, v0
	v_add_co_u32 v3, vcc_lo, s1, v0
	v_add_nc_u32_e32 v0, s2, v0
	s_delay_alu instid0(VALU_DEP_3) | instskip(NEXT) | instid1(VALU_DEP_2)
	v_add_co_ci_u32_e32 v4, vcc_lo, s3, v4, vcc_lo
	v_cmp_le_i32_e32 vcc_lo, s13, v0
	s_delay_alu instid0(VALU_DEP_2) | instskip(SKIP_1) | instid1(VALU_DEP_1)
	v_lshlrev_b64 v[3:4], 2, v[3:4]
	s_or_b32 s4, vcc_lo, s4
	v_add_co_u32 v5, s0, s8, v3
	s_delay_alu instid0(VALU_DEP_1) | instskip(SKIP_1) | instid1(VALU_DEP_1)
	v_add_co_ci_u32_e64 v6, s0, s9, v4, s0
	v_add_co_u32 v3, s0, s10, v3
	v_add_co_ci_u32_e64 v4, s0, s11, v4, s0
	global_store_b32 v[5:6], v2, off
	global_store_b32 v[3:4], v1, off
	s_and_not1_b32 exec_lo, exec_lo, s4
	s_cbranch_execnz .LBB188_31
.LBB188_32:
	s_nop 0
	s_sendmsg sendmsg(MSG_DEALLOC_VGPRS)
	s_endpgm
	.section	.rodata,"a",@progbits
	.p2align	6, 0x0
	.amdhsa_kernel _ZN5aiter20topk_softplus_kernelI6__half12hip_bfloat16Dv2_fLb0ELi2EEEvPKT_PKT0_PfPimiiif
		.amdhsa_group_segment_fixed_size 0
		.amdhsa_private_segment_fixed_size 0
		.amdhsa_kernarg_size 312
		.amdhsa_user_sgpr_count 15
		.amdhsa_user_sgpr_dispatch_ptr 0
		.amdhsa_user_sgpr_queue_ptr 0
		.amdhsa_user_sgpr_kernarg_segment_ptr 1
		.amdhsa_user_sgpr_dispatch_id 0
		.amdhsa_user_sgpr_private_segment_size 0
		.amdhsa_wavefront_size32 1
		.amdhsa_uses_dynamic_stack 0
		.amdhsa_enable_private_segment 0
		.amdhsa_system_sgpr_workgroup_id_x 1
		.amdhsa_system_sgpr_workgroup_id_y 0
		.amdhsa_system_sgpr_workgroup_id_z 0
		.amdhsa_system_sgpr_workgroup_info 0
		.amdhsa_system_vgpr_workitem_id 0
		.amdhsa_next_free_vgpr 14
		.amdhsa_next_free_sgpr 23
		.amdhsa_reserve_vcc 1
		.amdhsa_float_round_mode_32 0
		.amdhsa_float_round_mode_16_64 0
		.amdhsa_float_denorm_mode_32 3
		.amdhsa_float_denorm_mode_16_64 3
		.amdhsa_dx10_clamp 1
		.amdhsa_ieee_mode 1
		.amdhsa_fp16_overflow 0
		.amdhsa_workgroup_processor_mode 1
		.amdhsa_memory_ordered 1
		.amdhsa_forward_progress 0
		.amdhsa_shared_vgpr_count 0
		.amdhsa_exception_fp_ieee_invalid_op 0
		.amdhsa_exception_fp_denorm_src 0
		.amdhsa_exception_fp_ieee_div_zero 0
		.amdhsa_exception_fp_ieee_overflow 0
		.amdhsa_exception_fp_ieee_underflow 0
		.amdhsa_exception_fp_ieee_inexact 0
		.amdhsa_exception_int_div_zero 0
	.end_amdhsa_kernel
	.section	.text._ZN5aiter20topk_softplus_kernelI6__half12hip_bfloat16Dv2_fLb0ELi2EEEvPKT_PKT0_PfPimiiif,"axG",@progbits,_ZN5aiter20topk_softplus_kernelI6__half12hip_bfloat16Dv2_fLb0ELi2EEEvPKT_PKT0_PfPimiiif,comdat
.Lfunc_end188:
	.size	_ZN5aiter20topk_softplus_kernelI6__half12hip_bfloat16Dv2_fLb0ELi2EEEvPKT_PKT0_PfPimiiif, .Lfunc_end188-_ZN5aiter20topk_softplus_kernelI6__half12hip_bfloat16Dv2_fLb0ELi2EEEvPKT_PKT0_PfPimiiif
                                        ; -- End function
	.section	.AMDGPU.csdata,"",@progbits
; Kernel info:
; codeLenInByte = 1896
; NumSgprs: 25
; NumVgprs: 14
; ScratchSize: 0
; MemoryBound: 0
; FloatMode: 240
; IeeeMode: 1
; LDSByteSize: 0 bytes/workgroup (compile time only)
; SGPRBlocks: 3
; VGPRBlocks: 1
; NumSGPRsForWavesPerEU: 25
; NumVGPRsForWavesPerEU: 14
; Occupancy: 16
; WaveLimiterHint : 0
; COMPUTE_PGM_RSRC2:SCRATCH_EN: 0
; COMPUTE_PGM_RSRC2:USER_SGPR: 15
; COMPUTE_PGM_RSRC2:TRAP_HANDLER: 0
; COMPUTE_PGM_RSRC2:TGID_X_EN: 1
; COMPUTE_PGM_RSRC2:TGID_Y_EN: 0
; COMPUTE_PGM_RSRC2:TGID_Z_EN: 0
; COMPUTE_PGM_RSRC2:TIDIG_COMP_CNT: 0
	.section	.text._ZN5aiter20topk_softplus_kernelI6__half12hip_bfloat16Dv1_fLb1ELi2EEEvPKT_PKT0_PfPimiiif,"axG",@progbits,_ZN5aiter20topk_softplus_kernelI6__half12hip_bfloat16Dv1_fLb1ELi2EEEvPKT_PKT0_PfPimiiif,comdat
	.protected	_ZN5aiter20topk_softplus_kernelI6__half12hip_bfloat16Dv1_fLb1ELi2EEEvPKT_PKT0_PfPimiiif ; -- Begin function _ZN5aiter20topk_softplus_kernelI6__half12hip_bfloat16Dv1_fLb1ELi2EEEvPKT_PKT0_PfPimiiif
	.globl	_ZN5aiter20topk_softplus_kernelI6__half12hip_bfloat16Dv1_fLb1ELi2EEEvPKT_PKT0_PfPimiiif
	.p2align	8
	.type	_ZN5aiter20topk_softplus_kernelI6__half12hip_bfloat16Dv1_fLb1ELi2EEEvPKT_PKT0_PfPimiiif,@function
_ZN5aiter20topk_softplus_kernelI6__half12hip_bfloat16Dv1_fLb1ELi2EEEvPKT_PKT0_PfPimiiif: ; @_ZN5aiter20topk_softplus_kernelI6__half12hip_bfloat16Dv1_fLb1ELi2EEEvPKT_PKT0_PfPimiiif
; %bb.0:
	s_clause 0x1
	s_load_b64 s[12:13], s[0:1], 0x28
	s_load_b256 s[4:11], s[0:1], 0x0
	v_lshl_add_u32 v3, v0, 2, 0
	s_waitcnt lgkmcnt(0)
	s_mul_i32 s16, s15, s12
	v_cmp_gt_i32_e64 s2, s12, v0
	s_ashr_i32 s17, s16, 31
	s_delay_alu instid0(SALU_CYCLE_1) | instskip(NEXT) | instid1(SALU_CYCLE_1)
	s_lshl_b64 s[16:17], s[16:17], 1
	s_add_u32 s3, s4, s16
	s_addc_u32 s4, s5, s17
	s_and_saveexec_b32 s5, s2
	s_cbranch_execz .LBB189_3
; %bb.1:
	s_load_b32 s14, s[0:1], 0x44
	v_lshl_add_u32 v4, v0, 2, 0
	v_mov_b32_e32 v1, v0
	s_mov_b32 s16, 0
	s_waitcnt lgkmcnt(0)
	s_and_b32 s14, s14, 0xffff
	s_delay_alu instid0(SALU_CYCLE_1)
	s_lshl_b32 s17, s14, 2
	.p2align	6
.LBB189_2:                              ; =>This Inner Loop Header: Depth=1
	v_ashrrev_i32_e32 v2, 31, v1
	s_delay_alu instid0(VALU_DEP_1) | instskip(SKIP_1) | instid1(VALU_DEP_2)
	v_lshlrev_b64 v[5:6], 1, v[1:2]
	v_add_nc_u32_e32 v1, s14, v1
	v_add_co_u32 v5, vcc_lo, s3, v5
	s_delay_alu instid0(VALU_DEP_3) | instskip(NEXT) | instid1(VALU_DEP_3)
	v_add_co_ci_u32_e32 v6, vcc_lo, s4, v6, vcc_lo
	v_cmp_le_i32_e32 vcc_lo, s12, v1
	global_load_u16 v2, v[5:6], off
	s_or_b32 s16, vcc_lo, s16
	s_waitcnt vmcnt(0)
	v_cvt_f32_f16_e32 v2, v2
	ds_store_b32 v4, v2
	v_add_nc_u32_e32 v4, s17, v4
	s_and_not1_b32 exec_lo, exec_lo, s16
	s_cbranch_execnz .LBB189_2
.LBB189_3:
	s_or_b32 exec_lo, exec_lo, s5
	v_add_nc_u32_e32 v1, s12, v0
	s_mov_b32 s5, exec_lo
	s_delay_alu instid0(VALU_DEP_1)
	v_cmpx_gt_i32_e64 s12, v1
	s_cbranch_execz .LBB189_6
; %bb.4:
	s_load_b32 s14, s[0:1], 0x44
	v_lshl_add_u32 v4, v1, 2, 0
	s_mov_b32 s16, 0
	s_waitcnt lgkmcnt(0)
	s_and_b32 s14, s14, 0xffff
	s_delay_alu instid0(SALU_CYCLE_1)
	s_lshl_b32 s17, s14, 2
	.p2align	6
.LBB189_5:                              ; =>This Inner Loop Header: Depth=1
	v_ashrrev_i32_e32 v2, 31, v1
	s_delay_alu instid0(VALU_DEP_1) | instskip(SKIP_1) | instid1(VALU_DEP_2)
	v_lshlrev_b64 v[5:6], 1, v[1:2]
	v_add_nc_u32_e32 v1, s14, v1
	v_add_co_u32 v5, vcc_lo, s3, v5
	s_delay_alu instid0(VALU_DEP_3) | instskip(NEXT) | instid1(VALU_DEP_3)
	v_add_co_ci_u32_e32 v6, vcc_lo, s4, v6, vcc_lo
	v_cmp_le_i32_e32 vcc_lo, s12, v1
	global_load_u16 v2, v[5:6], off
	s_or_b32 s16, vcc_lo, s16
	s_waitcnt vmcnt(0)
	v_cvt_f32_f16_e32 v2, v2
	ds_store_b32 v4, v2
	v_add_nc_u32_e32 v4, s17, v4
	s_and_not1_b32 exec_lo, exec_lo, s16
	s_cbranch_execnz .LBB189_5
.LBB189_6:
	s_or_b32 exec_lo, exec_lo, s5
	v_mov_b32_e32 v2, 0xff800000
	s_waitcnt lgkmcnt(0)
	s_barrier
	buffer_gl0_inv
	s_and_saveexec_b32 s3, s2
	s_cbranch_execz .LBB189_10
; %bb.7:
	s_load_b32 s4, s[0:1], 0x44
	v_lshl_add_u32 v1, v0, 2, 0
	v_mov_b32_e32 v2, 0xff800000
	v_mov_b32_e32 v4, v0
	s_waitcnt lgkmcnt(0)
	s_and_b32 s5, s4, 0xffff
	s_mov_b32 s4, 0
	s_lshl_b32 s14, s5, 2
.LBB189_8:                              ; =>This Inner Loop Header: Depth=1
	ds_load_b32 v5, v1
	v_add_nc_u32_e32 v4, s5, v4
	v_dual_max_f32 v2, v2, v2 :: v_dual_add_nc_u32 v1, s14, v1
	s_waitcnt lgkmcnt(0)
	v_max_f32_e32 v5, v5, v5
	s_delay_alu instid0(VALU_DEP_3) | instskip(NEXT) | instid1(VALU_DEP_2)
	v_cmp_le_i32_e32 vcc_lo, s12, v4
	v_max_f32_e32 v2, v2, v5
	s_or_b32 s4, vcc_lo, s4
	s_delay_alu instid0(SALU_CYCLE_1)
	s_and_not1_b32 exec_lo, exec_lo, s4
	s_cbranch_execnz .LBB189_8
; %bb.9:
	s_or_b32 exec_lo, exec_lo, s4
.LBB189_10:
	s_delay_alu instid0(SALU_CYCLE_1)
	s_or_b32 exec_lo, exec_lo, s3
	v_mov_b32_e32 v1, 0
	;;#ASMSTART
	v_max_f32 v4, v2, v2 quad_perm:[1,0,3,2] row_mask:0xf bank_mask:0xf bound_ctrl:1
	;;#ASMEND
	;;#ASMSTART
	v_max_f32 v2, v4, v4 quad_perm:[2,3,0,1] row_mask:0xf bank_mask:0xf bound_ctrl:1
	;;#ASMEND
	;;#ASMSTART
	v_max_f32 v4, v2, v2 row_half_mirror row_mask:0xf bank_mask:0xf bound_ctrl:1
	;;#ASMEND
	;;#ASMSTART
	v_max_f32 v2, v4, v4 row_mirror row_mask:0xf bank_mask:0xf bound_ctrl:1
	;;#ASMEND
	s_and_saveexec_b32 s3, s2
	s_cbranch_execz .LBB189_14
; %bb.11:
	s_load_b32 s4, s[0:1], 0x44
	s_mov_b32 s5, 0x76543210
	v_lshl_add_u32 v4, v0, 2, 0
	v_permlanex16_b32 v1, v2, s5, 0xfedcba98 op_sel:[1,1]
	v_dual_mov_b32 v5, v0 :: v_dual_max_f32 v2, v2, v2
	s_delay_alu instid0(VALU_DEP_2) | instskip(NEXT) | instid1(VALU_DEP_1)
	v_max_f32_e32 v1, v1, v1
	v_dual_max_f32 v2, v2, v1 :: v_dual_mov_b32 v1, 0
	s_waitcnt lgkmcnt(0)
	s_and_b32 s5, s4, 0xffff
	s_mov_b32 s4, 0
	s_lshl_b32 s14, s5, 2
	.p2align	6
.LBB189_12:                             ; =>This Inner Loop Header: Depth=1
	ds_load_b32 v6, v4
	s_waitcnt lgkmcnt(0)
	v_dual_sub_f32 v6, v6, v2 :: v_dual_add_nc_u32 v5, s5, v5
	s_delay_alu instid0(VALU_DEP_1) | instskip(NEXT) | instid1(VALU_DEP_1)
	v_mul_f32_e32 v7, 0x3fb8aa3b, v6
	v_cmp_gt_f32_e32 vcc_lo, 0xc2fc0000, v7
	v_cndmask_b32_e64 v7, 0, 0x42800000, vcc_lo
	s_delay_alu instid0(VALU_DEP_1) | instskip(NEXT) | instid1(VALU_DEP_1)
	v_fmac_f32_e32 v7, 0x3fb8aa3b, v6
	v_exp_f32_e32 v6, v7
	v_cndmask_b32_e64 v7, 1.0, 0x1f800000, vcc_lo
	v_cmp_le_i32_e32 vcc_lo, s12, v5
	s_or_b32 s4, vcc_lo, s4
	s_waitcnt_depctr 0xfff
	v_mul_f32_e32 v8, v6, v7
	v_fmac_f32_e32 v1, v6, v7
	ds_store_b32 v4, v8
	v_add_nc_u32_e32 v4, s14, v4
	s_and_not1_b32 exec_lo, exec_lo, s4
	s_cbranch_execnz .LBB189_12
; %bb.13:
	s_or_b32 exec_lo, exec_lo, s4
.LBB189_14:
	s_delay_alu instid0(SALU_CYCLE_1) | instskip(SKIP_1) | instid1(VALU_DEP_1)
	s_or_b32 exec_lo, exec_lo, s3
	v_mov_b32_dpp v2, v1 quad_perm:[1,0,3,2] row_mask:0xf bank_mask:0xf
	v_add_f32_e32 v1, v1, v2
	s_delay_alu instid0(VALU_DEP_1) | instskip(NEXT) | instid1(VALU_DEP_1)
	v_mov_b32_dpp v2, v1 quad_perm:[2,3,0,1] row_mask:0xf bank_mask:0xf
	v_add_f32_e32 v1, v1, v2
	s_delay_alu instid0(VALU_DEP_1) | instskip(NEXT) | instid1(VALU_DEP_1)
	v_mov_b32_dpp v2, v1 row_xmask:7 row_mask:0xf bank_mask:0xf
	v_add_f32_e32 v1, v1, v2
	s_delay_alu instid0(VALU_DEP_1)
	v_mov_b32_dpp v2, v1 row_xmask:15 row_mask:0xf bank_mask:0xf
	s_and_saveexec_b32 s3, s2
	s_cbranch_execz .LBB189_19
; %bb.15:
	s_delay_alu instid0(VALU_DEP_1)
	v_add_f32_e32 v1, v1, v2
	s_load_b32 s5, s[0:1], 0x44
	s_mov_b32 s4, 0x76543210
	s_cmp_lg_u64 s[6:7], 0
	v_lshl_add_u32 v5, v0, 2, 0
	v_permlanex16_b32 v2, v1, s4, 0xfedcba98 op_sel:[1,1]
	s_cselect_b32 s4, -1, 0
	s_mov_b32 s14, 0
	s_delay_alu instid0(VALU_DEP_1) | instskip(NEXT) | instid1(VALU_DEP_1)
	v_add_f32_e32 v1, v1, v2
	v_rcp_f32_e32 v4, v1
	v_mov_b32_e32 v1, v0
	s_waitcnt lgkmcnt(0)
	s_and_b32 s5, s5, 0xffff
	s_delay_alu instid0(SALU_CYCLE_1)
	s_lshl_b32 s16, s5, 2
	s_set_inst_prefetch_distance 0x1
	s_branch .LBB189_17
	.p2align	6
.LBB189_16:                             ;   in Loop: Header=BB189_17 Depth=1
	v_add_nc_u32_e32 v1, s5, v1
	v_add_nc_u32_e32 v5, s16, v5
	s_delay_alu instid0(VALU_DEP_2) | instskip(SKIP_1) | instid1(SALU_CYCLE_1)
	v_cmp_le_i32_e32 vcc_lo, s12, v1
	s_or_b32 s14, vcc_lo, s14
	s_and_not1_b32 exec_lo, exec_lo, s14
	s_cbranch_execz .LBB189_19
.LBB189_17:                             ; =>This Inner Loop Header: Depth=1
	ds_load_b32 v2, v5
	s_and_not1_b32 vcc_lo, exec_lo, s4
	s_waitcnt lgkmcnt(0)
	v_mul_f32_e32 v6, v4, v2
	ds_store_b32 v5, v6
	s_cbranch_vccnz .LBB189_16
; %bb.18:                               ;   in Loop: Header=BB189_17 Depth=1
	v_ashrrev_i32_e32 v2, 31, v1
	s_delay_alu instid0(VALU_DEP_1) | instskip(NEXT) | instid1(VALU_DEP_1)
	v_lshlrev_b64 v[7:8], 1, v[1:2]
	v_add_co_u32 v7, vcc_lo, s6, v7
	s_delay_alu instid0(VALU_DEP_2) | instskip(SKIP_3) | instid1(VALU_DEP_1)
	v_add_co_ci_u32_e32 v8, vcc_lo, s7, v8, vcc_lo
	global_load_u16 v2, v[7:8], off
	s_waitcnt vmcnt(0)
	v_lshlrev_b32_e32 v2, 16, v2
	v_add_f32_e32 v2, v6, v2
	ds_store_b32 v5, v2
	s_branch .LBB189_16
.LBB189_19:
	s_set_inst_prefetch_distance 0x2
	s_or_b32 exec_lo, exec_lo, s3
	v_mov_b32_e32 v2, 0
	s_cmp_lt_i32 s13, 1
	s_waitcnt lgkmcnt(0)
	s_barrier
	buffer_gl0_inv
	s_cbranch_scc1 .LBB189_28
; %bb.20:
	s_add_u32 s4, s0, 56
	s_addc_u32 s5, s1, 0
	v_dual_mov_b32 v2, 0 :: v_dual_mov_b32 v5, 0
	v_dual_mov_b32 v6, 0xff800000 :: v_dual_mov_b32 v1, 0
	v_mov_b32_e32 v4, 0
	s_cmp_lg_u64 s[6:7], 0
	s_mov_b32 s14, 0
	s_cselect_b32 s3, -1, 0
	s_mov_b32 s18, 0x76543210
	s_branch .LBB189_22
.LBB189_21:                             ;   in Loop: Header=BB189_22 Depth=1
	v_cmp_eq_u32_e32 vcc_lo, s14, v0
	s_delay_alu instid0(VALU_DEP_2) | instskip(NEXT) | instid1(VALU_DEP_2)
	s_lshl_b32 s17, s16, 2
	v_add_f32_e32 v4, v4, v9
	s_add_i32 s17, s17, 0
	s_add_i32 s14, s14, 1
	v_cndmask_b32_e64 v1, v1, s16, vcc_lo
	v_dual_mov_b32 v7, s17 :: v_dual_cndmask_b32 v2, v2, v9
	s_cmp_eq_u32 s14, s13
	ds_store_b32 v7, v6
	s_cbranch_scc1 .LBB189_29
.LBB189_22:                             ; =>This Loop Header: Depth=1
                                        ;     Child Loop BB189_24 Depth 2
	v_dual_mov_b32 v7, s14 :: v_dual_mov_b32 v8, 0xff800000
	s_and_saveexec_b32 s16, s2
	s_cbranch_execz .LBB189_26
; %bb.23:                               ;   in Loop: Header=BB189_22 Depth=1
	s_load_b32 s17, s[4:5], 0xc
	v_dual_mov_b32 v7, s14 :: v_dual_mov_b32 v8, 0xff800000
	v_dual_mov_b32 v9, v3 :: v_dual_mov_b32 v10, v0
	s_mov_b32 s19, 0
	s_waitcnt lgkmcnt(0)
	s_and_b32 s17, s17, 0xffff
	s_delay_alu instid0(SALU_CYCLE_1)
	s_lshl_b32 s20, s17, 2
.LBB189_24:                             ;   Parent Loop BB189_22 Depth=1
                                        ; =>  This Inner Loop Header: Depth=2
	ds_load_b32 v11, v9
	v_add_nc_u32_e32 v9, s20, v9
	s_waitcnt lgkmcnt(0)
	v_cmp_gt_f32_e32 vcc_lo, v11, v8
	v_dual_cndmask_b32 v8, v8, v11 :: v_dual_cndmask_b32 v7, v7, v10
	v_add_nc_u32_e32 v10, s17, v10
	s_delay_alu instid0(VALU_DEP_1) | instskip(SKIP_1) | instid1(SALU_CYCLE_1)
	v_cmp_le_i32_e32 vcc_lo, s12, v10
	s_or_b32 s19, vcc_lo, s19
	s_and_not1_b32 exec_lo, exec_lo, s19
	s_cbranch_execnz .LBB189_24
; %bb.25:                               ;   in Loop: Header=BB189_22 Depth=1
	s_or_b32 exec_lo, exec_lo, s19
.LBB189_26:                             ;   in Loop: Header=BB189_22 Depth=1
	s_delay_alu instid0(SALU_CYCLE_1)
	s_or_b32 exec_lo, exec_lo, s16
	;;#ASMSTART
	v_max_f32 v9, v8, v8 quad_perm:[1,0,3,2] row_mask:0xf bank_mask:0xf bound_ctrl:1
	;;#ASMEND
	;;#ASMSTART
	v_max_f32 v10, v9, v9 quad_perm:[2,3,0,1] row_mask:0xf bank_mask:0xf bound_ctrl:1
	;;#ASMEND
	;;#ASMSTART
	v_max_f32 v9, v10, v10 row_half_mirror row_mask:0xf bank_mask:0xf bound_ctrl:1
	;;#ASMEND
	;;#ASMSTART
	v_max_f32 v10, v9, v9 row_mirror row_mask:0xf bank_mask:0xf bound_ctrl:1
	;;#ASMEND
	v_permlanex16_b32 v9, v10, s18, 0xfedcba98 op_sel:[1,1]
	s_delay_alu instid0(VALU_DEP_1) | instskip(NEXT) | instid1(VALU_DEP_1)
	v_dual_max_f32 v10, v10, v10 :: v_dual_max_f32 v9, v9, v9
	v_max_f32_e32 v9, v10, v9
	s_delay_alu instid0(VALU_DEP_1)
	v_cmp_eq_f32_e32 vcc_lo, v8, v9
	s_ctz_i32_b32 s16, vcc_lo
	s_cmp_lg_u32 vcc_lo, 0
	s_cselect_b32 s16, s16, 0
	s_and_b32 vcc_lo, exec_lo, s3
	v_readlane_b32 s16, v7, s16
	s_cbranch_vccz .LBB189_21
; %bb.27:                               ;   in Loop: Header=BB189_22 Depth=1
	s_delay_alu instid0(VALU_DEP_1) | instskip(NEXT) | instid1(SALU_CYCLE_1)
	s_ashr_i32 s17, s16, 31
	s_lshl_b64 s[20:21], s[16:17], 1
	s_delay_alu instid0(SALU_CYCLE_1) | instskip(SKIP_4) | instid1(VALU_DEP_1)
	s_add_u32 s20, s6, s20
	s_addc_u32 s21, s7, s21
	global_load_u16 v7, v5, s[20:21]
	s_waitcnt vmcnt(0)
	v_lshlrev_b32_e32 v7, 16, v7
	v_sub_f32_e32 v9, v9, v7
	s_branch .LBB189_21
.LBB189_28:
	v_dual_mov_b32 v1, 0 :: v_dual_mov_b32 v4, 0
.LBB189_29:
	s_mov_b32 s2, exec_lo
	v_cmpx_gt_i32_e64 s13, v0
	s_cbranch_execz .LBB189_32
; %bb.30:
	s_clause 0x1
	s_load_b32 s2, s[0:1], 0x34
	s_load_b32 s3, s[0:1], 0x44
	v_max_f32_e32 v3, v4, v4
	s_load_b64 s[0:1], s[0:1], 0x20
	s_ashr_i32 s4, s15, 31
	s_delay_alu instid0(VALU_DEP_1) | instskip(SKIP_1) | instid1(VALU_DEP_1)
	v_max_f32_e32 v3, 0x1e3ce508, v3
	s_waitcnt lgkmcnt(0)
	v_div_scale_f32 v4, null, v3, v3, s2
	v_div_scale_f32 v7, vcc_lo, s2, v3, s2
	s_mul_i32 s1, s15, s1
	s_delay_alu instid0(VALU_DEP_2) | instskip(SKIP_4) | instid1(VALU_DEP_1)
	v_rcp_f32_e32 v5, v4
	s_mul_i32 s4, s4, s0
	s_and_b32 s3, s3, 0xffff
	s_waitcnt_depctr 0xfff
	v_fma_f32 v6, -v4, v5, 1.0
	v_fmac_f32_e32 v5, v6, v5
	s_delay_alu instid0(VALU_DEP_1) | instskip(NEXT) | instid1(VALU_DEP_1)
	v_mul_f32_e32 v6, v7, v5
	v_fma_f32 v8, -v4, v6, v7
	s_delay_alu instid0(VALU_DEP_1) | instskip(NEXT) | instid1(VALU_DEP_1)
	v_fmac_f32_e32 v6, v8, v5
	v_fma_f32 v4, -v4, v6, v7
	s_delay_alu instid0(VALU_DEP_1) | instskip(NEXT) | instid1(VALU_DEP_1)
	v_div_fmas_f32 v4, v4, v5, v6
	v_div_fixup_f32 v3, v4, v3, s2
	s_mul_hi_u32 s2, s15, s0
	s_delay_alu instid0(SALU_CYCLE_1) | instskip(SKIP_1) | instid1(VALU_DEP_1)
	s_add_i32 s1, s2, s1
	s_mul_i32 s2, s15, s0
	v_mul_f32_e32 v2, v2, v3
	s_add_i32 s1, s1, s4
	s_mov_b32 s4, 0
	.p2align	6
.LBB189_31:                             ; =>This Inner Loop Header: Depth=1
	v_ashrrev_i32_e32 v4, 31, v0
	v_add_co_u32 v3, vcc_lo, s2, v0
	v_add_nc_u32_e32 v0, s3, v0
	s_delay_alu instid0(VALU_DEP_3) | instskip(NEXT) | instid1(VALU_DEP_2)
	v_add_co_ci_u32_e32 v4, vcc_lo, s1, v4, vcc_lo
	v_cmp_le_i32_e32 vcc_lo, s13, v0
	s_delay_alu instid0(VALU_DEP_2) | instskip(SKIP_1) | instid1(VALU_DEP_1)
	v_lshlrev_b64 v[3:4], 2, v[3:4]
	s_or_b32 s4, vcc_lo, s4
	v_add_co_u32 v5, s0, s8, v3
	s_delay_alu instid0(VALU_DEP_1) | instskip(SKIP_1) | instid1(VALU_DEP_1)
	v_add_co_ci_u32_e64 v6, s0, s9, v4, s0
	v_add_co_u32 v3, s0, s10, v3
	v_add_co_ci_u32_e64 v4, s0, s11, v4, s0
	global_store_b32 v[5:6], v2, off
	global_store_b32 v[3:4], v1, off
	s_and_not1_b32 exec_lo, exec_lo, s4
	s_cbranch_execnz .LBB189_31
.LBB189_32:
	s_nop 0
	s_sendmsg sendmsg(MSG_DEALLOC_VGPRS)
	s_endpgm
	.section	.rodata,"a",@progbits
	.p2align	6, 0x0
	.amdhsa_kernel _ZN5aiter20topk_softplus_kernelI6__half12hip_bfloat16Dv1_fLb1ELi2EEEvPKT_PKT0_PfPimiiif
		.amdhsa_group_segment_fixed_size 0
		.amdhsa_private_segment_fixed_size 0
		.amdhsa_kernarg_size 312
		.amdhsa_user_sgpr_count 15
		.amdhsa_user_sgpr_dispatch_ptr 0
		.amdhsa_user_sgpr_queue_ptr 0
		.amdhsa_user_sgpr_kernarg_segment_ptr 1
		.amdhsa_user_sgpr_dispatch_id 0
		.amdhsa_user_sgpr_private_segment_size 0
		.amdhsa_wavefront_size32 1
		.amdhsa_uses_dynamic_stack 0
		.amdhsa_enable_private_segment 0
		.amdhsa_system_sgpr_workgroup_id_x 1
		.amdhsa_system_sgpr_workgroup_id_y 0
		.amdhsa_system_sgpr_workgroup_id_z 0
		.amdhsa_system_sgpr_workgroup_info 0
		.amdhsa_system_vgpr_workitem_id 0
		.amdhsa_next_free_vgpr 12
		.amdhsa_next_free_sgpr 22
		.amdhsa_reserve_vcc 1
		.amdhsa_float_round_mode_32 0
		.amdhsa_float_round_mode_16_64 0
		.amdhsa_float_denorm_mode_32 3
		.amdhsa_float_denorm_mode_16_64 3
		.amdhsa_dx10_clamp 1
		.amdhsa_ieee_mode 1
		.amdhsa_fp16_overflow 0
		.amdhsa_workgroup_processor_mode 1
		.amdhsa_memory_ordered 1
		.amdhsa_forward_progress 0
		.amdhsa_shared_vgpr_count 0
		.amdhsa_exception_fp_ieee_invalid_op 0
		.amdhsa_exception_fp_denorm_src 0
		.amdhsa_exception_fp_ieee_div_zero 0
		.amdhsa_exception_fp_ieee_overflow 0
		.amdhsa_exception_fp_ieee_underflow 0
		.amdhsa_exception_fp_ieee_inexact 0
		.amdhsa_exception_int_div_zero 0
	.end_amdhsa_kernel
	.section	.text._ZN5aiter20topk_softplus_kernelI6__half12hip_bfloat16Dv1_fLb1ELi2EEEvPKT_PKT0_PfPimiiif,"axG",@progbits,_ZN5aiter20topk_softplus_kernelI6__half12hip_bfloat16Dv1_fLb1ELi2EEEvPKT_PKT0_PfPimiiif,comdat
.Lfunc_end189:
	.size	_ZN5aiter20topk_softplus_kernelI6__half12hip_bfloat16Dv1_fLb1ELi2EEEvPKT_PKT0_PfPimiiif, .Lfunc_end189-_ZN5aiter20topk_softplus_kernelI6__half12hip_bfloat16Dv1_fLb1ELi2EEEvPKT_PKT0_PfPimiiif
                                        ; -- End function
	.section	.AMDGPU.csdata,"",@progbits
; Kernel info:
; codeLenInByte = 1892
; NumSgprs: 24
; NumVgprs: 12
; ScratchSize: 0
; MemoryBound: 0
; FloatMode: 240
; IeeeMode: 1
; LDSByteSize: 0 bytes/workgroup (compile time only)
; SGPRBlocks: 2
; VGPRBlocks: 1
; NumSGPRsForWavesPerEU: 24
; NumVGPRsForWavesPerEU: 12
; Occupancy: 16
; WaveLimiterHint : 0
; COMPUTE_PGM_RSRC2:SCRATCH_EN: 0
; COMPUTE_PGM_RSRC2:USER_SGPR: 15
; COMPUTE_PGM_RSRC2:TRAP_HANDLER: 0
; COMPUTE_PGM_RSRC2:TGID_X_EN: 1
; COMPUTE_PGM_RSRC2:TGID_Y_EN: 0
; COMPUTE_PGM_RSRC2:TGID_Z_EN: 0
; COMPUTE_PGM_RSRC2:TIDIG_COMP_CNT: 0
	.section	.text._ZN5aiter20topk_softplus_kernelI6__half12hip_bfloat16Dv1_fLb0ELi2EEEvPKT_PKT0_PfPimiiif,"axG",@progbits,_ZN5aiter20topk_softplus_kernelI6__half12hip_bfloat16Dv1_fLb0ELi2EEEvPKT_PKT0_PfPimiiif,comdat
	.protected	_ZN5aiter20topk_softplus_kernelI6__half12hip_bfloat16Dv1_fLb0ELi2EEEvPKT_PKT0_PfPimiiif ; -- Begin function _ZN5aiter20topk_softplus_kernelI6__half12hip_bfloat16Dv1_fLb0ELi2EEEvPKT_PKT0_PfPimiiif
	.globl	_ZN5aiter20topk_softplus_kernelI6__half12hip_bfloat16Dv1_fLb0ELi2EEEvPKT_PKT0_PfPimiiif
	.p2align	8
	.type	_ZN5aiter20topk_softplus_kernelI6__half12hip_bfloat16Dv1_fLb0ELi2EEEvPKT_PKT0_PfPimiiif,@function
_ZN5aiter20topk_softplus_kernelI6__half12hip_bfloat16Dv1_fLb0ELi2EEEvPKT_PKT0_PfPimiiif: ; @_ZN5aiter20topk_softplus_kernelI6__half12hip_bfloat16Dv1_fLb0ELi2EEEvPKT_PKT0_PfPimiiif
; %bb.0:
	s_clause 0x1
	s_load_b64 s[12:13], s[0:1], 0x28
	s_load_b256 s[4:11], s[0:1], 0x0
	v_lshl_add_u32 v3, v0, 2, 0
	s_waitcnt lgkmcnt(0)
	s_mul_i32 s16, s15, s12
	v_cmp_gt_i32_e64 s2, s12, v0
	s_ashr_i32 s17, s16, 31
	s_delay_alu instid0(SALU_CYCLE_1) | instskip(NEXT) | instid1(SALU_CYCLE_1)
	s_lshl_b64 s[16:17], s[16:17], 1
	s_add_u32 s3, s4, s16
	s_addc_u32 s4, s5, s17
	s_and_saveexec_b32 s5, s2
	s_cbranch_execz .LBB190_3
; %bb.1:
	s_load_b32 s14, s[0:1], 0x44
	v_lshl_add_u32 v4, v0, 2, 0
	v_mov_b32_e32 v1, v0
	s_mov_b32 s16, 0
	s_waitcnt lgkmcnt(0)
	s_and_b32 s14, s14, 0xffff
	s_delay_alu instid0(SALU_CYCLE_1)
	s_lshl_b32 s17, s14, 2
	.p2align	6
.LBB190_2:                              ; =>This Inner Loop Header: Depth=1
	v_ashrrev_i32_e32 v2, 31, v1
	s_delay_alu instid0(VALU_DEP_1) | instskip(SKIP_1) | instid1(VALU_DEP_2)
	v_lshlrev_b64 v[5:6], 1, v[1:2]
	v_add_nc_u32_e32 v1, s14, v1
	v_add_co_u32 v5, vcc_lo, s3, v5
	s_delay_alu instid0(VALU_DEP_3) | instskip(NEXT) | instid1(VALU_DEP_3)
	v_add_co_ci_u32_e32 v6, vcc_lo, s4, v6, vcc_lo
	v_cmp_le_i32_e32 vcc_lo, s12, v1
	global_load_u16 v2, v[5:6], off
	s_or_b32 s16, vcc_lo, s16
	s_waitcnt vmcnt(0)
	v_cvt_f32_f16_e32 v2, v2
	ds_store_b32 v4, v2
	v_add_nc_u32_e32 v4, s17, v4
	s_and_not1_b32 exec_lo, exec_lo, s16
	s_cbranch_execnz .LBB190_2
.LBB190_3:
	s_or_b32 exec_lo, exec_lo, s5
	v_add_nc_u32_e32 v1, s12, v0
	s_mov_b32 s5, exec_lo
	s_delay_alu instid0(VALU_DEP_1)
	v_cmpx_gt_i32_e64 s12, v1
	s_cbranch_execz .LBB190_6
; %bb.4:
	s_load_b32 s14, s[0:1], 0x44
	v_lshl_add_u32 v4, v1, 2, 0
	s_mov_b32 s16, 0
	s_waitcnt lgkmcnt(0)
	s_and_b32 s14, s14, 0xffff
	s_delay_alu instid0(SALU_CYCLE_1)
	s_lshl_b32 s17, s14, 2
	.p2align	6
.LBB190_5:                              ; =>This Inner Loop Header: Depth=1
	v_ashrrev_i32_e32 v2, 31, v1
	s_delay_alu instid0(VALU_DEP_1) | instskip(SKIP_1) | instid1(VALU_DEP_2)
	v_lshlrev_b64 v[5:6], 1, v[1:2]
	v_add_nc_u32_e32 v1, s14, v1
	v_add_co_u32 v5, vcc_lo, s3, v5
	s_delay_alu instid0(VALU_DEP_3) | instskip(NEXT) | instid1(VALU_DEP_3)
	v_add_co_ci_u32_e32 v6, vcc_lo, s4, v6, vcc_lo
	v_cmp_le_i32_e32 vcc_lo, s12, v1
	global_load_u16 v2, v[5:6], off
	s_or_b32 s16, vcc_lo, s16
	s_waitcnt vmcnt(0)
	v_cvt_f32_f16_e32 v2, v2
	ds_store_b32 v4, v2
	v_add_nc_u32_e32 v4, s17, v4
	s_and_not1_b32 exec_lo, exec_lo, s16
	s_cbranch_execnz .LBB190_5
.LBB190_6:
	s_or_b32 exec_lo, exec_lo, s5
	v_mov_b32_e32 v2, 0xff800000
	s_waitcnt lgkmcnt(0)
	s_barrier
	buffer_gl0_inv
	s_and_saveexec_b32 s3, s2
	s_cbranch_execz .LBB190_10
; %bb.7:
	s_load_b32 s4, s[0:1], 0x44
	v_lshl_add_u32 v1, v0, 2, 0
	v_mov_b32_e32 v2, 0xff800000
	v_mov_b32_e32 v4, v0
	s_waitcnt lgkmcnt(0)
	s_and_b32 s5, s4, 0xffff
	s_mov_b32 s4, 0
	s_lshl_b32 s14, s5, 2
.LBB190_8:                              ; =>This Inner Loop Header: Depth=1
	ds_load_b32 v5, v1
	v_add_nc_u32_e32 v4, s5, v4
	v_dual_max_f32 v2, v2, v2 :: v_dual_add_nc_u32 v1, s14, v1
	s_waitcnt lgkmcnt(0)
	v_max_f32_e32 v5, v5, v5
	s_delay_alu instid0(VALU_DEP_3) | instskip(NEXT) | instid1(VALU_DEP_2)
	v_cmp_le_i32_e32 vcc_lo, s12, v4
	v_max_f32_e32 v2, v2, v5
	s_or_b32 s4, vcc_lo, s4
	s_delay_alu instid0(SALU_CYCLE_1)
	s_and_not1_b32 exec_lo, exec_lo, s4
	s_cbranch_execnz .LBB190_8
; %bb.9:
	s_or_b32 exec_lo, exec_lo, s4
.LBB190_10:
	s_delay_alu instid0(SALU_CYCLE_1)
	s_or_b32 exec_lo, exec_lo, s3
	v_mov_b32_e32 v1, 0
	;;#ASMSTART
	v_max_f32 v4, v2, v2 quad_perm:[1,0,3,2] row_mask:0xf bank_mask:0xf bound_ctrl:1
	;;#ASMEND
	;;#ASMSTART
	v_max_f32 v2, v4, v4 quad_perm:[2,3,0,1] row_mask:0xf bank_mask:0xf bound_ctrl:1
	;;#ASMEND
	;;#ASMSTART
	v_max_f32 v4, v2, v2 row_half_mirror row_mask:0xf bank_mask:0xf bound_ctrl:1
	;;#ASMEND
	;;#ASMSTART
	v_max_f32 v2, v4, v4 row_mirror row_mask:0xf bank_mask:0xf bound_ctrl:1
	;;#ASMEND
	s_and_saveexec_b32 s3, s2
	s_cbranch_execz .LBB190_14
; %bb.11:
	s_load_b32 s4, s[0:1], 0x44
	s_mov_b32 s5, 0x76543210
	v_lshl_add_u32 v4, v0, 2, 0
	v_permlanex16_b32 v1, v2, s5, 0xfedcba98 op_sel:[1,1]
	v_dual_mov_b32 v5, v0 :: v_dual_max_f32 v2, v2, v2
	s_delay_alu instid0(VALU_DEP_2) | instskip(NEXT) | instid1(VALU_DEP_1)
	v_max_f32_e32 v1, v1, v1
	v_dual_max_f32 v2, v2, v1 :: v_dual_mov_b32 v1, 0
	s_waitcnt lgkmcnt(0)
	s_and_b32 s5, s4, 0xffff
	s_mov_b32 s4, 0
	s_lshl_b32 s14, s5, 2
	.p2align	6
.LBB190_12:                             ; =>This Inner Loop Header: Depth=1
	ds_load_b32 v6, v4
	s_waitcnt lgkmcnt(0)
	v_dual_sub_f32 v6, v6, v2 :: v_dual_add_nc_u32 v5, s5, v5
	s_delay_alu instid0(VALU_DEP_1) | instskip(NEXT) | instid1(VALU_DEP_1)
	v_mul_f32_e32 v7, 0x3fb8aa3b, v6
	v_cmp_gt_f32_e32 vcc_lo, 0xc2fc0000, v7
	v_cndmask_b32_e64 v7, 0, 0x42800000, vcc_lo
	s_delay_alu instid0(VALU_DEP_1) | instskip(NEXT) | instid1(VALU_DEP_1)
	v_fmac_f32_e32 v7, 0x3fb8aa3b, v6
	v_exp_f32_e32 v6, v7
	v_cndmask_b32_e64 v7, 1.0, 0x1f800000, vcc_lo
	v_cmp_le_i32_e32 vcc_lo, s12, v5
	s_or_b32 s4, vcc_lo, s4
	s_waitcnt_depctr 0xfff
	v_mul_f32_e32 v8, v6, v7
	v_fmac_f32_e32 v1, v6, v7
	ds_store_b32 v4, v8
	v_add_nc_u32_e32 v4, s14, v4
	s_and_not1_b32 exec_lo, exec_lo, s4
	s_cbranch_execnz .LBB190_12
; %bb.13:
	s_or_b32 exec_lo, exec_lo, s4
.LBB190_14:
	s_delay_alu instid0(SALU_CYCLE_1) | instskip(SKIP_1) | instid1(VALU_DEP_1)
	s_or_b32 exec_lo, exec_lo, s3
	v_mov_b32_dpp v2, v1 quad_perm:[1,0,3,2] row_mask:0xf bank_mask:0xf
	v_add_f32_e32 v1, v1, v2
	s_delay_alu instid0(VALU_DEP_1) | instskip(NEXT) | instid1(VALU_DEP_1)
	v_mov_b32_dpp v2, v1 quad_perm:[2,3,0,1] row_mask:0xf bank_mask:0xf
	v_add_f32_e32 v1, v1, v2
	s_delay_alu instid0(VALU_DEP_1) | instskip(NEXT) | instid1(VALU_DEP_1)
	v_mov_b32_dpp v2, v1 row_xmask:7 row_mask:0xf bank_mask:0xf
	v_add_f32_e32 v1, v1, v2
	s_delay_alu instid0(VALU_DEP_1)
	v_mov_b32_dpp v2, v1 row_xmask:15 row_mask:0xf bank_mask:0xf
	s_and_saveexec_b32 s3, s2
	s_cbranch_execz .LBB190_19
; %bb.15:
	s_delay_alu instid0(VALU_DEP_1)
	v_add_f32_e32 v1, v1, v2
	s_load_b32 s5, s[0:1], 0x44
	s_mov_b32 s4, 0x76543210
	s_cmp_lg_u64 s[6:7], 0
	v_lshl_add_u32 v5, v0, 2, 0
	v_permlanex16_b32 v2, v1, s4, 0xfedcba98 op_sel:[1,1]
	s_cselect_b32 s4, -1, 0
	s_mov_b32 s14, 0
	s_delay_alu instid0(VALU_DEP_1) | instskip(NEXT) | instid1(VALU_DEP_1)
	v_add_f32_e32 v1, v1, v2
	v_rcp_f32_e32 v4, v1
	v_mov_b32_e32 v1, v0
	s_waitcnt lgkmcnt(0)
	s_and_b32 s5, s5, 0xffff
	s_delay_alu instid0(SALU_CYCLE_1)
	s_lshl_b32 s16, s5, 2
	s_set_inst_prefetch_distance 0x1
	s_branch .LBB190_17
	.p2align	6
.LBB190_16:                             ;   in Loop: Header=BB190_17 Depth=1
	v_add_nc_u32_e32 v1, s5, v1
	v_add_nc_u32_e32 v5, s16, v5
	s_delay_alu instid0(VALU_DEP_2) | instskip(SKIP_1) | instid1(SALU_CYCLE_1)
	v_cmp_le_i32_e32 vcc_lo, s12, v1
	s_or_b32 s14, vcc_lo, s14
	s_and_not1_b32 exec_lo, exec_lo, s14
	s_cbranch_execz .LBB190_19
.LBB190_17:                             ; =>This Inner Loop Header: Depth=1
	ds_load_b32 v2, v5
	s_and_not1_b32 vcc_lo, exec_lo, s4
	s_waitcnt lgkmcnt(0)
	v_mul_f32_e32 v6, v4, v2
	ds_store_b32 v5, v6
	s_cbranch_vccnz .LBB190_16
; %bb.18:                               ;   in Loop: Header=BB190_17 Depth=1
	v_ashrrev_i32_e32 v2, 31, v1
	s_delay_alu instid0(VALU_DEP_1) | instskip(NEXT) | instid1(VALU_DEP_1)
	v_lshlrev_b64 v[7:8], 1, v[1:2]
	v_add_co_u32 v7, vcc_lo, s6, v7
	s_delay_alu instid0(VALU_DEP_2) | instskip(SKIP_3) | instid1(VALU_DEP_1)
	v_add_co_ci_u32_e32 v8, vcc_lo, s7, v8, vcc_lo
	global_load_u16 v2, v[7:8], off
	s_waitcnt vmcnt(0)
	v_lshlrev_b32_e32 v2, 16, v2
	v_add_f32_e32 v2, v6, v2
	ds_store_b32 v5, v2
	s_branch .LBB190_16
.LBB190_19:
	s_set_inst_prefetch_distance 0x2
	s_or_b32 exec_lo, exec_lo, s3
	s_cmp_lt_i32 s13, 1
	s_waitcnt lgkmcnt(0)
	s_barrier
	buffer_gl0_inv
	s_cbranch_scc1 .LBB190_28
; %bb.20:
	s_add_u32 s4, s0, 56
	s_addc_u32 s5, s1, 0
	v_dual_mov_b32 v4, 0 :: v_dual_mov_b32 v1, 0
	v_dual_mov_b32 v5, 0xff800000 :: v_dual_mov_b32 v2, 0
	s_cmp_lg_u64 s[6:7], 0
	s_mov_b32 s14, 0
	s_cselect_b32 s3, -1, 0
	s_mov_b32 s18, 0x76543210
	s_branch .LBB190_22
.LBB190_21:                             ;   in Loop: Header=BB190_22 Depth=1
	v_cmp_eq_u32_e32 vcc_lo, s14, v0
	s_delay_alu instid0(VALU_DEP_2)
	s_lshl_b32 s17, s16, 2
	s_add_i32 s14, s14, 1
	s_add_i32 s17, s17, 0
	s_cmp_eq_u32 s14, s13
	v_cndmask_b32_e64 v1, v1, s16, vcc_lo
	v_mov_b32_e32 v6, s17
	v_cndmask_b32_e32 v2, v2, v8, vcc_lo
	ds_store_b32 v6, v5
	s_cbranch_scc1 .LBB190_29
.LBB190_22:                             ; =>This Loop Header: Depth=1
                                        ;     Child Loop BB190_24 Depth 2
	v_dual_mov_b32 v6, s14 :: v_dual_mov_b32 v7, 0xff800000
	s_and_saveexec_b32 s16, s2
	s_cbranch_execz .LBB190_26
; %bb.23:                               ;   in Loop: Header=BB190_22 Depth=1
	s_load_b32 s17, s[4:5], 0xc
	v_dual_mov_b32 v6, s14 :: v_dual_mov_b32 v7, 0xff800000
	v_dual_mov_b32 v8, v3 :: v_dual_mov_b32 v9, v0
	s_mov_b32 s19, 0
	s_waitcnt lgkmcnt(0)
	s_and_b32 s17, s17, 0xffff
	s_delay_alu instid0(SALU_CYCLE_1)
	s_lshl_b32 s20, s17, 2
.LBB190_24:                             ;   Parent Loop BB190_22 Depth=1
                                        ; =>  This Inner Loop Header: Depth=2
	ds_load_b32 v10, v8
	v_add_nc_u32_e32 v8, s20, v8
	s_waitcnt lgkmcnt(0)
	v_cmp_gt_f32_e32 vcc_lo, v10, v7
	v_dual_cndmask_b32 v7, v7, v10 :: v_dual_cndmask_b32 v6, v6, v9
	v_add_nc_u32_e32 v9, s17, v9
	s_delay_alu instid0(VALU_DEP_1) | instskip(SKIP_1) | instid1(SALU_CYCLE_1)
	v_cmp_le_i32_e32 vcc_lo, s12, v9
	s_or_b32 s19, vcc_lo, s19
	s_and_not1_b32 exec_lo, exec_lo, s19
	s_cbranch_execnz .LBB190_24
; %bb.25:                               ;   in Loop: Header=BB190_22 Depth=1
	s_or_b32 exec_lo, exec_lo, s19
.LBB190_26:                             ;   in Loop: Header=BB190_22 Depth=1
	s_delay_alu instid0(SALU_CYCLE_1)
	s_or_b32 exec_lo, exec_lo, s16
	;;#ASMSTART
	v_max_f32 v8, v7, v7 quad_perm:[1,0,3,2] row_mask:0xf bank_mask:0xf bound_ctrl:1
	;;#ASMEND
	;;#ASMSTART
	v_max_f32 v9, v8, v8 quad_perm:[2,3,0,1] row_mask:0xf bank_mask:0xf bound_ctrl:1
	;;#ASMEND
	;;#ASMSTART
	v_max_f32 v8, v9, v9 row_half_mirror row_mask:0xf bank_mask:0xf bound_ctrl:1
	;;#ASMEND
	;;#ASMSTART
	v_max_f32 v9, v8, v8 row_mirror row_mask:0xf bank_mask:0xf bound_ctrl:1
	;;#ASMEND
	v_permlanex16_b32 v8, v9, s18, 0xfedcba98 op_sel:[1,1]
	s_delay_alu instid0(VALU_DEP_1) | instskip(NEXT) | instid1(VALU_DEP_1)
	v_dual_max_f32 v9, v9, v9 :: v_dual_max_f32 v8, v8, v8
	v_max_f32_e32 v8, v9, v8
	s_delay_alu instid0(VALU_DEP_1)
	v_cmp_eq_f32_e32 vcc_lo, v7, v8
	s_ctz_i32_b32 s16, vcc_lo
	s_cmp_lg_u32 vcc_lo, 0
	s_cselect_b32 s16, s16, 0
	s_and_b32 vcc_lo, exec_lo, s3
	v_readlane_b32 s16, v6, s16
	s_cbranch_vccz .LBB190_21
; %bb.27:                               ;   in Loop: Header=BB190_22 Depth=1
	s_delay_alu instid0(VALU_DEP_1) | instskip(NEXT) | instid1(SALU_CYCLE_1)
	s_ashr_i32 s17, s16, 31
	s_lshl_b64 s[20:21], s[16:17], 1
	s_delay_alu instid0(SALU_CYCLE_1) | instskip(SKIP_4) | instid1(VALU_DEP_1)
	s_add_u32 s20, s6, s20
	s_addc_u32 s21, s7, s21
	global_load_u16 v6, v4, s[20:21]
	s_waitcnt vmcnt(0)
	v_lshlrev_b32_e32 v6, 16, v6
	v_sub_f32_e32 v8, v8, v6
	s_branch .LBB190_21
.LBB190_28:
	v_dual_mov_b32 v2, 0 :: v_dual_mov_b32 v1, 0
.LBB190_29:
	s_mov_b32 s2, exec_lo
	v_cmpx_gt_i32_e64 s13, v0
	s_cbranch_execz .LBB190_32
; %bb.30:
	s_clause 0x2
	s_load_b32 s4, s[0:1], 0x34
	s_load_b64 s[2:3], s[0:1], 0x20
	s_load_b32 s0, s[0:1], 0x44
	s_ashr_i32 s1, s15, 31
	s_waitcnt lgkmcnt(0)
	v_mul_f32_e32 v2, s4, v2
	s_mul_i32 s3, s15, s3
	s_mul_hi_u32 s4, s15, s2
	s_mul_i32 s5, s1, s2
	s_add_i32 s3, s4, s3
	s_mul_i32 s1, s15, s2
	s_and_b32 s2, s0, 0xffff
	s_add_i32 s3, s3, s5
	s_mov_b32 s4, 0
	.p2align	6
.LBB190_31:                             ; =>This Inner Loop Header: Depth=1
	v_ashrrev_i32_e32 v4, 31, v0
	v_add_co_u32 v3, vcc_lo, s1, v0
	v_add_nc_u32_e32 v0, s2, v0
	s_delay_alu instid0(VALU_DEP_3) | instskip(NEXT) | instid1(VALU_DEP_2)
	v_add_co_ci_u32_e32 v4, vcc_lo, s3, v4, vcc_lo
	v_cmp_le_i32_e32 vcc_lo, s13, v0
	s_delay_alu instid0(VALU_DEP_2) | instskip(SKIP_1) | instid1(VALU_DEP_1)
	v_lshlrev_b64 v[3:4], 2, v[3:4]
	s_or_b32 s4, vcc_lo, s4
	v_add_co_u32 v5, s0, s8, v3
	s_delay_alu instid0(VALU_DEP_1) | instskip(SKIP_1) | instid1(VALU_DEP_1)
	v_add_co_ci_u32_e64 v6, s0, s9, v4, s0
	v_add_co_u32 v3, s0, s10, v3
	v_add_co_ci_u32_e64 v4, s0, s11, v4, s0
	global_store_b32 v[5:6], v2, off
	global_store_b32 v[3:4], v1, off
	s_and_not1_b32 exec_lo, exec_lo, s4
	s_cbranch_execnz .LBB190_31
.LBB190_32:
	s_nop 0
	s_sendmsg sendmsg(MSG_DEALLOC_VGPRS)
	s_endpgm
	.section	.rodata,"a",@progbits
	.p2align	6, 0x0
	.amdhsa_kernel _ZN5aiter20topk_softplus_kernelI6__half12hip_bfloat16Dv1_fLb0ELi2EEEvPKT_PKT0_PfPimiiif
		.amdhsa_group_segment_fixed_size 0
		.amdhsa_private_segment_fixed_size 0
		.amdhsa_kernarg_size 312
		.amdhsa_user_sgpr_count 15
		.amdhsa_user_sgpr_dispatch_ptr 0
		.amdhsa_user_sgpr_queue_ptr 0
		.amdhsa_user_sgpr_kernarg_segment_ptr 1
		.amdhsa_user_sgpr_dispatch_id 0
		.amdhsa_user_sgpr_private_segment_size 0
		.amdhsa_wavefront_size32 1
		.amdhsa_uses_dynamic_stack 0
		.amdhsa_enable_private_segment 0
		.amdhsa_system_sgpr_workgroup_id_x 1
		.amdhsa_system_sgpr_workgroup_id_y 0
		.amdhsa_system_sgpr_workgroup_id_z 0
		.amdhsa_system_sgpr_workgroup_info 0
		.amdhsa_system_vgpr_workitem_id 0
		.amdhsa_next_free_vgpr 11
		.amdhsa_next_free_sgpr 22
		.amdhsa_reserve_vcc 1
		.amdhsa_float_round_mode_32 0
		.amdhsa_float_round_mode_16_64 0
		.amdhsa_float_denorm_mode_32 3
		.amdhsa_float_denorm_mode_16_64 3
		.amdhsa_dx10_clamp 1
		.amdhsa_ieee_mode 1
		.amdhsa_fp16_overflow 0
		.amdhsa_workgroup_processor_mode 1
		.amdhsa_memory_ordered 1
		.amdhsa_forward_progress 0
		.amdhsa_shared_vgpr_count 0
		.amdhsa_exception_fp_ieee_invalid_op 0
		.amdhsa_exception_fp_denorm_src 0
		.amdhsa_exception_fp_ieee_div_zero 0
		.amdhsa_exception_fp_ieee_overflow 0
		.amdhsa_exception_fp_ieee_underflow 0
		.amdhsa_exception_fp_ieee_inexact 0
		.amdhsa_exception_int_div_zero 0
	.end_amdhsa_kernel
	.section	.text._ZN5aiter20topk_softplus_kernelI6__half12hip_bfloat16Dv1_fLb0ELi2EEEvPKT_PKT0_PfPimiiif,"axG",@progbits,_ZN5aiter20topk_softplus_kernelI6__half12hip_bfloat16Dv1_fLb0ELi2EEEvPKT_PKT0_PfPimiiif,comdat
.Lfunc_end190:
	.size	_ZN5aiter20topk_softplus_kernelI6__half12hip_bfloat16Dv1_fLb0ELi2EEEvPKT_PKT0_PfPimiiif, .Lfunc_end190-_ZN5aiter20topk_softplus_kernelI6__half12hip_bfloat16Dv1_fLb0ELi2EEEvPKT_PKT0_PfPimiiif
                                        ; -- End function
	.section	.AMDGPU.csdata,"",@progbits
; Kernel info:
; codeLenInByte = 1768
; NumSgprs: 24
; NumVgprs: 11
; ScratchSize: 0
; MemoryBound: 0
; FloatMode: 240
; IeeeMode: 1
; LDSByteSize: 0 bytes/workgroup (compile time only)
; SGPRBlocks: 2
; VGPRBlocks: 1
; NumSGPRsForWavesPerEU: 24
; NumVGPRsForWavesPerEU: 11
; Occupancy: 16
; WaveLimiterHint : 0
; COMPUTE_PGM_RSRC2:SCRATCH_EN: 0
; COMPUTE_PGM_RSRC2:USER_SGPR: 15
; COMPUTE_PGM_RSRC2:TRAP_HANDLER: 0
; COMPUTE_PGM_RSRC2:TGID_X_EN: 1
; COMPUTE_PGM_RSRC2:TGID_Y_EN: 0
; COMPUTE_PGM_RSRC2:TGID_Z_EN: 0
; COMPUTE_PGM_RSRC2:TIDIG_COMP_CNT: 0
	.section	.text._ZN5aiter24topk_softplus_kernel_optI6__half12hip_bfloat16Li64ELb1ELi0EEEvPKT_PKT0_PfPimiif,"axG",@progbits,_ZN5aiter24topk_softplus_kernel_optI6__half12hip_bfloat16Li64ELb1ELi0EEEvPKT_PKT0_PfPimiif,comdat
	.protected	_ZN5aiter24topk_softplus_kernel_optI6__half12hip_bfloat16Li64ELb1ELi0EEEvPKT_PKT0_PfPimiif ; -- Begin function _ZN5aiter24topk_softplus_kernel_optI6__half12hip_bfloat16Li64ELb1ELi0EEEvPKT_PKT0_PfPimiif
	.globl	_ZN5aiter24topk_softplus_kernel_optI6__half12hip_bfloat16Li64ELb1ELi0EEEvPKT_PKT0_PfPimiif
	.p2align	8
	.type	_ZN5aiter24topk_softplus_kernel_optI6__half12hip_bfloat16Li64ELb1ELi0EEEvPKT_PKT0_PfPimiif,@function
_ZN5aiter24topk_softplus_kernel_optI6__half12hip_bfloat16Li64ELb1ELi0EEEvPKT_PKT0_PfPimiif: ; @_ZN5aiter24topk_softplus_kernel_optI6__half12hip_bfloat16Li64ELb1ELi0EEEvPKT_PKT0_PfPimiif
; %bb.0:
	s_load_b128 s[4:7], s[0:1], 0x0
	s_lshl_b32 s2, s15, 6
	v_lshlrev_b32_e32 v3, 1, v0
	s_ashr_i32 s3, s2, 31
	s_delay_alu instid0(SALU_CYCLE_1)
	s_lshl_b64 s[2:3], s[2:3], 1
	s_waitcnt lgkmcnt(0)
	s_add_u32 s8, s4, s2
	s_addc_u32 s9, s5, s3
	s_mov_b32 s4, 0x3fb8aa3b
	global_load_u16 v1, v3, s[8:9]
	s_cmp_lg_u64 s[6:7], 0
	s_cselect_b32 s3, -1, 0
	s_waitcnt vmcnt(0)
	v_cvt_f32_f16_e32 v2, v1
	s_delay_alu instid0(VALU_DEP_1) | instskip(NEXT) | instid1(VALU_DEP_1)
	v_mul_f32_e32 v4, 0x3fb8aa3b, v2
	v_cmp_gt_f32_e32 vcc_lo, 0xc2fc0000, v4
	v_cndmask_b32_e64 v4, 0, 0x42800000, vcc_lo
	v_cndmask_b32_e64 v5, 1.0, 0x1f800000, vcc_lo
	s_delay_alu instid0(VALU_DEP_2) | instskip(NEXT) | instid1(VALU_DEP_1)
	v_fma_mix_f32 v4, v1, s4, v4 op_sel_hi:[1,0,0]
	v_exp_f32_e32 v4, v4
	s_waitcnt_depctr 0xfff
	v_fma_f32 v4, v4, v5, 1.0
	s_delay_alu instid0(VALU_DEP_1) | instskip(SKIP_1) | instid1(VALU_DEP_1)
	v_cmp_gt_f32_e32 vcc_lo, 0x800000, v4
	v_cndmask_b32_e64 v5, 1.0, 0x4f800000, vcc_lo
	v_mul_f32_e32 v4, v4, v5
	v_cndmask_b32_e64 v5, 0, 0x42000000, vcc_lo
	v_cmp_lt_f16_e32 vcc_lo, 0x4d00, v1
	s_delay_alu instid0(VALU_DEP_3) | instskip(SKIP_2) | instid1(VALU_DEP_1)
	v_log_f32_e32 v4, v4
	s_waitcnt_depctr 0xfff
	v_sub_f32_e32 v4, v4, v5
	v_mul_f32_e32 v4, 0x3f317218, v4
	s_delay_alu instid0(VALU_DEP_1) | instskip(NEXT) | instid1(VALU_DEP_1)
	v_cndmask_b32_e32 v1, v4, v2, vcc_lo
	v_mul_f32_e32 v2, 0x4f800000, v1
	v_cmp_gt_f32_e32 vcc_lo, 0xf800000, v1
	s_delay_alu instid0(VALU_DEP_2) | instskip(NEXT) | instid1(VALU_DEP_1)
	v_cndmask_b32_e32 v1, v1, v2, vcc_lo
	v_sqrt_f32_e32 v2, v1
	s_waitcnt_depctr 0xfff
	v_add_nc_u32_e32 v4, -1, v2
	v_add_nc_u32_e32 v5, 1, v2
	s_delay_alu instid0(VALU_DEP_2) | instskip(NEXT) | instid1(VALU_DEP_2)
	v_fma_f32 v6, -v4, v2, v1
	v_fma_f32 v7, -v5, v2, v1
	s_delay_alu instid0(VALU_DEP_2) | instskip(NEXT) | instid1(VALU_DEP_1)
	v_cmp_ge_f32_e64 s2, 0, v6
	v_cndmask_b32_e64 v2, v2, v4, s2
	s_delay_alu instid0(VALU_DEP_3) | instskip(NEXT) | instid1(VALU_DEP_1)
	v_cmp_lt_f32_e64 s2, 0, v7
	v_cndmask_b32_e64 v2, v2, v5, s2
	s_delay_alu instid0(VALU_DEP_1) | instskip(NEXT) | instid1(VALU_DEP_1)
	v_mul_f32_e32 v4, 0x37800000, v2
	v_cndmask_b32_e32 v2, v2, v4, vcc_lo
	v_cmp_class_f32_e64 vcc_lo, v1, 0x260
	s_delay_alu instid0(VALU_DEP_2) | instskip(SKIP_1) | instid1(VALU_DEP_1)
	v_cndmask_b32_e32 v4, v2, v1, vcc_lo
	v_add_co_u32 v1, s2, s8, v3
	v_add_co_ci_u32_e64 v2, null, s9, 0, s2
	s_delay_alu instid0(VALU_DEP_3)
	v_mov_b32_e32 v5, v4
	s_and_b32 vcc_lo, exec_lo, s3
	s_cbranch_vccz .LBB191_2
; %bb.1:
	global_load_u16 v5, v3, s[6:7]
	s_waitcnt vmcnt(0)
	v_lshlrev_b32_e32 v5, 16, v5
	s_delay_alu instid0(VALU_DEP_1)
	v_add_f32_e32 v5, v4, v5
.LBB191_2:
	global_load_u16 v1, v[1:2], off offset:64
	s_waitcnt vmcnt(0)
	v_cvt_f32_f16_e32 v2, v1
	s_delay_alu instid0(VALU_DEP_1) | instskip(NEXT) | instid1(VALU_DEP_1)
	v_mul_f32_e32 v6, 0x3fb8aa3b, v2
	v_cmp_gt_f32_e32 vcc_lo, 0xc2fc0000, v6
	v_cndmask_b32_e64 v7, 0, 0x42800000, vcc_lo
	v_cndmask_b32_e64 v6, 1.0, 0x1f800000, vcc_lo
	s_delay_alu instid0(VALU_DEP_2) | instskip(NEXT) | instid1(VALU_DEP_1)
	v_fma_mix_f32 v7, v1, s4, v7 op_sel_hi:[1,0,0]
	v_exp_f32_e32 v7, v7
	s_waitcnt_depctr 0xfff
	v_fma_f32 v6, v7, v6, 1.0
	s_delay_alu instid0(VALU_DEP_1) | instskip(SKIP_1) | instid1(VALU_DEP_1)
	v_cmp_gt_f32_e32 vcc_lo, 0x800000, v6
	v_cndmask_b32_e64 v7, 1.0, 0x4f800000, vcc_lo
	v_mul_f32_e32 v6, v6, v7
	v_cndmask_b32_e64 v7, 0, 0x42000000, vcc_lo
	v_cmp_lt_f16_e32 vcc_lo, 0x4d00, v1
	s_delay_alu instid0(VALU_DEP_3) | instskip(SKIP_2) | instid1(VALU_DEP_1)
	v_log_f32_e32 v6, v6
	s_waitcnt_depctr 0xfff
	v_sub_f32_e32 v6, v6, v7
	v_mul_f32_e32 v6, 0x3f317218, v6
	s_delay_alu instid0(VALU_DEP_1) | instskip(NEXT) | instid1(VALU_DEP_1)
	v_cndmask_b32_e32 v1, v6, v2, vcc_lo
	v_mul_f32_e32 v2, 0x4f800000, v1
	v_cmp_gt_f32_e32 vcc_lo, 0xf800000, v1
	s_delay_alu instid0(VALU_DEP_2) | instskip(NEXT) | instid1(VALU_DEP_1)
	v_cndmask_b32_e32 v1, v1, v2, vcc_lo
	v_sqrt_f32_e32 v2, v1
	s_waitcnt_depctr 0xfff
	v_add_nc_u32_e32 v7, 1, v2
	v_add_nc_u32_e32 v6, -1, v2
	s_delay_alu instid0(VALU_DEP_2) | instskip(NEXT) | instid1(VALU_DEP_2)
	v_fma_f32 v9, -v7, v2, v1
	v_fma_f32 v8, -v6, v2, v1
	s_delay_alu instid0(VALU_DEP_1) | instskip(NEXT) | instid1(VALU_DEP_1)
	v_cmp_ge_f32_e64 s2, 0, v8
	v_cndmask_b32_e64 v2, v2, v6, s2
	s_delay_alu instid0(VALU_DEP_4) | instskip(NEXT) | instid1(VALU_DEP_1)
	v_cmp_lt_f32_e64 s2, 0, v9
	v_cndmask_b32_e64 v2, v2, v7, s2
	s_delay_alu instid0(VALU_DEP_1) | instskip(NEXT) | instid1(VALU_DEP_1)
	v_mul_f32_e32 v6, 0x37800000, v2
	v_cndmask_b32_e32 v2, v2, v6, vcc_lo
	v_cmp_class_f32_e64 vcc_lo, v1, 0x260
	s_delay_alu instid0(VALU_DEP_2) | instskip(SKIP_1) | instid1(VALU_DEP_1)
	v_cndmask_b32_e32 v10, v2, v1, vcc_lo
	s_and_not1_b32 vcc_lo, exec_lo, s3
	v_mov_b32_e32 v9, v10
	s_cbranch_vccnz .LBB191_4
; %bb.3:
	global_load_u16 v1, v3, s[6:7] offset:64
	s_waitcnt vmcnt(0)
	v_lshlrev_b32_e32 v1, 16, v1
	s_delay_alu instid0(VALU_DEP_1)
	v_add_f32_e32 v9, v10, v1
.LBB191_4:
	s_clause 0x1
	s_load_b32 s8, s[0:1], 0x28
	s_load_b128 s[4:7], s[0:1], 0x10
	v_dual_mov_b32 v3, 0 :: v_dual_mov_b32 v2, 0
	v_mov_b32_e32 v1, 0
	s_waitcnt lgkmcnt(0)
	s_cmp_gt_i32 s8, 0
	s_cbranch_scc0 .LBB191_7
; %bb.5:
	v_cmp_lt_f32_e32 vcc_lo, v5, v9
	v_add_nc_u32_e32 v1, 32, v0
	v_dual_mov_b32 v3, 0 :: v_dual_mov_b32 v2, 0
	v_dual_mov_b32 v11, v0 :: v_dual_cndmask_b32 v8, v9, v5
	s_delay_alu instid0(VALU_DEP_3)
	v_dual_cndmask_b32 v6, v1, v0 :: v_dual_cndmask_b32 v7, v0, v1
	v_cndmask_b32_e32 v5, v5, v9, vcc_lo
	v_dual_cndmask_b32 v9, v10, v4 :: v_dual_cndmask_b32 v4, v4, v10
	v_dual_mov_b32 v10, 0 :: v_dual_mov_b32 v1, 0
	s_mov_b32 s9, 0x76543210
	s_mov_b32 s10, s8
.LBB191_6:                              ; =>This Inner Loop Header: Depth=1
	s_delay_alu instid0(VALU_DEP_1) | instskip(SKIP_2) | instid1(VALU_DEP_1)
	v_cmp_eq_u32_e32 vcc_lo, 1, v10
	v_cmp_gt_u32_e64 s2, 2, v10
	v_dual_cndmask_b32 v12, v5, v8 :: v_dual_cndmask_b32 v13, v7, v6
	v_cndmask_b32_e64 v12, 0xff800000, v12, s2
	;;#ASMSTART
	v_max_f32 v15, v12, v12 quad_perm:[1,0,3,2] row_mask:0xf bank_mask:0xf bound_ctrl:1
	;;#ASMEND
	;;#ASMSTART
	v_max_f32 v16, v15, v15 quad_perm:[2,3,0,1] row_mask:0xf bank_mask:0xf bound_ctrl:1
	;;#ASMEND
	;;#ASMSTART
	v_max_f32 v15, v16, v16 row_half_mirror row_mask:0xf bank_mask:0xf bound_ctrl:1
	;;#ASMEND
	;;#ASMSTART
	v_max_f32 v16, v15, v15 row_mirror row_mask:0xf bank_mask:0xf bound_ctrl:1
	;;#ASMEND
	v_permlanex16_b32 v15, v16, s9, 0xfedcba98 op_sel:[1,1]
	v_max_f32_e32 v16, v16, v16
	v_cndmask_b32_e64 v14, 0, v13, s2
	s_delay_alu instid0(VALU_DEP_3) | instskip(NEXT) | instid1(VALU_DEP_1)
	v_max_f32_e32 v15, v15, v15
	v_max_f32_e32 v15, v16, v15
	s_delay_alu instid0(VALU_DEP_1) | instskip(SKIP_1) | instid1(VALU_DEP_2)
	v_cmp_eq_f32_e64 s3, v12, v15
	v_cndmask_b32_e32 v12, v4, v9, vcc_lo
	s_ctz_i32_b32 s11, s3
	s_cmp_lg_u32 s3, 0
	s_cselect_b32 s3, s11, 0
	s_add_i32 s10, s10, -1
	v_readlane_b32 s3, v14, s3
	s_delay_alu instid0(VALU_DEP_1)
	v_cmp_eq_u32_e32 vcc_lo, s3, v13
	s_and_b32 vcc_lo, s2, vcc_lo
	s_and_b32 s2, s3, 31
	v_cndmask_b32_e32 v12, 0, v12, vcc_lo
	v_add_co_ci_u32_e32 v10, vcc_lo, 0, v10, vcc_lo
	s_cmp_eq_u32 s10, 0
	s_delay_alu instid0(VALU_DEP_2) | instskip(SKIP_2) | instid1(VALU_DEP_3)
	v_readlane_b32 s11, v12, s2
	v_cmp_eq_u32_e64 s2, 0, v11
	v_add_nc_u32_e32 v11, -1, v11
	v_add_f32_e32 v3, s11, v3
	s_delay_alu instid0(VALU_DEP_3)
	v_cndmask_b32_e64 v2, v2, s11, s2
	v_cndmask_b32_e64 v1, v1, s3, s2
	s_cbranch_scc0 .LBB191_6
.LBB191_7:
	s_mov_b32 s2, exec_lo
	v_cmpx_gt_i32_e64 s8, v0
	s_cbranch_execz .LBB191_9
; %bb.8:
	s_load_b32 s2, s[0:1], 0x30
	v_max_f32_e32 v3, v3, v3
	s_load_b64 s[0:1], s[0:1], 0x20
	s_ashr_i32 s3, s15, 31
	s_delay_alu instid0(VALU_DEP_1) | instskip(SKIP_1) | instid1(VALU_DEP_1)
	v_dual_max_f32 v3, 0x1e3ce508, v3 :: v_dual_lshlrev_b32 v0, 2, v0
	s_waitcnt lgkmcnt(0)
	v_div_scale_f32 v4, null, v3, v3, s2
	v_div_scale_f32 v7, vcc_lo, s2, v3, s2
	s_mul_i32 s1, s15, s1
	s_delay_alu instid0(VALU_DEP_2)
	v_rcp_f32_e32 v5, v4
	s_mul_hi_u32 s8, s15, s0
	s_mul_i32 s3, s3, s0
	s_add_i32 s1, s8, s1
	s_mul_i32 s0, s15, s0
	s_add_i32 s1, s1, s3
	s_delay_alu instid0(SALU_CYCLE_1) | instskip(SKIP_2) | instid1(VALU_DEP_1)
	s_lshl_b64 s[0:1], s[0:1], 2
	s_waitcnt_depctr 0xfff
	v_fma_f32 v6, -v4, v5, 1.0
	v_fmac_f32_e32 v5, v6, v5
	s_delay_alu instid0(VALU_DEP_1) | instskip(NEXT) | instid1(VALU_DEP_1)
	v_mul_f32_e32 v6, v7, v5
	v_fma_f32 v8, -v4, v6, v7
	s_delay_alu instid0(VALU_DEP_1) | instskip(NEXT) | instid1(VALU_DEP_1)
	v_fmac_f32_e32 v6, v8, v5
	v_fma_f32 v4, -v4, v6, v7
	s_delay_alu instid0(VALU_DEP_1) | instskip(NEXT) | instid1(VALU_DEP_1)
	v_div_fmas_f32 v4, v4, v5, v6
	v_div_fixup_f32 v3, v4, v3, s2
	s_add_u32 s2, s4, s0
	s_addc_u32 s3, s5, s1
	s_add_u32 s0, s6, s0
	s_addc_u32 s1, s7, s1
	v_mul_f32_e32 v2, v2, v3
	s_clause 0x1
	global_store_b32 v0, v2, s[2:3]
	global_store_b32 v0, v1, s[0:1]
.LBB191_9:
	s_nop 0
	s_sendmsg sendmsg(MSG_DEALLOC_VGPRS)
	s_endpgm
	.section	.rodata,"a",@progbits
	.p2align	6, 0x0
	.amdhsa_kernel _ZN5aiter24topk_softplus_kernel_optI6__half12hip_bfloat16Li64ELb1ELi0EEEvPKT_PKT0_PfPimiif
		.amdhsa_group_segment_fixed_size 0
		.amdhsa_private_segment_fixed_size 0
		.amdhsa_kernarg_size 52
		.amdhsa_user_sgpr_count 15
		.amdhsa_user_sgpr_dispatch_ptr 0
		.amdhsa_user_sgpr_queue_ptr 0
		.amdhsa_user_sgpr_kernarg_segment_ptr 1
		.amdhsa_user_sgpr_dispatch_id 0
		.amdhsa_user_sgpr_private_segment_size 0
		.amdhsa_wavefront_size32 1
		.amdhsa_uses_dynamic_stack 0
		.amdhsa_enable_private_segment 0
		.amdhsa_system_sgpr_workgroup_id_x 1
		.amdhsa_system_sgpr_workgroup_id_y 0
		.amdhsa_system_sgpr_workgroup_id_z 0
		.amdhsa_system_sgpr_workgroup_info 0
		.amdhsa_system_vgpr_workitem_id 0
		.amdhsa_next_free_vgpr 17
		.amdhsa_next_free_sgpr 16
		.amdhsa_reserve_vcc 1
		.amdhsa_float_round_mode_32 0
		.amdhsa_float_round_mode_16_64 0
		.amdhsa_float_denorm_mode_32 3
		.amdhsa_float_denorm_mode_16_64 3
		.amdhsa_dx10_clamp 1
		.amdhsa_ieee_mode 1
		.amdhsa_fp16_overflow 0
		.amdhsa_workgroup_processor_mode 1
		.amdhsa_memory_ordered 1
		.amdhsa_forward_progress 0
		.amdhsa_shared_vgpr_count 0
		.amdhsa_exception_fp_ieee_invalid_op 0
		.amdhsa_exception_fp_denorm_src 0
		.amdhsa_exception_fp_ieee_div_zero 0
		.amdhsa_exception_fp_ieee_overflow 0
		.amdhsa_exception_fp_ieee_underflow 0
		.amdhsa_exception_fp_ieee_inexact 0
		.amdhsa_exception_int_div_zero 0
	.end_amdhsa_kernel
	.section	.text._ZN5aiter24topk_softplus_kernel_optI6__half12hip_bfloat16Li64ELb1ELi0EEEvPKT_PKT0_PfPimiif,"axG",@progbits,_ZN5aiter24topk_softplus_kernel_optI6__half12hip_bfloat16Li64ELb1ELi0EEEvPKT_PKT0_PfPimiif,comdat
.Lfunc_end191:
	.size	_ZN5aiter24topk_softplus_kernel_optI6__half12hip_bfloat16Li64ELb1ELi0EEEvPKT_PKT0_PfPimiif, .Lfunc_end191-_ZN5aiter24topk_softplus_kernel_optI6__half12hip_bfloat16Li64ELb1ELi0EEEvPKT_PKT0_PfPimiif
                                        ; -- End function
	.section	.AMDGPU.csdata,"",@progbits
; Kernel info:
; codeLenInByte = 1376
; NumSgprs: 18
; NumVgprs: 17
; ScratchSize: 0
; MemoryBound: 0
; FloatMode: 240
; IeeeMode: 1
; LDSByteSize: 0 bytes/workgroup (compile time only)
; SGPRBlocks: 2
; VGPRBlocks: 2
; NumSGPRsForWavesPerEU: 18
; NumVGPRsForWavesPerEU: 17
; Occupancy: 16
; WaveLimiterHint : 0
; COMPUTE_PGM_RSRC2:SCRATCH_EN: 0
; COMPUTE_PGM_RSRC2:USER_SGPR: 15
; COMPUTE_PGM_RSRC2:TRAP_HANDLER: 0
; COMPUTE_PGM_RSRC2:TGID_X_EN: 1
; COMPUTE_PGM_RSRC2:TGID_Y_EN: 0
; COMPUTE_PGM_RSRC2:TGID_Z_EN: 0
; COMPUTE_PGM_RSRC2:TIDIG_COMP_CNT: 0
	.section	.text._ZN5aiter24topk_softplus_kernel_optI6__half12hip_bfloat16Li64ELb0ELi0EEEvPKT_PKT0_PfPimiif,"axG",@progbits,_ZN5aiter24topk_softplus_kernel_optI6__half12hip_bfloat16Li64ELb0ELi0EEEvPKT_PKT0_PfPimiif,comdat
	.protected	_ZN5aiter24topk_softplus_kernel_optI6__half12hip_bfloat16Li64ELb0ELi0EEEvPKT_PKT0_PfPimiif ; -- Begin function _ZN5aiter24topk_softplus_kernel_optI6__half12hip_bfloat16Li64ELb0ELi0EEEvPKT_PKT0_PfPimiif
	.globl	_ZN5aiter24topk_softplus_kernel_optI6__half12hip_bfloat16Li64ELb0ELi0EEEvPKT_PKT0_PfPimiif
	.p2align	8
	.type	_ZN5aiter24topk_softplus_kernel_optI6__half12hip_bfloat16Li64ELb0ELi0EEEvPKT_PKT0_PfPimiif,@function
_ZN5aiter24topk_softplus_kernel_optI6__half12hip_bfloat16Li64ELb0ELi0EEEvPKT_PKT0_PfPimiif: ; @_ZN5aiter24topk_softplus_kernel_optI6__half12hip_bfloat16Li64ELb0ELi0EEEvPKT_PKT0_PfPimiif
; %bb.0:
	s_load_b128 s[4:7], s[0:1], 0x0
	s_lshl_b32 s2, s15, 6
	v_lshlrev_b32_e32 v3, 1, v0
	s_ashr_i32 s3, s2, 31
	s_delay_alu instid0(SALU_CYCLE_1)
	s_lshl_b64 s[2:3], s[2:3], 1
	s_waitcnt lgkmcnt(0)
	s_add_u32 s8, s4, s2
	s_addc_u32 s9, s5, s3
	s_mov_b32 s4, 0x3fb8aa3b
	global_load_u16 v1, v3, s[8:9]
	s_cmp_lg_u64 s[6:7], 0
	s_cselect_b32 s3, -1, 0
	s_waitcnt vmcnt(0)
	v_cvt_f32_f16_e32 v2, v1
	s_delay_alu instid0(VALU_DEP_1) | instskip(NEXT) | instid1(VALU_DEP_1)
	v_mul_f32_e32 v4, 0x3fb8aa3b, v2
	v_cmp_gt_f32_e32 vcc_lo, 0xc2fc0000, v4
	v_cndmask_b32_e64 v4, 0, 0x42800000, vcc_lo
	v_cndmask_b32_e64 v5, 1.0, 0x1f800000, vcc_lo
	s_delay_alu instid0(VALU_DEP_2) | instskip(NEXT) | instid1(VALU_DEP_1)
	v_fma_mix_f32 v4, v1, s4, v4 op_sel_hi:[1,0,0]
	v_exp_f32_e32 v4, v4
	s_waitcnt_depctr 0xfff
	v_fma_f32 v4, v4, v5, 1.0
	s_delay_alu instid0(VALU_DEP_1) | instskip(SKIP_1) | instid1(VALU_DEP_1)
	v_cmp_gt_f32_e32 vcc_lo, 0x800000, v4
	v_cndmask_b32_e64 v5, 1.0, 0x4f800000, vcc_lo
	v_mul_f32_e32 v4, v4, v5
	v_cndmask_b32_e64 v5, 0, 0x42000000, vcc_lo
	v_cmp_lt_f16_e32 vcc_lo, 0x4d00, v1
	s_delay_alu instid0(VALU_DEP_3) | instskip(SKIP_2) | instid1(VALU_DEP_1)
	v_log_f32_e32 v4, v4
	s_waitcnt_depctr 0xfff
	v_sub_f32_e32 v4, v4, v5
	v_mul_f32_e32 v4, 0x3f317218, v4
	s_delay_alu instid0(VALU_DEP_1) | instskip(NEXT) | instid1(VALU_DEP_1)
	v_cndmask_b32_e32 v1, v4, v2, vcc_lo
	v_mul_f32_e32 v2, 0x4f800000, v1
	v_cmp_gt_f32_e32 vcc_lo, 0xf800000, v1
	s_delay_alu instid0(VALU_DEP_2) | instskip(NEXT) | instid1(VALU_DEP_1)
	v_cndmask_b32_e32 v1, v1, v2, vcc_lo
	v_sqrt_f32_e32 v2, v1
	s_waitcnt_depctr 0xfff
	v_add_nc_u32_e32 v4, -1, v2
	v_add_nc_u32_e32 v5, 1, v2
	s_delay_alu instid0(VALU_DEP_2) | instskip(NEXT) | instid1(VALU_DEP_2)
	v_fma_f32 v6, -v4, v2, v1
	v_fma_f32 v7, -v5, v2, v1
	s_delay_alu instid0(VALU_DEP_2) | instskip(NEXT) | instid1(VALU_DEP_1)
	v_cmp_ge_f32_e64 s2, 0, v6
	v_cndmask_b32_e64 v2, v2, v4, s2
	s_delay_alu instid0(VALU_DEP_3) | instskip(NEXT) | instid1(VALU_DEP_1)
	v_cmp_lt_f32_e64 s2, 0, v7
	v_cndmask_b32_e64 v2, v2, v5, s2
	s_delay_alu instid0(VALU_DEP_1) | instskip(NEXT) | instid1(VALU_DEP_1)
	v_mul_f32_e32 v4, 0x37800000, v2
	v_cndmask_b32_e32 v2, v2, v4, vcc_lo
	v_cmp_class_f32_e64 vcc_lo, v1, 0x260
	s_delay_alu instid0(VALU_DEP_2) | instskip(SKIP_1) | instid1(VALU_DEP_1)
	v_cndmask_b32_e32 v4, v2, v1, vcc_lo
	v_add_co_u32 v1, s2, s8, v3
	v_add_co_ci_u32_e64 v2, null, s9, 0, s2
	s_delay_alu instid0(VALU_DEP_3)
	v_mov_b32_e32 v5, v4
	s_and_b32 vcc_lo, exec_lo, s3
	s_cbranch_vccz .LBB192_2
; %bb.1:
	global_load_u16 v5, v3, s[6:7]
	s_waitcnt vmcnt(0)
	v_lshlrev_b32_e32 v5, 16, v5
	s_delay_alu instid0(VALU_DEP_1)
	v_add_f32_e32 v5, v4, v5
.LBB192_2:
	global_load_u16 v1, v[1:2], off offset:64
	s_waitcnt vmcnt(0)
	v_cvt_f32_f16_e32 v2, v1
	s_delay_alu instid0(VALU_DEP_1) | instskip(NEXT) | instid1(VALU_DEP_1)
	v_mul_f32_e32 v6, 0x3fb8aa3b, v2
	v_cmp_gt_f32_e32 vcc_lo, 0xc2fc0000, v6
	v_cndmask_b32_e64 v7, 0, 0x42800000, vcc_lo
	v_cndmask_b32_e64 v6, 1.0, 0x1f800000, vcc_lo
	s_delay_alu instid0(VALU_DEP_2) | instskip(NEXT) | instid1(VALU_DEP_1)
	v_fma_mix_f32 v7, v1, s4, v7 op_sel_hi:[1,0,0]
	v_exp_f32_e32 v7, v7
	s_waitcnt_depctr 0xfff
	v_fma_f32 v6, v7, v6, 1.0
	s_delay_alu instid0(VALU_DEP_1) | instskip(SKIP_1) | instid1(VALU_DEP_1)
	v_cmp_gt_f32_e32 vcc_lo, 0x800000, v6
	v_cndmask_b32_e64 v7, 1.0, 0x4f800000, vcc_lo
	v_mul_f32_e32 v6, v6, v7
	v_cndmask_b32_e64 v7, 0, 0x42000000, vcc_lo
	v_cmp_lt_f16_e32 vcc_lo, 0x4d00, v1
	s_delay_alu instid0(VALU_DEP_3) | instskip(SKIP_2) | instid1(VALU_DEP_1)
	v_log_f32_e32 v6, v6
	s_waitcnt_depctr 0xfff
	v_sub_f32_e32 v6, v6, v7
	v_mul_f32_e32 v6, 0x3f317218, v6
	s_delay_alu instid0(VALU_DEP_1) | instskip(NEXT) | instid1(VALU_DEP_1)
	v_cndmask_b32_e32 v1, v6, v2, vcc_lo
	v_mul_f32_e32 v2, 0x4f800000, v1
	v_cmp_gt_f32_e32 vcc_lo, 0xf800000, v1
	s_delay_alu instid0(VALU_DEP_2) | instskip(NEXT) | instid1(VALU_DEP_1)
	v_cndmask_b32_e32 v1, v1, v2, vcc_lo
	v_sqrt_f32_e32 v2, v1
	s_waitcnt_depctr 0xfff
	v_add_nc_u32_e32 v7, 1, v2
	v_add_nc_u32_e32 v6, -1, v2
	s_delay_alu instid0(VALU_DEP_2) | instskip(NEXT) | instid1(VALU_DEP_2)
	v_fma_f32 v9, -v7, v2, v1
	v_fma_f32 v8, -v6, v2, v1
	s_delay_alu instid0(VALU_DEP_1) | instskip(NEXT) | instid1(VALU_DEP_1)
	v_cmp_ge_f32_e64 s2, 0, v8
	v_cndmask_b32_e64 v2, v2, v6, s2
	s_delay_alu instid0(VALU_DEP_4) | instskip(NEXT) | instid1(VALU_DEP_1)
	v_cmp_lt_f32_e64 s2, 0, v9
	v_cndmask_b32_e64 v2, v2, v7, s2
	s_delay_alu instid0(VALU_DEP_1) | instskip(NEXT) | instid1(VALU_DEP_1)
	v_mul_f32_e32 v6, 0x37800000, v2
	v_cndmask_b32_e32 v2, v2, v6, vcc_lo
	v_cmp_class_f32_e64 vcc_lo, v1, 0x260
	s_delay_alu instid0(VALU_DEP_2) | instskip(SKIP_1) | instid1(VALU_DEP_1)
	v_cndmask_b32_e32 v2, v2, v1, vcc_lo
	s_and_not1_b32 vcc_lo, exec_lo, s3
	v_mov_b32_e32 v8, v2
	s_cbranch_vccnz .LBB192_4
; %bb.3:
	global_load_u16 v1, v3, s[6:7] offset:64
	s_waitcnt vmcnt(0)
	v_lshlrev_b32_e32 v1, 16, v1
	s_delay_alu instid0(VALU_DEP_1)
	v_add_f32_e32 v8, v2, v1
.LBB192_4:
	s_clause 0x1
	s_load_b32 s8, s[0:1], 0x28
	s_load_b128 s[4:7], s[0:1], 0x10
	v_mov_b32_e32 v1, 0
	s_waitcnt lgkmcnt(0)
	s_cmp_gt_i32 s8, 0
	s_cbranch_scc0 .LBB192_10
; %bb.5:
	v_cmp_lt_f32_e32 vcc_lo, v5, v8
	v_add_nc_u32_e32 v1, 32, v0
	v_dual_mov_b32 v9, 0 :: v_dual_mov_b32 v10, v0
	s_mov_b32 s9, 0x76543210
	v_cndmask_b32_e32 v7, v8, v5, vcc_lo
	v_cndmask_b32_e32 v5, v5, v8, vcc_lo
	;; [unrolled: 1-line block ×4, first 2 shown]
	v_dual_mov_b32 v2, 0 :: v_dual_cndmask_b32 v3, v1, v0
	v_dual_cndmask_b32 v6, v0, v1 :: v_dual_mov_b32 v1, 0
	s_mov_b32 s10, s8
.LBB192_6:                              ; =>This Inner Loop Header: Depth=1
	v_cmp_eq_u32_e32 vcc_lo, 1, v9
	v_cmp_gt_u32_e64 s2, 2, v9
	v_cndmask_b32_e32 v11, v5, v7, vcc_lo
	s_delay_alu instid0(VALU_DEP_1)
	v_cndmask_b32_e64 v11, 0xff800000, v11, s2
	;;#ASMSTART
	v_max_f32 v12, v11, v11 quad_perm:[1,0,3,2] row_mask:0xf bank_mask:0xf bound_ctrl:1
	;;#ASMEND
	;;#ASMSTART
	v_max_f32 v13, v12, v12 quad_perm:[2,3,0,1] row_mask:0xf bank_mask:0xf bound_ctrl:1
	;;#ASMEND
	;;#ASMSTART
	v_max_f32 v12, v13, v13 row_half_mirror row_mask:0xf bank_mask:0xf bound_ctrl:1
	;;#ASMEND
	;;#ASMSTART
	v_max_f32 v13, v12, v12 row_mirror row_mask:0xf bank_mask:0xf bound_ctrl:1
	;;#ASMEND
	v_permlanex16_b32 v12, v13, s9, 0xfedcba98 op_sel:[1,1]
	s_delay_alu instid0(VALU_DEP_1) | instskip(NEXT) | instid1(VALU_DEP_1)
	v_dual_max_f32 v13, v13, v13 :: v_dual_max_f32 v12, v12, v12
	v_dual_max_f32 v12, v13, v12 :: v_dual_cndmask_b32 v13, v6, v3
	s_delay_alu instid0(VALU_DEP_1) | instskip(NEXT) | instid1(VALU_DEP_2)
	v_cmp_eq_f32_e64 s3, v11, v12
	v_cndmask_b32_e64 v11, 0, v13, s2
	s_delay_alu instid0(VALU_DEP_2)
	s_ctz_i32_b32 s11, s3
	s_cmp_lg_u32 s3, 0
	s_cselect_b32 s3, s11, 0
	s_add_i32 s10, s10, -1
	v_readlane_b32 s3, v11, s3
	v_cndmask_b32_e32 v11, v4, v8, vcc_lo
	s_delay_alu instid0(VALU_DEP_2) | instskip(SKIP_2) | instid1(VALU_DEP_2)
	v_cmp_eq_u32_e32 vcc_lo, s3, v13
	s_and_b32 vcc_lo, s2, vcc_lo
	s_and_b32 s2, s3, 31
	v_cndmask_b32_e32 v11, 0, v11, vcc_lo
	v_add_co_ci_u32_e32 v9, vcc_lo, 0, v9, vcc_lo
	s_cmp_eq_u32 s10, 0
	s_delay_alu instid0(VALU_DEP_2) | instskip(SKIP_2) | instid1(VALU_DEP_2)
	v_readlane_b32 s11, v11, s2
	v_cmp_eq_u32_e64 s2, 0, v10
	v_add_nc_u32_e32 v10, -1, v10
	v_cndmask_b32_e64 v2, v2, s11, s2
	v_cndmask_b32_e64 v1, v1, s3, s2
	s_cbranch_scc0 .LBB192_6
; %bb.7:
	s_mov_b32 s2, exec_lo
	v_cmpx_gt_i32_e64 s8, v0
	s_cbranch_execz .LBB192_9
.LBB192_8:
	s_clause 0x1
	s_load_b64 s[2:3], s[0:1], 0x20
	s_load_b32 s8, s[0:1], 0x30
	s_ashr_i32 s0, s15, 31
	v_lshlrev_b32_e32 v0, 2, v0
	s_waitcnt lgkmcnt(0)
	s_mul_i32 s1, s15, s3
	s_mul_hi_u32 s3, s15, s2
	s_mul_i32 s0, s0, s2
	s_add_i32 s1, s3, s1
	v_mul_f32_e32 v2, s8, v2
	s_add_i32 s1, s1, s0
	s_mul_i32 s0, s15, s2
	s_delay_alu instid0(SALU_CYCLE_1) | instskip(NEXT) | instid1(SALU_CYCLE_1)
	s_lshl_b64 s[0:1], s[0:1], 2
	s_add_u32 s2, s4, s0
	s_addc_u32 s3, s5, s1
	s_add_u32 s0, s6, s0
	s_addc_u32 s1, s7, s1
	s_clause 0x1
	global_store_b32 v0, v2, s[2:3]
	global_store_b32 v0, v1, s[0:1]
.LBB192_9:
	s_nop 0
	s_sendmsg sendmsg(MSG_DEALLOC_VGPRS)
	s_endpgm
.LBB192_10:
	v_mov_b32_e32 v2, 0
	s_mov_b32 s2, exec_lo
	v_cmpx_gt_i32_e64 s8, v0
	s_cbranch_execnz .LBB192_8
	s_branch .LBB192_9
	.section	.rodata,"a",@progbits
	.p2align	6, 0x0
	.amdhsa_kernel _ZN5aiter24topk_softplus_kernel_optI6__half12hip_bfloat16Li64ELb0ELi0EEEvPKT_PKT0_PfPimiif
		.amdhsa_group_segment_fixed_size 0
		.amdhsa_private_segment_fixed_size 0
		.amdhsa_kernarg_size 52
		.amdhsa_user_sgpr_count 15
		.amdhsa_user_sgpr_dispatch_ptr 0
		.amdhsa_user_sgpr_queue_ptr 0
		.amdhsa_user_sgpr_kernarg_segment_ptr 1
		.amdhsa_user_sgpr_dispatch_id 0
		.amdhsa_user_sgpr_private_segment_size 0
		.amdhsa_wavefront_size32 1
		.amdhsa_uses_dynamic_stack 0
		.amdhsa_enable_private_segment 0
		.amdhsa_system_sgpr_workgroup_id_x 1
		.amdhsa_system_sgpr_workgroup_id_y 0
		.amdhsa_system_sgpr_workgroup_id_z 0
		.amdhsa_system_sgpr_workgroup_info 0
		.amdhsa_system_vgpr_workitem_id 0
		.amdhsa_next_free_vgpr 14
		.amdhsa_next_free_sgpr 16
		.amdhsa_reserve_vcc 1
		.amdhsa_float_round_mode_32 0
		.amdhsa_float_round_mode_16_64 0
		.amdhsa_float_denorm_mode_32 3
		.amdhsa_float_denorm_mode_16_64 3
		.amdhsa_dx10_clamp 1
		.amdhsa_ieee_mode 1
		.amdhsa_fp16_overflow 0
		.amdhsa_workgroup_processor_mode 1
		.amdhsa_memory_ordered 1
		.amdhsa_forward_progress 0
		.amdhsa_shared_vgpr_count 0
		.amdhsa_exception_fp_ieee_invalid_op 0
		.amdhsa_exception_fp_denorm_src 0
		.amdhsa_exception_fp_ieee_div_zero 0
		.amdhsa_exception_fp_ieee_overflow 0
		.amdhsa_exception_fp_ieee_underflow 0
		.amdhsa_exception_fp_ieee_inexact 0
		.amdhsa_exception_int_div_zero 0
	.end_amdhsa_kernel
	.section	.text._ZN5aiter24topk_softplus_kernel_optI6__half12hip_bfloat16Li64ELb0ELi0EEEvPKT_PKT0_PfPimiif,"axG",@progbits,_ZN5aiter24topk_softplus_kernel_optI6__half12hip_bfloat16Li64ELb0ELi0EEEvPKT_PKT0_PfPimiif,comdat
.Lfunc_end192:
	.size	_ZN5aiter24topk_softplus_kernel_optI6__half12hip_bfloat16Li64ELb0ELi0EEEvPKT_PKT0_PfPimiif, .Lfunc_end192-_ZN5aiter24topk_softplus_kernel_optI6__half12hip_bfloat16Li64ELb0ELi0EEEvPKT_PKT0_PfPimiif
                                        ; -- End function
	.section	.AMDGPU.csdata,"",@progbits
; Kernel info:
; codeLenInByte = 1276
; NumSgprs: 18
; NumVgprs: 14
; ScratchSize: 0
; MemoryBound: 0
; FloatMode: 240
; IeeeMode: 1
; LDSByteSize: 0 bytes/workgroup (compile time only)
; SGPRBlocks: 2
; VGPRBlocks: 1
; NumSGPRsForWavesPerEU: 18
; NumVGPRsForWavesPerEU: 14
; Occupancy: 16
; WaveLimiterHint : 0
; COMPUTE_PGM_RSRC2:SCRATCH_EN: 0
; COMPUTE_PGM_RSRC2:USER_SGPR: 15
; COMPUTE_PGM_RSRC2:TRAP_HANDLER: 0
; COMPUTE_PGM_RSRC2:TGID_X_EN: 1
; COMPUTE_PGM_RSRC2:TGID_Y_EN: 0
; COMPUTE_PGM_RSRC2:TGID_Z_EN: 0
; COMPUTE_PGM_RSRC2:TIDIG_COMP_CNT: 0
	.section	.text._ZN5aiter24topk_softplus_kernel_optI6__half12hip_bfloat16Li128ELb1ELi0EEEvPKT_PKT0_PfPimiif,"axG",@progbits,_ZN5aiter24topk_softplus_kernel_optI6__half12hip_bfloat16Li128ELb1ELi0EEEvPKT_PKT0_PfPimiif,comdat
	.protected	_ZN5aiter24topk_softplus_kernel_optI6__half12hip_bfloat16Li128ELb1ELi0EEEvPKT_PKT0_PfPimiif ; -- Begin function _ZN5aiter24topk_softplus_kernel_optI6__half12hip_bfloat16Li128ELb1ELi0EEEvPKT_PKT0_PfPimiif
	.globl	_ZN5aiter24topk_softplus_kernel_optI6__half12hip_bfloat16Li128ELb1ELi0EEEvPKT_PKT0_PfPimiif
	.p2align	8
	.type	_ZN5aiter24topk_softplus_kernel_optI6__half12hip_bfloat16Li128ELb1ELi0EEEvPKT_PKT0_PfPimiif,@function
_ZN5aiter24topk_softplus_kernel_optI6__half12hip_bfloat16Li128ELb1ELi0EEEvPKT_PKT0_PfPimiif: ; @_ZN5aiter24topk_softplus_kernel_optI6__half12hip_bfloat16Li128ELb1ELi0EEEvPKT_PKT0_PfPimiif
; %bb.0:
	s_load_b128 s[4:7], s[0:1], 0x0
	s_lshl_b32 s2, s15, 7
	v_lshlrev_b32_e32 v3, 1, v0
	s_ashr_i32 s3, s2, 31
	s_delay_alu instid0(SALU_CYCLE_1)
	s_lshl_b64 s[2:3], s[2:3], 1
	s_waitcnt lgkmcnt(0)
	s_add_u32 s8, s4, s2
	s_addc_u32 s9, s5, s3
	s_mov_b32 s4, 0x3fb8aa3b
	global_load_u16 v1, v3, s[8:9]
	s_cmp_lg_u64 s[6:7], 0
	s_cselect_b32 s3, -1, 0
	s_waitcnt vmcnt(0)
	v_cvt_f32_f16_e32 v2, v1
	s_delay_alu instid0(VALU_DEP_1) | instskip(NEXT) | instid1(VALU_DEP_1)
	v_mul_f32_e32 v4, 0x3fb8aa3b, v2
	v_cmp_gt_f32_e32 vcc_lo, 0xc2fc0000, v4
	v_cndmask_b32_e64 v4, 0, 0x42800000, vcc_lo
	v_cndmask_b32_e64 v5, 1.0, 0x1f800000, vcc_lo
	s_delay_alu instid0(VALU_DEP_2) | instskip(NEXT) | instid1(VALU_DEP_1)
	v_fma_mix_f32 v4, v1, s4, v4 op_sel_hi:[1,0,0]
	v_exp_f32_e32 v4, v4
	s_waitcnt_depctr 0xfff
	v_fma_f32 v4, v4, v5, 1.0
	s_delay_alu instid0(VALU_DEP_1) | instskip(SKIP_1) | instid1(VALU_DEP_1)
	v_cmp_gt_f32_e32 vcc_lo, 0x800000, v4
	v_cndmask_b32_e64 v5, 1.0, 0x4f800000, vcc_lo
	v_mul_f32_e32 v4, v4, v5
	v_cndmask_b32_e64 v5, 0, 0x42000000, vcc_lo
	v_cmp_lt_f16_e32 vcc_lo, 0x4d00, v1
	s_delay_alu instid0(VALU_DEP_3) | instskip(SKIP_2) | instid1(VALU_DEP_1)
	v_log_f32_e32 v4, v4
	s_waitcnt_depctr 0xfff
	v_sub_f32_e32 v4, v4, v5
	v_mul_f32_e32 v4, 0x3f317218, v4
	s_delay_alu instid0(VALU_DEP_1) | instskip(NEXT) | instid1(VALU_DEP_1)
	v_cndmask_b32_e32 v1, v4, v2, vcc_lo
	v_mul_f32_e32 v2, 0x4f800000, v1
	v_cmp_gt_f32_e32 vcc_lo, 0xf800000, v1
	s_delay_alu instid0(VALU_DEP_2) | instskip(NEXT) | instid1(VALU_DEP_1)
	v_cndmask_b32_e32 v1, v1, v2, vcc_lo
	v_sqrt_f32_e32 v2, v1
	s_waitcnt_depctr 0xfff
	v_add_nc_u32_e32 v4, -1, v2
	v_add_nc_u32_e32 v5, 1, v2
	s_delay_alu instid0(VALU_DEP_2) | instskip(NEXT) | instid1(VALU_DEP_2)
	v_fma_f32 v6, -v4, v2, v1
	v_fma_f32 v7, -v5, v2, v1
	s_delay_alu instid0(VALU_DEP_2) | instskip(NEXT) | instid1(VALU_DEP_1)
	v_cmp_ge_f32_e64 s2, 0, v6
	v_cndmask_b32_e64 v2, v2, v4, s2
	s_delay_alu instid0(VALU_DEP_3) | instskip(NEXT) | instid1(VALU_DEP_1)
	v_cmp_lt_f32_e64 s2, 0, v7
	v_cndmask_b32_e64 v2, v2, v5, s2
	s_delay_alu instid0(VALU_DEP_1) | instskip(NEXT) | instid1(VALU_DEP_1)
	v_mul_f32_e32 v4, 0x37800000, v2
	v_cndmask_b32_e32 v2, v2, v4, vcc_lo
	v_cmp_class_f32_e64 vcc_lo, v1, 0x260
	s_delay_alu instid0(VALU_DEP_2) | instskip(SKIP_1) | instid1(VALU_DEP_1)
	v_cndmask_b32_e32 v4, v2, v1, vcc_lo
	v_add_co_u32 v1, s2, s8, v3
	v_add_co_ci_u32_e64 v2, null, s9, 0, s2
	s_delay_alu instid0(VALU_DEP_3)
	v_mov_b32_e32 v5, v4
	s_and_b32 vcc_lo, exec_lo, s3
	s_cbranch_vccz .LBB193_2
; %bb.1:
	global_load_u16 v5, v3, s[6:7]
	s_waitcnt vmcnt(0)
	v_lshlrev_b32_e32 v5, 16, v5
	s_delay_alu instid0(VALU_DEP_1)
	v_add_f32_e32 v5, v4, v5
.LBB193_2:
	global_load_u16 v6, v[1:2], off offset:64
	s_waitcnt vmcnt(0)
	v_cvt_f32_f16_e32 v7, v6
	s_delay_alu instid0(VALU_DEP_1) | instskip(NEXT) | instid1(VALU_DEP_1)
	v_mul_f32_e32 v8, 0x3fb8aa3b, v7
	v_cmp_gt_f32_e32 vcc_lo, 0xc2fc0000, v8
	v_cndmask_b32_e64 v9, 0, 0x42800000, vcc_lo
	v_cndmask_b32_e64 v8, 1.0, 0x1f800000, vcc_lo
	s_delay_alu instid0(VALU_DEP_2) | instskip(NEXT) | instid1(VALU_DEP_1)
	v_fma_mix_f32 v9, v6, s4, v9 op_sel_hi:[1,0,0]
	v_exp_f32_e32 v9, v9
	s_waitcnt_depctr 0xfff
	v_fma_f32 v8, v9, v8, 1.0
	s_delay_alu instid0(VALU_DEP_1) | instskip(SKIP_1) | instid1(VALU_DEP_1)
	v_cmp_gt_f32_e32 vcc_lo, 0x800000, v8
	v_cndmask_b32_e64 v9, 1.0, 0x4f800000, vcc_lo
	v_mul_f32_e32 v8, v8, v9
	v_cndmask_b32_e64 v9, 0, 0x42000000, vcc_lo
	v_cmp_lt_f16_e32 vcc_lo, 0x4d00, v6
	s_delay_alu instid0(VALU_DEP_3) | instskip(SKIP_2) | instid1(VALU_DEP_1)
	v_log_f32_e32 v8, v8
	s_waitcnt_depctr 0xfff
	v_sub_f32_e32 v8, v8, v9
	v_mul_f32_e32 v8, 0x3f317218, v8
	s_delay_alu instid0(VALU_DEP_1) | instskip(NEXT) | instid1(VALU_DEP_1)
	v_cndmask_b32_e32 v6, v8, v7, vcc_lo
	v_mul_f32_e32 v7, 0x4f800000, v6
	v_cmp_gt_f32_e32 vcc_lo, 0xf800000, v6
	s_delay_alu instid0(VALU_DEP_2) | instskip(NEXT) | instid1(VALU_DEP_1)
	v_cndmask_b32_e32 v6, v6, v7, vcc_lo
	v_sqrt_f32_e32 v7, v6
	s_waitcnt_depctr 0xfff
	v_add_nc_u32_e32 v8, -1, v7
	v_add_nc_u32_e32 v9, 1, v7
	s_delay_alu instid0(VALU_DEP_2) | instskip(NEXT) | instid1(VALU_DEP_2)
	v_fma_f32 v10, -v8, v7, v6
	v_fma_f32 v11, -v9, v7, v6
	s_delay_alu instid0(VALU_DEP_2) | instskip(NEXT) | instid1(VALU_DEP_1)
	v_cmp_ge_f32_e64 s2, 0, v10
	v_cndmask_b32_e64 v7, v7, v8, s2
	s_delay_alu instid0(VALU_DEP_3) | instskip(NEXT) | instid1(VALU_DEP_1)
	v_cmp_lt_f32_e64 s2, 0, v11
	v_cndmask_b32_e64 v7, v7, v9, s2
	s_delay_alu instid0(VALU_DEP_1) | instskip(NEXT) | instid1(VALU_DEP_1)
	v_mul_f32_e32 v8, 0x37800000, v7
	v_cndmask_b32_e32 v8, v7, v8, vcc_lo
	v_cmp_class_f32_e64 vcc_lo, v6, 0x260
	v_cndmask_b32_e64 v7, 0, 1, s3
	s_delay_alu instid0(VALU_DEP_3) | instskip(SKIP_1) | instid1(VALU_DEP_1)
	v_cndmask_b32_e32 v8, v8, v6, vcc_lo
	s_and_not1_b32 vcc_lo, exec_lo, s3
	v_mov_b32_e32 v11, v8
	s_cbranch_vccnz .LBB193_4
; %bb.3:
	global_load_u16 v6, v3, s[6:7] offset:64
	s_waitcnt vmcnt(0)
	v_lshlrev_b32_e32 v6, 16, v6
	s_delay_alu instid0(VALU_DEP_1)
	v_add_f32_e32 v11, v8, v6
.LBB193_4:
	global_load_u16 v6, v[1:2], off offset:128
	s_mov_b32 s3, 0x3fb8aa3b
	s_waitcnt vmcnt(0)
	v_cvt_f32_f16_e32 v9, v6
	s_delay_alu instid0(VALU_DEP_1) | instskip(NEXT) | instid1(VALU_DEP_1)
	v_mul_f32_e32 v10, 0x3fb8aa3b, v9
	v_cmp_gt_f32_e32 vcc_lo, 0xc2fc0000, v10
	v_cndmask_b32_e64 v12, 0, 0x42800000, vcc_lo
	v_cndmask_b32_e64 v10, 1.0, 0x1f800000, vcc_lo
	s_delay_alu instid0(VALU_DEP_2) | instskip(NEXT) | instid1(VALU_DEP_1)
	v_fma_mix_f32 v12, v6, s3, v12 op_sel_hi:[1,0,0]
	v_exp_f32_e32 v12, v12
	s_waitcnt_depctr 0xfff
	v_fma_f32 v10, v12, v10, 1.0
	s_delay_alu instid0(VALU_DEP_1) | instskip(SKIP_1) | instid1(VALU_DEP_1)
	v_cmp_gt_f32_e32 vcc_lo, 0x800000, v10
	v_cndmask_b32_e64 v12, 1.0, 0x4f800000, vcc_lo
	v_mul_f32_e32 v10, v10, v12
	v_cndmask_b32_e64 v12, 0, 0x42000000, vcc_lo
	v_cmp_lt_f16_e32 vcc_lo, 0x4d00, v6
	s_delay_alu instid0(VALU_DEP_3) | instskip(SKIP_2) | instid1(VALU_DEP_1)
	v_log_f32_e32 v10, v10
	s_waitcnt_depctr 0xfff
	v_sub_f32_e32 v10, v10, v12
	v_mul_f32_e32 v10, 0x3f317218, v10
	s_delay_alu instid0(VALU_DEP_1) | instskip(NEXT) | instid1(VALU_DEP_1)
	v_cndmask_b32_e32 v6, v10, v9, vcc_lo
	v_mul_f32_e32 v9, 0x4f800000, v6
	v_cmp_gt_f32_e32 vcc_lo, 0xf800000, v6
	s_delay_alu instid0(VALU_DEP_2) | instskip(NEXT) | instid1(VALU_DEP_1)
	v_cndmask_b32_e32 v6, v6, v9, vcc_lo
	v_sqrt_f32_e32 v9, v6
	s_waitcnt_depctr 0xfff
	v_add_nc_u32_e32 v10, -1, v9
	v_add_nc_u32_e32 v12, 1, v9
	s_delay_alu instid0(VALU_DEP_2) | instskip(NEXT) | instid1(VALU_DEP_2)
	v_fma_f32 v13, -v10, v9, v6
	v_fma_f32 v14, -v12, v9, v6
	s_delay_alu instid0(VALU_DEP_2) | instskip(NEXT) | instid1(VALU_DEP_1)
	v_cmp_ge_f32_e64 s2, 0, v13
	v_cndmask_b32_e64 v9, v9, v10, s2
	s_delay_alu instid0(VALU_DEP_3) | instskip(NEXT) | instid1(VALU_DEP_1)
	v_cmp_lt_f32_e64 s2, 0, v14
	v_cndmask_b32_e64 v9, v9, v12, s2
	s_delay_alu instid0(VALU_DEP_1) | instskip(NEXT) | instid1(VALU_DEP_1)
	v_mul_f32_e32 v10, 0x37800000, v9
	v_cndmask_b32_e32 v9, v9, v10, vcc_lo
	v_cmp_class_f32_e64 vcc_lo, v6, 0x260
	s_delay_alu instid0(VALU_DEP_2) | instskip(SKIP_1) | instid1(VALU_DEP_2)
	v_cndmask_b32_e32 v10, v9, v6, vcc_lo
	v_cmp_ne_u32_e32 vcc_lo, 1, v7
	v_mov_b32_e32 v6, v10
	s_cbranch_vccnz .LBB193_6
; %bb.5:
	global_load_u16 v6, v3, s[6:7] offset:128
	s_waitcnt vmcnt(0)
	v_lshlrev_b32_e32 v6, 16, v6
	s_delay_alu instid0(VALU_DEP_1)
	v_add_f32_e32 v6, v10, v6
.LBB193_6:
	global_load_u16 v1, v[1:2], off offset:192
	s_waitcnt vmcnt(0)
	v_cvt_f32_f16_e32 v2, v1
	s_delay_alu instid0(VALU_DEP_1) | instskip(NEXT) | instid1(VALU_DEP_1)
	v_mul_f32_e32 v9, 0x3fb8aa3b, v2
	v_cmp_gt_f32_e32 vcc_lo, 0xc2fc0000, v9
	v_cndmask_b32_e64 v12, 0, 0x42800000, vcc_lo
	v_cndmask_b32_e64 v9, 1.0, 0x1f800000, vcc_lo
	s_delay_alu instid0(VALU_DEP_2) | instskip(NEXT) | instid1(VALU_DEP_1)
	v_fma_mix_f32 v12, v1, s3, v12 op_sel_hi:[1,0,0]
	v_exp_f32_e32 v12, v12
	s_waitcnt_depctr 0xfff
	v_fma_f32 v9, v12, v9, 1.0
	s_delay_alu instid0(VALU_DEP_1) | instskip(SKIP_1) | instid1(VALU_DEP_1)
	v_cmp_gt_f32_e32 vcc_lo, 0x800000, v9
	v_cndmask_b32_e64 v12, 1.0, 0x4f800000, vcc_lo
	v_mul_f32_e32 v9, v9, v12
	v_cndmask_b32_e64 v12, 0, 0x42000000, vcc_lo
	v_cmp_lt_f16_e32 vcc_lo, 0x4d00, v1
	s_delay_alu instid0(VALU_DEP_3) | instskip(SKIP_2) | instid1(VALU_DEP_1)
	v_log_f32_e32 v9, v9
	s_waitcnt_depctr 0xfff
	v_sub_f32_e32 v9, v9, v12
	v_mul_f32_e32 v9, 0x3f317218, v9
	s_delay_alu instid0(VALU_DEP_1) | instskip(NEXT) | instid1(VALU_DEP_1)
	v_cndmask_b32_e32 v1, v9, v2, vcc_lo
	v_mul_f32_e32 v2, 0x4f800000, v1
	v_cmp_gt_f32_e32 vcc_lo, 0xf800000, v1
	s_delay_alu instid0(VALU_DEP_2) | instskip(NEXT) | instid1(VALU_DEP_1)
	v_cndmask_b32_e32 v1, v1, v2, vcc_lo
	v_sqrt_f32_e32 v2, v1
	s_waitcnt_depctr 0xfff
	v_add_nc_u32_e32 v9, -1, v2
	v_add_nc_u32_e32 v12, 1, v2
	s_delay_alu instid0(VALU_DEP_2) | instskip(NEXT) | instid1(VALU_DEP_2)
	v_fma_f32 v13, -v9, v2, v1
	v_fma_f32 v14, -v12, v2, v1
	s_delay_alu instid0(VALU_DEP_2) | instskip(NEXT) | instid1(VALU_DEP_1)
	v_cmp_ge_f32_e64 s2, 0, v13
	v_cndmask_b32_e64 v2, v2, v9, s2
	s_delay_alu instid0(VALU_DEP_3) | instskip(NEXT) | instid1(VALU_DEP_1)
	v_cmp_lt_f32_e64 s2, 0, v14
	v_cndmask_b32_e64 v2, v2, v12, s2
	s_delay_alu instid0(VALU_DEP_1) | instskip(NEXT) | instid1(VALU_DEP_1)
	v_mul_f32_e32 v9, 0x37800000, v2
	v_cndmask_b32_e32 v2, v2, v9, vcc_lo
	v_cmp_class_f32_e64 vcc_lo, v1, 0x260
	s_delay_alu instid0(VALU_DEP_2) | instskip(SKIP_1) | instid1(VALU_DEP_2)
	v_cndmask_b32_e32 v1, v2, v1, vcc_lo
	v_cmp_ne_u32_e32 vcc_lo, 1, v7
	v_mov_b32_e32 v2, v1
	s_cbranch_vccnz .LBB193_8
; %bb.7:
	global_load_u16 v2, v3, s[6:7] offset:192
	s_waitcnt vmcnt(0)
	v_lshlrev_b32_e32 v2, 16, v2
	s_delay_alu instid0(VALU_DEP_1)
	v_add_f32_e32 v2, v1, v2
.LBB193_8:
	v_cmp_lt_f32_e32 vcc_lo, v5, v11
	v_add_nc_u32_e32 v12, 32, v0
	v_add_nc_u32_e32 v14, 64, v0
	;; [unrolled: 1-line block ×3, first 2 shown]
	s_mov_b32 s2, exec_lo
	v_dual_cndmask_b32 v7, v8, v4 :: v_dual_mov_b32 v16, v6
	v_cndmask_b32_e32 v4, v4, v8, vcc_lo
	v_dual_cndmask_b32 v8, v11, v5 :: v_dual_cndmask_b32 v11, v5, v11
	v_cndmask_b32_e32 v9, v12, v0, vcc_lo
	v_cndmask_b32_e32 v13, v0, v12, vcc_lo
	v_cmpx_lt_f32_e32 v6, v2
	s_xor_b32 s2, exec_lo, s2
; %bb.9:
	v_mov_b32_e32 v15, v6
	v_mov_b32_e32 v5, v10
	;; [unrolled: 1-line block ×3, first 2 shown]
	v_swap_b32 v10, v1
	v_swap_b32 v14, v3
	v_mov_b32_e32 v6, v2
	v_mov_b32_e32 v16, v2
	v_mov_b32_e32 v2, v15
; %bb.10:
	s_or_b32 exec_lo, exec_lo, s2
	s_delay_alu instid0(VALU_DEP_3)
	v_cmp_lt_f32_e32 vcc_lo, v11, v6
	s_mov_b32 s2, exec_lo
	v_dual_cndmask_b32 v15, v10, v4 :: v_dual_cndmask_b32 v4, v4, v10
	v_dual_cndmask_b32 v12, v14, v13 :: v_dual_cndmask_b32 v5, v13, v14
	;; [unrolled: 1-line block ×3, first 2 shown]
	v_mov_b32_e32 v14, v8
	v_cmpx_lt_f32_e32 v8, v2
; %bb.11:
	v_mov_b32_e32 v16, v8
	v_dual_mov_b32 v10, v7 :: v_dual_mov_b32 v11, v9
	v_swap_b32 v7, v1
	v_swap_b32 v9, v3
	v_mov_b32_e32 v8, v2
	v_mov_b32_e32 v14, v2
	;; [unrolled: 1-line block ×3, first 2 shown]
; %bb.12:
	s_or_b32 exec_lo, exec_lo, s2
	s_clause 0x1
	s_load_b32 s8, s[0:1], 0x28
	s_load_b128 s[4:7], s[0:1], 0x10
	v_mov_b32_e32 v10, 0
	s_waitcnt lgkmcnt(0)
	s_cmp_lt_i32 s8, 1
	s_cbranch_scc1 .LBB193_18
; %bb.13:
	v_cmp_lt_f32_e32 vcc_lo, v8, v13
	v_mov_b32_e32 v17, v0
	s_mov_b32 s9, 0x76543210
	s_mov_b32 s10, s8
	v_dual_mov_b32 v10, 0 :: v_dual_cndmask_b32 v11, v12, v9
	v_cndmask_b32_e32 v9, v9, v12, vcc_lo
	v_dual_cndmask_b32 v12, v13, v8 :: v_dual_cndmask_b32 v13, v14, v13
	v_cndmask_b32_e32 v14, v15, v7, vcc_lo
	v_dual_cndmask_b32 v15, v7, v15 :: v_dual_mov_b32 v16, 0
	v_dual_mov_b32 v7, 0 :: v_dual_mov_b32 v8, 0
.LBB193_14:                             ; =>This Inner Loop Header: Depth=1
	s_delay_alu instid0(VALU_DEP_2) | instskip(SKIP_1) | instid1(VALU_DEP_4)
	v_cmp_eq_u32_e32 vcc_lo, 1, v16
	v_cmp_eq_u32_e64 s2, 2, v16
	v_dual_cndmask_b32 v19, v5, v9 :: v_dual_cndmask_b32 v20, v4, v15
	s_delay_alu instid0(VALU_DEP_1) | instskip(SKIP_2) | instid1(VALU_DEP_4)
	v_cndmask_b32_e64 v19, v19, v11, s2
	v_cndmask_b32_e32 v18, v6, v13, vcc_lo
	v_cmp_eq_u32_e32 vcc_lo, 3, v16
	v_cndmask_b32_e64 v20, v20, v14, s2
	s_delay_alu instid0(VALU_DEP_4) | instskip(NEXT) | instid1(VALU_DEP_4)
	v_cndmask_b32_e32 v19, v19, v3, vcc_lo
	v_cndmask_b32_e64 v18, v18, v12, s2
	v_cmp_gt_u32_e64 s2, 4, v16
	s_delay_alu instid0(VALU_DEP_2) | instskip(NEXT) | instid1(VALU_DEP_2)
	v_cndmask_b32_e32 v18, v18, v2, vcc_lo
	v_cndmask_b32_e64 v21, 0, v19, s2
	s_delay_alu instid0(VALU_DEP_2)
	v_cndmask_b32_e64 v18, 0xff800000, v18, s2
	;;#ASMSTART
	v_max_f32 v22, v18, v18 quad_perm:[1,0,3,2] row_mask:0xf bank_mask:0xf bound_ctrl:1
	;;#ASMEND
	;;#ASMSTART
	v_max_f32 v23, v22, v22 quad_perm:[2,3,0,1] row_mask:0xf bank_mask:0xf bound_ctrl:1
	;;#ASMEND
	;;#ASMSTART
	v_max_f32 v22, v23, v23 row_half_mirror row_mask:0xf bank_mask:0xf bound_ctrl:1
	;;#ASMEND
	;;#ASMSTART
	v_max_f32 v23, v22, v22 row_mirror row_mask:0xf bank_mask:0xf bound_ctrl:1
	;;#ASMEND
	v_permlanex16_b32 v22, v23, s9, 0xfedcba98 op_sel:[1,1]
	s_delay_alu instid0(VALU_DEP_1) | instskip(NEXT) | instid1(VALU_DEP_1)
	v_dual_max_f32 v23, v23, v23 :: v_dual_max_f32 v22, v22, v22
	v_max_f32_e32 v22, v23, v22
	s_delay_alu instid0(VALU_DEP_1) | instskip(SKIP_1) | instid1(VALU_DEP_2)
	v_cmp_eq_f32_e64 s3, v18, v22
	v_cndmask_b32_e32 v18, v20, v1, vcc_lo
	s_ctz_i32_b32 s11, s3
	s_cmp_lg_u32 s3, 0
	s_cselect_b32 s3, s11, 0
	s_add_i32 s10, s10, -1
	v_readlane_b32 s3, v21, s3
	s_delay_alu instid0(VALU_DEP_1)
	v_cmp_eq_u32_e32 vcc_lo, s3, v19
	s_and_b32 vcc_lo, s2, vcc_lo
	s_and_b32 s2, s3, 31
	v_cndmask_b32_e32 v18, 0, v18, vcc_lo
	v_add_co_ci_u32_e32 v16, vcc_lo, 0, v16, vcc_lo
	s_cmp_eq_u32 s10, 0
	s_delay_alu instid0(VALU_DEP_2) | instskip(SKIP_1) | instid1(VALU_DEP_2)
	v_readlane_b32 s11, v18, s2
	v_cmp_eq_u32_e64 s2, 0, v17
	v_dual_add_f32 v10, s11, v10 :: v_dual_add_nc_u32 v17, -1, v17
	s_delay_alu instid0(VALU_DEP_2)
	v_cndmask_b32_e64 v8, v8, s11, s2
	v_cndmask_b32_e64 v7, v7, s3, s2
	s_cbranch_scc0 .LBB193_14
; %bb.15:
	s_mov_b32 s2, exec_lo
	v_cmpx_gt_i32_e64 s8, v0
	s_cbranch_execz .LBB193_17
.LBB193_16:
	s_load_b32 s2, s[0:1], 0x30
	v_max_f32_e32 v1, v10, v10
	s_load_b64 s[0:1], s[0:1], 0x20
	s_ashr_i32 s3, s15, 31
	s_delay_alu instid0(VALU_DEP_1) | instskip(SKIP_1) | instid1(VALU_DEP_1)
	v_dual_max_f32 v1, 0x1e3ce508, v1 :: v_dual_lshlrev_b32 v0, 2, v0
	s_waitcnt lgkmcnt(0)
	v_div_scale_f32 v2, null, v1, v1, s2
	v_div_scale_f32 v5, vcc_lo, s2, v1, s2
	s_mul_i32 s1, s15, s1
	s_delay_alu instid0(VALU_DEP_2)
	v_rcp_f32_e32 v3, v2
	s_mul_hi_u32 s8, s15, s0
	s_mul_i32 s3, s3, s0
	s_add_i32 s1, s8, s1
	s_mul_i32 s0, s15, s0
	s_add_i32 s1, s1, s3
	s_delay_alu instid0(SALU_CYCLE_1) | instskip(SKIP_2) | instid1(VALU_DEP_1)
	s_lshl_b64 s[0:1], s[0:1], 2
	s_waitcnt_depctr 0xfff
	v_fma_f32 v4, -v2, v3, 1.0
	v_fmac_f32_e32 v3, v4, v3
	s_delay_alu instid0(VALU_DEP_1) | instskip(NEXT) | instid1(VALU_DEP_1)
	v_mul_f32_e32 v4, v5, v3
	v_fma_f32 v6, -v2, v4, v5
	s_delay_alu instid0(VALU_DEP_1) | instskip(NEXT) | instid1(VALU_DEP_1)
	v_fmac_f32_e32 v4, v6, v3
	v_fma_f32 v2, -v2, v4, v5
	s_delay_alu instid0(VALU_DEP_1) | instskip(NEXT) | instid1(VALU_DEP_1)
	v_div_fmas_f32 v2, v2, v3, v4
	v_div_fixup_f32 v1, v2, v1, s2
	s_add_u32 s2, s4, s0
	s_addc_u32 s3, s5, s1
	s_add_u32 s0, s6, s0
	s_addc_u32 s1, s7, s1
	v_mul_f32_e32 v1, v8, v1
	s_clause 0x1
	global_store_b32 v0, v1, s[2:3]
	global_store_b32 v0, v7, s[0:1]
.LBB193_17:
	s_nop 0
	s_sendmsg sendmsg(MSG_DEALLOC_VGPRS)
	s_endpgm
.LBB193_18:
	v_dual_mov_b32 v7, 0 :: v_dual_mov_b32 v8, 0
	s_mov_b32 s2, exec_lo
	v_cmpx_gt_i32_e64 s8, v0
	s_cbranch_execnz .LBB193_16
	s_branch .LBB193_17
	.section	.rodata,"a",@progbits
	.p2align	6, 0x0
	.amdhsa_kernel _ZN5aiter24topk_softplus_kernel_optI6__half12hip_bfloat16Li128ELb1ELi0EEEvPKT_PKT0_PfPimiif
		.amdhsa_group_segment_fixed_size 0
		.amdhsa_private_segment_fixed_size 0
		.amdhsa_kernarg_size 52
		.amdhsa_user_sgpr_count 15
		.amdhsa_user_sgpr_dispatch_ptr 0
		.amdhsa_user_sgpr_queue_ptr 0
		.amdhsa_user_sgpr_kernarg_segment_ptr 1
		.amdhsa_user_sgpr_dispatch_id 0
		.amdhsa_user_sgpr_private_segment_size 0
		.amdhsa_wavefront_size32 1
		.amdhsa_uses_dynamic_stack 0
		.amdhsa_enable_private_segment 0
		.amdhsa_system_sgpr_workgroup_id_x 1
		.amdhsa_system_sgpr_workgroup_id_y 0
		.amdhsa_system_sgpr_workgroup_id_z 0
		.amdhsa_system_sgpr_workgroup_info 0
		.amdhsa_system_vgpr_workitem_id 0
		.amdhsa_next_free_vgpr 24
		.amdhsa_next_free_sgpr 16
		.amdhsa_reserve_vcc 1
		.amdhsa_float_round_mode_32 0
		.amdhsa_float_round_mode_16_64 0
		.amdhsa_float_denorm_mode_32 3
		.amdhsa_float_denorm_mode_16_64 3
		.amdhsa_dx10_clamp 1
		.amdhsa_ieee_mode 1
		.amdhsa_fp16_overflow 0
		.amdhsa_workgroup_processor_mode 1
		.amdhsa_memory_ordered 1
		.amdhsa_forward_progress 0
		.amdhsa_shared_vgpr_count 0
		.amdhsa_exception_fp_ieee_invalid_op 0
		.amdhsa_exception_fp_denorm_src 0
		.amdhsa_exception_fp_ieee_div_zero 0
		.amdhsa_exception_fp_ieee_overflow 0
		.amdhsa_exception_fp_ieee_underflow 0
		.amdhsa_exception_fp_ieee_inexact 0
		.amdhsa_exception_int_div_zero 0
	.end_amdhsa_kernel
	.section	.text._ZN5aiter24topk_softplus_kernel_optI6__half12hip_bfloat16Li128ELb1ELi0EEEvPKT_PKT0_PfPimiif,"axG",@progbits,_ZN5aiter24topk_softplus_kernel_optI6__half12hip_bfloat16Li128ELb1ELi0EEEvPKT_PKT0_PfPimiif,comdat
.Lfunc_end193:
	.size	_ZN5aiter24topk_softplus_kernel_optI6__half12hip_bfloat16Li128ELb1ELi0EEEvPKT_PKT0_PfPimiif, .Lfunc_end193-_ZN5aiter24topk_softplus_kernel_optI6__half12hip_bfloat16Li128ELb1ELi0EEEvPKT_PKT0_PfPimiif
                                        ; -- End function
	.section	.AMDGPU.csdata,"",@progbits
; Kernel info:
; codeLenInByte = 2324
; NumSgprs: 18
; NumVgprs: 24
; ScratchSize: 0
; MemoryBound: 0
; FloatMode: 240
; IeeeMode: 1
; LDSByteSize: 0 bytes/workgroup (compile time only)
; SGPRBlocks: 2
; VGPRBlocks: 2
; NumSGPRsForWavesPerEU: 18
; NumVGPRsForWavesPerEU: 24
; Occupancy: 16
; WaveLimiterHint : 0
; COMPUTE_PGM_RSRC2:SCRATCH_EN: 0
; COMPUTE_PGM_RSRC2:USER_SGPR: 15
; COMPUTE_PGM_RSRC2:TRAP_HANDLER: 0
; COMPUTE_PGM_RSRC2:TGID_X_EN: 1
; COMPUTE_PGM_RSRC2:TGID_Y_EN: 0
; COMPUTE_PGM_RSRC2:TGID_Z_EN: 0
; COMPUTE_PGM_RSRC2:TIDIG_COMP_CNT: 0
	.section	.text._ZN5aiter24topk_softplus_kernel_optI6__half12hip_bfloat16Li128ELb0ELi0EEEvPKT_PKT0_PfPimiif,"axG",@progbits,_ZN5aiter24topk_softplus_kernel_optI6__half12hip_bfloat16Li128ELb0ELi0EEEvPKT_PKT0_PfPimiif,comdat
	.protected	_ZN5aiter24topk_softplus_kernel_optI6__half12hip_bfloat16Li128ELb0ELi0EEEvPKT_PKT0_PfPimiif ; -- Begin function _ZN5aiter24topk_softplus_kernel_optI6__half12hip_bfloat16Li128ELb0ELi0EEEvPKT_PKT0_PfPimiif
	.globl	_ZN5aiter24topk_softplus_kernel_optI6__half12hip_bfloat16Li128ELb0ELi0EEEvPKT_PKT0_PfPimiif
	.p2align	8
	.type	_ZN5aiter24topk_softplus_kernel_optI6__half12hip_bfloat16Li128ELb0ELi0EEEvPKT_PKT0_PfPimiif,@function
_ZN5aiter24topk_softplus_kernel_optI6__half12hip_bfloat16Li128ELb0ELi0EEEvPKT_PKT0_PfPimiif: ; @_ZN5aiter24topk_softplus_kernel_optI6__half12hip_bfloat16Li128ELb0ELi0EEEvPKT_PKT0_PfPimiif
; %bb.0:
	s_load_b128 s[4:7], s[0:1], 0x0
	s_lshl_b32 s2, s15, 7
	v_lshlrev_b32_e32 v3, 1, v0
	s_ashr_i32 s3, s2, 31
	s_delay_alu instid0(SALU_CYCLE_1)
	s_lshl_b64 s[2:3], s[2:3], 1
	s_waitcnt lgkmcnt(0)
	s_add_u32 s8, s4, s2
	s_addc_u32 s9, s5, s3
	s_mov_b32 s4, 0x3fb8aa3b
	global_load_u16 v1, v3, s[8:9]
	s_cmp_lg_u64 s[6:7], 0
	s_cselect_b32 s3, -1, 0
	s_waitcnt vmcnt(0)
	v_cvt_f32_f16_e32 v2, v1
	s_delay_alu instid0(VALU_DEP_1) | instskip(NEXT) | instid1(VALU_DEP_1)
	v_mul_f32_e32 v4, 0x3fb8aa3b, v2
	v_cmp_gt_f32_e32 vcc_lo, 0xc2fc0000, v4
	v_cndmask_b32_e64 v4, 0, 0x42800000, vcc_lo
	v_cndmask_b32_e64 v5, 1.0, 0x1f800000, vcc_lo
	s_delay_alu instid0(VALU_DEP_2) | instskip(NEXT) | instid1(VALU_DEP_1)
	v_fma_mix_f32 v4, v1, s4, v4 op_sel_hi:[1,0,0]
	v_exp_f32_e32 v4, v4
	s_waitcnt_depctr 0xfff
	v_fma_f32 v4, v4, v5, 1.0
	s_delay_alu instid0(VALU_DEP_1) | instskip(SKIP_1) | instid1(VALU_DEP_1)
	v_cmp_gt_f32_e32 vcc_lo, 0x800000, v4
	v_cndmask_b32_e64 v5, 1.0, 0x4f800000, vcc_lo
	v_mul_f32_e32 v4, v4, v5
	v_cndmask_b32_e64 v5, 0, 0x42000000, vcc_lo
	v_cmp_lt_f16_e32 vcc_lo, 0x4d00, v1
	s_delay_alu instid0(VALU_DEP_3) | instskip(SKIP_2) | instid1(VALU_DEP_1)
	v_log_f32_e32 v4, v4
	s_waitcnt_depctr 0xfff
	v_sub_f32_e32 v4, v4, v5
	v_mul_f32_e32 v4, 0x3f317218, v4
	s_delay_alu instid0(VALU_DEP_1) | instskip(NEXT) | instid1(VALU_DEP_1)
	v_cndmask_b32_e32 v1, v4, v2, vcc_lo
	v_mul_f32_e32 v2, 0x4f800000, v1
	v_cmp_gt_f32_e32 vcc_lo, 0xf800000, v1
	s_delay_alu instid0(VALU_DEP_2) | instskip(NEXT) | instid1(VALU_DEP_1)
	v_cndmask_b32_e32 v1, v1, v2, vcc_lo
	v_sqrt_f32_e32 v2, v1
	s_waitcnt_depctr 0xfff
	v_add_nc_u32_e32 v4, -1, v2
	v_add_nc_u32_e32 v5, 1, v2
	s_delay_alu instid0(VALU_DEP_2) | instskip(NEXT) | instid1(VALU_DEP_2)
	v_fma_f32 v6, -v4, v2, v1
	v_fma_f32 v7, -v5, v2, v1
	s_delay_alu instid0(VALU_DEP_2) | instskip(NEXT) | instid1(VALU_DEP_1)
	v_cmp_ge_f32_e64 s2, 0, v6
	v_cndmask_b32_e64 v2, v2, v4, s2
	s_delay_alu instid0(VALU_DEP_3) | instskip(NEXT) | instid1(VALU_DEP_1)
	v_cmp_lt_f32_e64 s2, 0, v7
	v_cndmask_b32_e64 v2, v2, v5, s2
	s_delay_alu instid0(VALU_DEP_1) | instskip(NEXT) | instid1(VALU_DEP_1)
	v_mul_f32_e32 v4, 0x37800000, v2
	v_cndmask_b32_e32 v2, v2, v4, vcc_lo
	v_cmp_class_f32_e64 vcc_lo, v1, 0x260
	s_delay_alu instid0(VALU_DEP_2) | instskip(SKIP_1) | instid1(VALU_DEP_1)
	v_cndmask_b32_e32 v4, v2, v1, vcc_lo
	v_add_co_u32 v1, s2, s8, v3
	v_add_co_ci_u32_e64 v2, null, s9, 0, s2
	s_delay_alu instid0(VALU_DEP_3)
	v_mov_b32_e32 v5, v4
	s_and_b32 vcc_lo, exec_lo, s3
	s_cbranch_vccz .LBB194_2
; %bb.1:
	global_load_u16 v5, v3, s[6:7]
	s_waitcnt vmcnt(0)
	v_lshlrev_b32_e32 v5, 16, v5
	s_delay_alu instid0(VALU_DEP_1)
	v_add_f32_e32 v5, v4, v5
.LBB194_2:
	global_load_u16 v6, v[1:2], off offset:64
	s_waitcnt vmcnt(0)
	v_cvt_f32_f16_e32 v7, v6
	s_delay_alu instid0(VALU_DEP_1) | instskip(NEXT) | instid1(VALU_DEP_1)
	v_mul_f32_e32 v8, 0x3fb8aa3b, v7
	v_cmp_gt_f32_e32 vcc_lo, 0xc2fc0000, v8
	v_cndmask_b32_e64 v9, 0, 0x42800000, vcc_lo
	v_cndmask_b32_e64 v8, 1.0, 0x1f800000, vcc_lo
	s_delay_alu instid0(VALU_DEP_2) | instskip(NEXT) | instid1(VALU_DEP_1)
	v_fma_mix_f32 v9, v6, s4, v9 op_sel_hi:[1,0,0]
	v_exp_f32_e32 v9, v9
	s_waitcnt_depctr 0xfff
	v_fma_f32 v8, v9, v8, 1.0
	s_delay_alu instid0(VALU_DEP_1) | instskip(SKIP_1) | instid1(VALU_DEP_1)
	v_cmp_gt_f32_e32 vcc_lo, 0x800000, v8
	v_cndmask_b32_e64 v9, 1.0, 0x4f800000, vcc_lo
	v_mul_f32_e32 v8, v8, v9
	v_cndmask_b32_e64 v9, 0, 0x42000000, vcc_lo
	v_cmp_lt_f16_e32 vcc_lo, 0x4d00, v6
	s_delay_alu instid0(VALU_DEP_3) | instskip(SKIP_2) | instid1(VALU_DEP_1)
	v_log_f32_e32 v8, v8
	s_waitcnt_depctr 0xfff
	v_sub_f32_e32 v8, v8, v9
	v_mul_f32_e32 v8, 0x3f317218, v8
	s_delay_alu instid0(VALU_DEP_1) | instskip(NEXT) | instid1(VALU_DEP_1)
	v_cndmask_b32_e32 v6, v8, v7, vcc_lo
	v_mul_f32_e32 v7, 0x4f800000, v6
	v_cmp_gt_f32_e32 vcc_lo, 0xf800000, v6
	s_delay_alu instid0(VALU_DEP_2) | instskip(NEXT) | instid1(VALU_DEP_1)
	v_cndmask_b32_e32 v6, v6, v7, vcc_lo
	v_sqrt_f32_e32 v7, v6
	s_waitcnt_depctr 0xfff
	v_add_nc_u32_e32 v8, -1, v7
	v_add_nc_u32_e32 v9, 1, v7
	s_delay_alu instid0(VALU_DEP_2) | instskip(NEXT) | instid1(VALU_DEP_2)
	v_fma_f32 v10, -v8, v7, v6
	v_fma_f32 v11, -v9, v7, v6
	s_delay_alu instid0(VALU_DEP_2) | instskip(NEXT) | instid1(VALU_DEP_1)
	v_cmp_ge_f32_e64 s2, 0, v10
	v_cndmask_b32_e64 v7, v7, v8, s2
	s_delay_alu instid0(VALU_DEP_3) | instskip(NEXT) | instid1(VALU_DEP_1)
	v_cmp_lt_f32_e64 s2, 0, v11
	v_cndmask_b32_e64 v7, v7, v9, s2
	s_delay_alu instid0(VALU_DEP_1) | instskip(NEXT) | instid1(VALU_DEP_1)
	v_mul_f32_e32 v8, 0x37800000, v7
	v_cndmask_b32_e32 v8, v7, v8, vcc_lo
	v_cmp_class_f32_e64 vcc_lo, v6, 0x260
	v_cndmask_b32_e64 v7, 0, 1, s3
	s_delay_alu instid0(VALU_DEP_3) | instskip(SKIP_1) | instid1(VALU_DEP_1)
	v_cndmask_b32_e32 v8, v8, v6, vcc_lo
	s_and_not1_b32 vcc_lo, exec_lo, s3
	v_mov_b32_e32 v11, v8
	s_cbranch_vccnz .LBB194_4
; %bb.3:
	global_load_u16 v6, v3, s[6:7] offset:64
	s_waitcnt vmcnt(0)
	v_lshlrev_b32_e32 v6, 16, v6
	s_delay_alu instid0(VALU_DEP_1)
	v_add_f32_e32 v11, v8, v6
.LBB194_4:
	global_load_u16 v6, v[1:2], off offset:128
	s_mov_b32 s3, 0x3fb8aa3b
	s_waitcnt vmcnt(0)
	v_cvt_f32_f16_e32 v9, v6
	s_delay_alu instid0(VALU_DEP_1) | instskip(NEXT) | instid1(VALU_DEP_1)
	v_mul_f32_e32 v10, 0x3fb8aa3b, v9
	v_cmp_gt_f32_e32 vcc_lo, 0xc2fc0000, v10
	v_cndmask_b32_e64 v12, 0, 0x42800000, vcc_lo
	v_cndmask_b32_e64 v10, 1.0, 0x1f800000, vcc_lo
	s_delay_alu instid0(VALU_DEP_2) | instskip(NEXT) | instid1(VALU_DEP_1)
	v_fma_mix_f32 v12, v6, s3, v12 op_sel_hi:[1,0,0]
	v_exp_f32_e32 v12, v12
	s_waitcnt_depctr 0xfff
	v_fma_f32 v10, v12, v10, 1.0
	s_delay_alu instid0(VALU_DEP_1) | instskip(SKIP_1) | instid1(VALU_DEP_1)
	v_cmp_gt_f32_e32 vcc_lo, 0x800000, v10
	v_cndmask_b32_e64 v12, 1.0, 0x4f800000, vcc_lo
	v_mul_f32_e32 v10, v10, v12
	v_cndmask_b32_e64 v12, 0, 0x42000000, vcc_lo
	v_cmp_lt_f16_e32 vcc_lo, 0x4d00, v6
	s_delay_alu instid0(VALU_DEP_3) | instskip(SKIP_2) | instid1(VALU_DEP_1)
	v_log_f32_e32 v10, v10
	s_waitcnt_depctr 0xfff
	v_sub_f32_e32 v10, v10, v12
	v_mul_f32_e32 v10, 0x3f317218, v10
	s_delay_alu instid0(VALU_DEP_1) | instskip(NEXT) | instid1(VALU_DEP_1)
	v_cndmask_b32_e32 v6, v10, v9, vcc_lo
	v_mul_f32_e32 v9, 0x4f800000, v6
	v_cmp_gt_f32_e32 vcc_lo, 0xf800000, v6
	s_delay_alu instid0(VALU_DEP_2) | instskip(NEXT) | instid1(VALU_DEP_1)
	v_cndmask_b32_e32 v6, v6, v9, vcc_lo
	v_sqrt_f32_e32 v9, v6
	s_waitcnt_depctr 0xfff
	v_add_nc_u32_e32 v10, -1, v9
	v_add_nc_u32_e32 v12, 1, v9
	s_delay_alu instid0(VALU_DEP_2) | instskip(NEXT) | instid1(VALU_DEP_2)
	v_fma_f32 v13, -v10, v9, v6
	v_fma_f32 v14, -v12, v9, v6
	s_delay_alu instid0(VALU_DEP_2) | instskip(NEXT) | instid1(VALU_DEP_1)
	v_cmp_ge_f32_e64 s2, 0, v13
	v_cndmask_b32_e64 v9, v9, v10, s2
	s_delay_alu instid0(VALU_DEP_3) | instskip(NEXT) | instid1(VALU_DEP_1)
	v_cmp_lt_f32_e64 s2, 0, v14
	v_cndmask_b32_e64 v9, v9, v12, s2
	s_delay_alu instid0(VALU_DEP_1) | instskip(NEXT) | instid1(VALU_DEP_1)
	v_mul_f32_e32 v10, 0x37800000, v9
	v_cndmask_b32_e32 v9, v9, v10, vcc_lo
	v_cmp_class_f32_e64 vcc_lo, v6, 0x260
	s_delay_alu instid0(VALU_DEP_2) | instskip(SKIP_1) | instid1(VALU_DEP_2)
	v_cndmask_b32_e32 v9, v9, v6, vcc_lo
	v_cmp_ne_u32_e32 vcc_lo, 1, v7
	v_mov_b32_e32 v6, v9
	s_cbranch_vccnz .LBB194_6
; %bb.5:
	global_load_u16 v6, v3, s[6:7] offset:128
	s_waitcnt vmcnt(0)
	v_lshlrev_b32_e32 v6, 16, v6
	s_delay_alu instid0(VALU_DEP_1)
	v_add_f32_e32 v6, v9, v6
.LBB194_6:
	global_load_u16 v1, v[1:2], off offset:192
	s_waitcnt vmcnt(0)
	v_cvt_f32_f16_e32 v2, v1
	s_delay_alu instid0(VALU_DEP_1) | instskip(NEXT) | instid1(VALU_DEP_1)
	v_mul_f32_e32 v10, 0x3fb8aa3b, v2
	v_cmp_gt_f32_e32 vcc_lo, 0xc2fc0000, v10
	v_cndmask_b32_e64 v12, 0, 0x42800000, vcc_lo
	v_cndmask_b32_e64 v10, 1.0, 0x1f800000, vcc_lo
	s_delay_alu instid0(VALU_DEP_2) | instskip(NEXT) | instid1(VALU_DEP_1)
	v_fma_mix_f32 v12, v1, s3, v12 op_sel_hi:[1,0,0]
	v_exp_f32_e32 v12, v12
	s_waitcnt_depctr 0xfff
	v_fma_f32 v10, v12, v10, 1.0
	s_delay_alu instid0(VALU_DEP_1) | instskip(SKIP_1) | instid1(VALU_DEP_1)
	v_cmp_gt_f32_e32 vcc_lo, 0x800000, v10
	v_cndmask_b32_e64 v12, 1.0, 0x4f800000, vcc_lo
	v_mul_f32_e32 v10, v10, v12
	v_cndmask_b32_e64 v12, 0, 0x42000000, vcc_lo
	v_cmp_lt_f16_e32 vcc_lo, 0x4d00, v1
	s_delay_alu instid0(VALU_DEP_3) | instskip(SKIP_2) | instid1(VALU_DEP_1)
	v_log_f32_e32 v10, v10
	s_waitcnt_depctr 0xfff
	v_sub_f32_e32 v10, v10, v12
	v_mul_f32_e32 v10, 0x3f317218, v10
	s_delay_alu instid0(VALU_DEP_1) | instskip(NEXT) | instid1(VALU_DEP_1)
	v_cndmask_b32_e32 v1, v10, v2, vcc_lo
	v_mul_f32_e32 v2, 0x4f800000, v1
	v_cmp_gt_f32_e32 vcc_lo, 0xf800000, v1
	s_delay_alu instid0(VALU_DEP_2) | instskip(NEXT) | instid1(VALU_DEP_1)
	v_cndmask_b32_e32 v1, v1, v2, vcc_lo
	v_sqrt_f32_e32 v2, v1
	s_waitcnt_depctr 0xfff
	v_add_nc_u32_e32 v10, -1, v2
	v_add_nc_u32_e32 v12, 1, v2
	s_delay_alu instid0(VALU_DEP_2) | instskip(NEXT) | instid1(VALU_DEP_2)
	v_fma_f32 v13, -v10, v2, v1
	v_fma_f32 v14, -v12, v2, v1
	s_delay_alu instid0(VALU_DEP_2) | instskip(NEXT) | instid1(VALU_DEP_1)
	v_cmp_ge_f32_e64 s2, 0, v13
	v_cndmask_b32_e64 v2, v2, v10, s2
	s_delay_alu instid0(VALU_DEP_3) | instskip(NEXT) | instid1(VALU_DEP_1)
	v_cmp_lt_f32_e64 s2, 0, v14
	v_cndmask_b32_e64 v2, v2, v12, s2
	s_delay_alu instid0(VALU_DEP_1) | instskip(NEXT) | instid1(VALU_DEP_1)
	v_mul_f32_e32 v10, 0x37800000, v2
	v_cndmask_b32_e32 v2, v2, v10, vcc_lo
	v_cmp_class_f32_e64 vcc_lo, v1, 0x260
	s_delay_alu instid0(VALU_DEP_2) | instskip(SKIP_1) | instid1(VALU_DEP_2)
	v_cndmask_b32_e32 v1, v2, v1, vcc_lo
	v_cmp_ne_u32_e32 vcc_lo, 1, v7
	v_mov_b32_e32 v2, v1
	s_cbranch_vccnz .LBB194_8
; %bb.7:
	global_load_u16 v2, v3, s[6:7] offset:192
	s_waitcnt vmcnt(0)
	v_lshlrev_b32_e32 v2, 16, v2
	s_delay_alu instid0(VALU_DEP_1)
	v_add_f32_e32 v2, v1, v2
.LBB194_8:
	v_cmp_lt_f32_e32 vcc_lo, v5, v11
	v_add_nc_u32_e32 v12, 32, v0
	v_add_nc_u32_e32 v15, 64, v0
	v_dual_mov_b32 v16, v6 :: v_dual_add_nc_u32 v3, 0x60, v0
	v_cndmask_b32_e32 v7, v8, v4, vcc_lo
	v_cndmask_b32_e32 v4, v4, v8, vcc_lo
	v_dual_cndmask_b32 v8, v11, v5 :: v_dual_cndmask_b32 v13, v5, v11
	v_cndmask_b32_e32 v10, v12, v0, vcc_lo
	v_cndmask_b32_e32 v12, v0, v12, vcc_lo
	s_mov_b32 s2, exec_lo
	v_cmpx_lt_f32_e32 v6, v2
	s_xor_b32 s2, exec_lo, s2
; %bb.9:
	v_dual_mov_b32 v5, v9 :: v_dual_mov_b32 v14, v6
	v_dual_mov_b32 v11, v15 :: v_dual_mov_b32 v6, v2
	v_swap_b32 v9, v1
	v_swap_b32 v15, v3
	v_mov_b32_e32 v16, v2
	v_mov_b32_e32 v2, v14
; %bb.10:
	s_or_b32 exec_lo, exec_lo, s2
	v_cmp_lt_f32_e32 vcc_lo, v13, v6
	s_mov_b32 s2, exec_lo
	v_dual_cndmask_b32 v14, v9, v4 :: v_dual_cndmask_b32 v5, v12, v15
	v_dual_cndmask_b32 v4, v4, v9 :: v_dual_cndmask_b32 v11, v15, v12
	v_cndmask_b32_e32 v12, v16, v13, vcc_lo
	v_dual_cndmask_b32 v6, v13, v6 :: v_dual_mov_b32 v13, v8
	v_cmpx_lt_f32_e32 v8, v2
; %bb.11:
	v_mov_b32_e32 v15, v8
	v_dual_mov_b32 v9, v7 :: v_dual_mov_b32 v8, v2
	v_mov_b32_e32 v13, v10
	v_swap_b32 v7, v1
	v_swap_b32 v10, v3
	v_dual_mov_b32 v13, v2 :: v_dual_mov_b32 v2, v15
; %bb.12:
	s_or_b32 exec_lo, exec_lo, s2
	s_clause 0x1
	s_load_b32 s8, s[0:1], 0x28
	s_load_b128 s[4:7], s[0:1], 0x10
	s_waitcnt lgkmcnt(0)
	s_cmp_lt_i32 s8, 1
	s_cbranch_scc1 .LBB194_18
; %bb.13:
	v_cmp_lt_f32_e32 vcc_lo, v8, v12
	v_dual_mov_b32 v15, 0 :: v_dual_mov_b32 v16, v0
	s_mov_b32 s9, 0x76543210
	s_mov_b32 s10, s8
	v_dual_cndmask_b32 v9, v11, v10 :: v_dual_cndmask_b32 v10, v10, v11
	v_cndmask_b32_e32 v11, v12, v8, vcc_lo
	v_dual_cndmask_b32 v12, v13, v12 :: v_dual_cndmask_b32 v13, v14, v7
	v_cndmask_b32_e32 v14, v7, v14, vcc_lo
	v_dual_mov_b32 v8, 0 :: v_dual_mov_b32 v7, 0
.LBB194_14:                             ; =>This Inner Loop Header: Depth=1
	v_cmp_eq_u32_e32 vcc_lo, 1, v15
	v_cmp_eq_u32_e64 s2, 2, v15
	v_cmp_gt_u32_e64 s3, 4, v15
	v_dual_cndmask_b32 v17, v6, v12 :: v_dual_cndmask_b32 v18, v5, v10
	v_cndmask_b32_e32 v19, v4, v14, vcc_lo
	v_cmp_eq_u32_e32 vcc_lo, 3, v15
	s_delay_alu instid0(VALU_DEP_3) | instskip(NEXT) | instid1(VALU_DEP_4)
	v_cndmask_b32_e64 v17, v17, v11, s2
	v_cndmask_b32_e64 v18, v18, v9, s2
	s_delay_alu instid0(VALU_DEP_1) | instskip(NEXT) | instid1(VALU_DEP_1)
	v_dual_cndmask_b32 v17, v17, v2 :: v_dual_cndmask_b32 v18, v18, v3
	v_cndmask_b32_e64 v17, 0xff800000, v17, s3
	;;#ASMSTART
	v_max_f32 v20, v17, v17 quad_perm:[1,0,3,2] row_mask:0xf bank_mask:0xf bound_ctrl:1
	;;#ASMEND
	;;#ASMSTART
	v_max_f32 v21, v20, v20 quad_perm:[2,3,0,1] row_mask:0xf bank_mask:0xf bound_ctrl:1
	;;#ASMEND
	;;#ASMSTART
	v_max_f32 v20, v21, v21 row_half_mirror row_mask:0xf bank_mask:0xf bound_ctrl:1
	;;#ASMEND
	;;#ASMSTART
	v_max_f32 v21, v20, v20 row_mirror row_mask:0xf bank_mask:0xf bound_ctrl:1
	;;#ASMEND
	v_permlanex16_b32 v20, v21, s9, 0xfedcba98 op_sel:[1,1]
	s_delay_alu instid0(VALU_DEP_1) | instskip(NEXT) | instid1(VALU_DEP_1)
	v_dual_max_f32 v21, v21, v21 :: v_dual_max_f32 v20, v20, v20
	v_max_f32_e32 v20, v21, v20
	v_cndmask_b32_e64 v19, v19, v13, s2
	s_delay_alu instid0(VALU_DEP_2) | instskip(SKIP_1) | instid1(VALU_DEP_2)
	v_cmp_eq_f32_e64 s2, v17, v20
	v_cndmask_b32_e64 v17, 0, v18, s3
	s_ctz_i32_b32 s11, s2
	s_cmp_lg_u32 s2, 0
	s_cselect_b32 s2, s11, 0
	s_add_i32 s10, s10, -1
	v_readlane_b32 s11, v17, s2
	v_cndmask_b32_e32 v17, v19, v1, vcc_lo
	s_delay_alu instid0(VALU_DEP_2)
	v_cmp_eq_u32_e32 vcc_lo, s11, v18
	s_and_b32 s2, s11, 31
	s_and_b32 vcc_lo, s3, vcc_lo
	s_cmp_eq_u32 s10, 0
	v_cndmask_b32_e32 v17, 0, v17, vcc_lo
	v_add_co_ci_u32_e32 v15, vcc_lo, 0, v15, vcc_lo
	s_delay_alu instid0(VALU_DEP_2) | instskip(SKIP_2) | instid1(VALU_DEP_2)
	v_readlane_b32 s3, v17, s2
	v_cmp_eq_u32_e64 s2, 0, v16
	v_add_nc_u32_e32 v16, -1, v16
	v_cndmask_b32_e64 v8, v8, s3, s2
	v_cndmask_b32_e64 v7, v7, s11, s2
	s_cbranch_scc0 .LBB194_14
; %bb.15:
	s_mov_b32 s2, exec_lo
	v_cmpx_gt_i32_e64 s8, v0
	s_cbranch_execz .LBB194_17
.LBB194_16:
	s_clause 0x1
	s_load_b64 s[2:3], s[0:1], 0x20
	s_load_b32 s8, s[0:1], 0x30
	s_ashr_i32 s0, s15, 31
	v_lshlrev_b32_e32 v0, 2, v0
	s_waitcnt lgkmcnt(0)
	s_mul_i32 s1, s15, s3
	s_mul_hi_u32 s3, s15, s2
	s_mul_i32 s0, s0, s2
	s_add_i32 s1, s3, s1
	v_mul_f32_e32 v1, s8, v8
	s_add_i32 s1, s1, s0
	s_mul_i32 s0, s15, s2
	s_delay_alu instid0(SALU_CYCLE_1) | instskip(NEXT) | instid1(SALU_CYCLE_1)
	s_lshl_b64 s[0:1], s[0:1], 2
	s_add_u32 s2, s4, s0
	s_addc_u32 s3, s5, s1
	s_add_u32 s0, s6, s0
	s_addc_u32 s1, s7, s1
	s_clause 0x1
	global_store_b32 v0, v1, s[2:3]
	global_store_b32 v0, v7, s[0:1]
.LBB194_17:
	s_nop 0
	s_sendmsg sendmsg(MSG_DEALLOC_VGPRS)
	s_endpgm
.LBB194_18:
	v_dual_mov_b32 v7, 0 :: v_dual_mov_b32 v8, 0
	s_mov_b32 s2, exec_lo
	v_cmpx_gt_i32_e64 s8, v0
	s_cbranch_execnz .LBB194_16
	s_branch .LBB194_17
	.section	.rodata,"a",@progbits
	.p2align	6, 0x0
	.amdhsa_kernel _ZN5aiter24topk_softplus_kernel_optI6__half12hip_bfloat16Li128ELb0ELi0EEEvPKT_PKT0_PfPimiif
		.amdhsa_group_segment_fixed_size 0
		.amdhsa_private_segment_fixed_size 0
		.amdhsa_kernarg_size 52
		.amdhsa_user_sgpr_count 15
		.amdhsa_user_sgpr_dispatch_ptr 0
		.amdhsa_user_sgpr_queue_ptr 0
		.amdhsa_user_sgpr_kernarg_segment_ptr 1
		.amdhsa_user_sgpr_dispatch_id 0
		.amdhsa_user_sgpr_private_segment_size 0
		.amdhsa_wavefront_size32 1
		.amdhsa_uses_dynamic_stack 0
		.amdhsa_enable_private_segment 0
		.amdhsa_system_sgpr_workgroup_id_x 1
		.amdhsa_system_sgpr_workgroup_id_y 0
		.amdhsa_system_sgpr_workgroup_id_z 0
		.amdhsa_system_sgpr_workgroup_info 0
		.amdhsa_system_vgpr_workitem_id 0
		.amdhsa_next_free_vgpr 22
		.amdhsa_next_free_sgpr 16
		.amdhsa_reserve_vcc 1
		.amdhsa_float_round_mode_32 0
		.amdhsa_float_round_mode_16_64 0
		.amdhsa_float_denorm_mode_32 3
		.amdhsa_float_denorm_mode_16_64 3
		.amdhsa_dx10_clamp 1
		.amdhsa_ieee_mode 1
		.amdhsa_fp16_overflow 0
		.amdhsa_workgroup_processor_mode 1
		.amdhsa_memory_ordered 1
		.amdhsa_forward_progress 0
		.amdhsa_shared_vgpr_count 0
		.amdhsa_exception_fp_ieee_invalid_op 0
		.amdhsa_exception_fp_denorm_src 0
		.amdhsa_exception_fp_ieee_div_zero 0
		.amdhsa_exception_fp_ieee_overflow 0
		.amdhsa_exception_fp_ieee_underflow 0
		.amdhsa_exception_fp_ieee_inexact 0
		.amdhsa_exception_int_div_zero 0
	.end_amdhsa_kernel
	.section	.text._ZN5aiter24topk_softplus_kernel_optI6__half12hip_bfloat16Li128ELb0ELi0EEEvPKT_PKT0_PfPimiif,"axG",@progbits,_ZN5aiter24topk_softplus_kernel_optI6__half12hip_bfloat16Li128ELb0ELi0EEEvPKT_PKT0_PfPimiif,comdat
.Lfunc_end194:
	.size	_ZN5aiter24topk_softplus_kernel_optI6__half12hip_bfloat16Li128ELb0ELi0EEEvPKT_PKT0_PfPimiif, .Lfunc_end194-_ZN5aiter24topk_softplus_kernel_optI6__half12hip_bfloat16Li128ELb0ELi0EEEvPKT_PKT0_PfPimiif
                                        ; -- End function
	.section	.AMDGPU.csdata,"",@progbits
; Kernel info:
; codeLenInByte = 2188
; NumSgprs: 18
; NumVgprs: 22
; ScratchSize: 0
; MemoryBound: 0
; FloatMode: 240
; IeeeMode: 1
; LDSByteSize: 0 bytes/workgroup (compile time only)
; SGPRBlocks: 2
; VGPRBlocks: 2
; NumSGPRsForWavesPerEU: 18
; NumVGPRsForWavesPerEU: 22
; Occupancy: 16
; WaveLimiterHint : 0
; COMPUTE_PGM_RSRC2:SCRATCH_EN: 0
; COMPUTE_PGM_RSRC2:USER_SGPR: 15
; COMPUTE_PGM_RSRC2:TRAP_HANDLER: 0
; COMPUTE_PGM_RSRC2:TGID_X_EN: 1
; COMPUTE_PGM_RSRC2:TGID_Y_EN: 0
; COMPUTE_PGM_RSRC2:TGID_Z_EN: 0
; COMPUTE_PGM_RSRC2:TIDIG_COMP_CNT: 0
	.section	.text._ZN5aiter24topk_softplus_kernel_optI6__half12hip_bfloat16Li256ELb1ELi0EEEvPKT_PKT0_PfPimiif,"axG",@progbits,_ZN5aiter24topk_softplus_kernel_optI6__half12hip_bfloat16Li256ELb1ELi0EEEvPKT_PKT0_PfPimiif,comdat
	.protected	_ZN5aiter24topk_softplus_kernel_optI6__half12hip_bfloat16Li256ELb1ELi0EEEvPKT_PKT0_PfPimiif ; -- Begin function _ZN5aiter24topk_softplus_kernel_optI6__half12hip_bfloat16Li256ELb1ELi0EEEvPKT_PKT0_PfPimiif
	.globl	_ZN5aiter24topk_softplus_kernel_optI6__half12hip_bfloat16Li256ELb1ELi0EEEvPKT_PKT0_PfPimiif
	.p2align	8
	.type	_ZN5aiter24topk_softplus_kernel_optI6__half12hip_bfloat16Li256ELb1ELi0EEEvPKT_PKT0_PfPimiif,@function
_ZN5aiter24topk_softplus_kernel_optI6__half12hip_bfloat16Li256ELb1ELi0EEEvPKT_PKT0_PfPimiif: ; @_ZN5aiter24topk_softplus_kernel_optI6__half12hip_bfloat16Li256ELb1ELi0EEEvPKT_PKT0_PfPimiif
; %bb.0:
	s_load_b128 s[4:7], s[0:1], 0x0
	s_lshl_b32 s2, s15, 8
	v_lshlrev_b32_e32 v3, 1, v0
	s_ashr_i32 s3, s2, 31
	s_delay_alu instid0(SALU_CYCLE_1)
	s_lshl_b64 s[2:3], s[2:3], 1
	s_waitcnt lgkmcnt(0)
	s_add_u32 s8, s4, s2
	s_addc_u32 s9, s5, s3
	s_mov_b32 s4, 0x3fb8aa3b
	global_load_u16 v1, v3, s[8:9]
	s_cmp_lg_u64 s[6:7], 0
	s_cselect_b32 s3, -1, 0
	s_waitcnt vmcnt(0)
	v_cvt_f32_f16_e32 v2, v1
	s_delay_alu instid0(VALU_DEP_1) | instskip(NEXT) | instid1(VALU_DEP_1)
	v_mul_f32_e32 v4, 0x3fb8aa3b, v2
	v_cmp_gt_f32_e32 vcc_lo, 0xc2fc0000, v4
	v_cndmask_b32_e64 v4, 0, 0x42800000, vcc_lo
	v_cndmask_b32_e64 v5, 1.0, 0x1f800000, vcc_lo
	s_delay_alu instid0(VALU_DEP_2) | instskip(NEXT) | instid1(VALU_DEP_1)
	v_fma_mix_f32 v4, v1, s4, v4 op_sel_hi:[1,0,0]
	v_exp_f32_e32 v4, v4
	s_waitcnt_depctr 0xfff
	v_fma_f32 v4, v4, v5, 1.0
	s_delay_alu instid0(VALU_DEP_1) | instskip(SKIP_1) | instid1(VALU_DEP_1)
	v_cmp_gt_f32_e32 vcc_lo, 0x800000, v4
	v_cndmask_b32_e64 v5, 1.0, 0x4f800000, vcc_lo
	v_mul_f32_e32 v4, v4, v5
	v_cndmask_b32_e64 v5, 0, 0x42000000, vcc_lo
	v_cmp_lt_f16_e32 vcc_lo, 0x4d00, v1
	s_delay_alu instid0(VALU_DEP_3) | instskip(SKIP_2) | instid1(VALU_DEP_1)
	v_log_f32_e32 v4, v4
	s_waitcnt_depctr 0xfff
	v_sub_f32_e32 v4, v4, v5
	v_mul_f32_e32 v4, 0x3f317218, v4
	s_delay_alu instid0(VALU_DEP_1) | instskip(NEXT) | instid1(VALU_DEP_1)
	v_cndmask_b32_e32 v1, v4, v2, vcc_lo
	v_mul_f32_e32 v2, 0x4f800000, v1
	v_cmp_gt_f32_e32 vcc_lo, 0xf800000, v1
	s_delay_alu instid0(VALU_DEP_2) | instskip(NEXT) | instid1(VALU_DEP_1)
	v_cndmask_b32_e32 v1, v1, v2, vcc_lo
	v_sqrt_f32_e32 v2, v1
	s_waitcnt_depctr 0xfff
	v_add_nc_u32_e32 v4, -1, v2
	v_add_nc_u32_e32 v5, 1, v2
	s_delay_alu instid0(VALU_DEP_2) | instskip(NEXT) | instid1(VALU_DEP_2)
	v_fma_f32 v6, -v4, v2, v1
	v_fma_f32 v7, -v5, v2, v1
	s_delay_alu instid0(VALU_DEP_2) | instskip(NEXT) | instid1(VALU_DEP_1)
	v_cmp_ge_f32_e64 s2, 0, v6
	v_cndmask_b32_e64 v2, v2, v4, s2
	s_delay_alu instid0(VALU_DEP_3) | instskip(NEXT) | instid1(VALU_DEP_1)
	v_cmp_lt_f32_e64 s2, 0, v7
	v_cndmask_b32_e64 v2, v2, v5, s2
	s_delay_alu instid0(VALU_DEP_1) | instskip(NEXT) | instid1(VALU_DEP_1)
	v_mul_f32_e32 v4, 0x37800000, v2
	v_cndmask_b32_e32 v2, v2, v4, vcc_lo
	v_cmp_class_f32_e64 vcc_lo, v1, 0x260
	s_delay_alu instid0(VALU_DEP_2) | instskip(SKIP_1) | instid1(VALU_DEP_1)
	v_cndmask_b32_e32 v56, v2, v1, vcc_lo
	v_add_co_u32 v1, s2, s8, v3
	v_add_co_ci_u32_e64 v2, null, s9, 0, s2
	s_delay_alu instid0(VALU_DEP_3)
	v_mov_b32_e32 v24, v56
	s_and_b32 vcc_lo, exec_lo, s3
	s_cbranch_vccz .LBB195_2
; %bb.1:
	global_load_u16 v4, v3, s[6:7]
	s_waitcnt vmcnt(0)
	v_lshlrev_b32_e32 v4, 16, v4
	s_delay_alu instid0(VALU_DEP_1)
	v_add_f32_e32 v24, v56, v4
.LBB195_2:
	global_load_u16 v4, v[1:2], off offset:64
	s_waitcnt vmcnt(0)
	v_cvt_f32_f16_e32 v5, v4
	s_delay_alu instid0(VALU_DEP_1) | instskip(NEXT) | instid1(VALU_DEP_1)
	v_mul_f32_e32 v6, 0x3fb8aa3b, v5
	v_cmp_gt_f32_e32 vcc_lo, 0xc2fc0000, v6
	v_cndmask_b32_e64 v7, 0, 0x42800000, vcc_lo
	v_cndmask_b32_e64 v6, 1.0, 0x1f800000, vcc_lo
	s_delay_alu instid0(VALU_DEP_2) | instskip(NEXT) | instid1(VALU_DEP_1)
	v_fma_mix_f32 v7, v4, s4, v7 op_sel_hi:[1,0,0]
	v_exp_f32_e32 v7, v7
	s_waitcnt_depctr 0xfff
	v_fma_f32 v6, v7, v6, 1.0
	s_delay_alu instid0(VALU_DEP_1) | instskip(SKIP_1) | instid1(VALU_DEP_1)
	v_cmp_gt_f32_e32 vcc_lo, 0x800000, v6
	v_cndmask_b32_e64 v7, 1.0, 0x4f800000, vcc_lo
	v_mul_f32_e32 v6, v6, v7
	v_cndmask_b32_e64 v7, 0, 0x42000000, vcc_lo
	v_cmp_lt_f16_e32 vcc_lo, 0x4d00, v4
	s_delay_alu instid0(VALU_DEP_3) | instskip(SKIP_2) | instid1(VALU_DEP_1)
	v_log_f32_e32 v6, v6
	s_waitcnt_depctr 0xfff
	v_sub_f32_e32 v6, v6, v7
	v_mul_f32_e32 v6, 0x3f317218, v6
	s_delay_alu instid0(VALU_DEP_1) | instskip(NEXT) | instid1(VALU_DEP_1)
	v_cndmask_b32_e32 v4, v6, v5, vcc_lo
	v_mul_f32_e32 v5, 0x4f800000, v4
	v_cmp_gt_f32_e32 vcc_lo, 0xf800000, v4
	s_delay_alu instid0(VALU_DEP_2) | instskip(NEXT) | instid1(VALU_DEP_1)
	v_cndmask_b32_e32 v5, v4, v5, vcc_lo
	v_sqrt_f32_e32 v4, v5
	s_waitcnt_depctr 0xfff
	v_add_nc_u32_e32 v6, -1, v4
	v_add_nc_u32_e32 v7, 1, v4
	s_delay_alu instid0(VALU_DEP_2) | instskip(NEXT) | instid1(VALU_DEP_2)
	v_fma_f32 v8, -v6, v4, v5
	v_fma_f32 v9, -v7, v4, v5
	s_delay_alu instid0(VALU_DEP_2) | instskip(NEXT) | instid1(VALU_DEP_1)
	v_cmp_ge_f32_e64 s2, 0, v8
	v_cndmask_b32_e64 v4, v4, v6, s2
	s_delay_alu instid0(VALU_DEP_3) | instskip(NEXT) | instid1(VALU_DEP_1)
	v_cmp_lt_f32_e64 s2, 0, v9
	v_cndmask_b32_e64 v4, v4, v7, s2
	s_delay_alu instid0(VALU_DEP_1) | instskip(NEXT) | instid1(VALU_DEP_1)
	v_mul_f32_e32 v6, 0x37800000, v4
	v_cndmask_b32_e32 v6, v4, v6, vcc_lo
	v_cmp_class_f32_e64 vcc_lo, v5, 0x260
	v_cndmask_b32_e64 v4, 0, 1, s3
	s_delay_alu instid0(VALU_DEP_3) | instskip(SKIP_1) | instid1(VALU_DEP_1)
	v_cndmask_b32_e32 v9, v6, v5, vcc_lo
	s_and_not1_b32 vcc_lo, exec_lo, s3
	v_mov_b32_e32 v25, v9
	s_cbranch_vccnz .LBB195_4
; %bb.3:
	global_load_u16 v5, v3, s[6:7] offset:64
	s_waitcnt vmcnt(0)
	v_lshlrev_b32_e32 v5, 16, v5
	s_delay_alu instid0(VALU_DEP_1)
	v_add_f32_e32 v25, v9, v5
.LBB195_4:
	global_load_u16 v5, v[1:2], off offset:128
	s_mov_b32 s3, 0x3fb8aa3b
	s_waitcnt vmcnt(0)
	v_cvt_f32_f16_e32 v6, v5
	s_delay_alu instid0(VALU_DEP_1) | instskip(NEXT) | instid1(VALU_DEP_1)
	v_mul_f32_e32 v7, 0x3fb8aa3b, v6
	v_cmp_gt_f32_e32 vcc_lo, 0xc2fc0000, v7
	v_cndmask_b32_e64 v8, 0, 0x42800000, vcc_lo
	v_cndmask_b32_e64 v7, 1.0, 0x1f800000, vcc_lo
	s_delay_alu instid0(VALU_DEP_2) | instskip(NEXT) | instid1(VALU_DEP_1)
	v_fma_mix_f32 v8, v5, s3, v8 op_sel_hi:[1,0,0]
	v_exp_f32_e32 v8, v8
	s_waitcnt_depctr 0xfff
	v_fma_f32 v7, v8, v7, 1.0
	s_delay_alu instid0(VALU_DEP_1) | instskip(SKIP_1) | instid1(VALU_DEP_1)
	v_cmp_gt_f32_e32 vcc_lo, 0x800000, v7
	v_cndmask_b32_e64 v8, 1.0, 0x4f800000, vcc_lo
	v_mul_f32_e32 v7, v7, v8
	v_cndmask_b32_e64 v8, 0, 0x42000000, vcc_lo
	v_cmp_lt_f16_e32 vcc_lo, 0x4d00, v5
	s_delay_alu instid0(VALU_DEP_3) | instskip(SKIP_2) | instid1(VALU_DEP_1)
	v_log_f32_e32 v7, v7
	s_waitcnt_depctr 0xfff
	v_sub_f32_e32 v7, v7, v8
	v_mul_f32_e32 v7, 0x3f317218, v7
	s_delay_alu instid0(VALU_DEP_1) | instskip(NEXT) | instid1(VALU_DEP_1)
	v_cndmask_b32_e32 v5, v7, v6, vcc_lo
	v_mul_f32_e32 v6, 0x4f800000, v5
	v_cmp_gt_f32_e32 vcc_lo, 0xf800000, v5
	s_delay_alu instid0(VALU_DEP_2) | instskip(NEXT) | instid1(VALU_DEP_1)
	v_cndmask_b32_e32 v5, v5, v6, vcc_lo
	v_sqrt_f32_e32 v6, v5
	s_waitcnt_depctr 0xfff
	v_add_nc_u32_e32 v7, -1, v6
	v_add_nc_u32_e32 v8, 1, v6
	s_delay_alu instid0(VALU_DEP_2) | instskip(NEXT) | instid1(VALU_DEP_2)
	v_fma_f32 v10, -v7, v6, v5
	v_fma_f32 v11, -v8, v6, v5
	s_delay_alu instid0(VALU_DEP_2) | instskip(NEXT) | instid1(VALU_DEP_1)
	v_cmp_ge_f32_e64 s2, 0, v10
	v_cndmask_b32_e64 v6, v6, v7, s2
	s_delay_alu instid0(VALU_DEP_3) | instskip(NEXT) | instid1(VALU_DEP_1)
	v_cmp_lt_f32_e64 s2, 0, v11
	v_cndmask_b32_e64 v6, v6, v8, s2
	s_delay_alu instid0(VALU_DEP_1) | instskip(NEXT) | instid1(VALU_DEP_1)
	v_mul_f32_e32 v7, 0x37800000, v6
	v_cndmask_b32_e32 v6, v6, v7, vcc_lo
	v_cmp_class_f32_e64 vcc_lo, v5, 0x260
	s_delay_alu instid0(VALU_DEP_2) | instskip(SKIP_1) | instid1(VALU_DEP_2)
	v_cndmask_b32_e32 v10, v6, v5, vcc_lo
	v_cmp_ne_u32_e32 vcc_lo, 1, v4
	v_mov_b32_e32 v26, v10
	s_cbranch_vccnz .LBB195_6
; %bb.5:
	global_load_u16 v5, v3, s[6:7] offset:128
	s_waitcnt vmcnt(0)
	v_lshlrev_b32_e32 v5, 16, v5
	s_delay_alu instid0(VALU_DEP_1)
	v_add_f32_e32 v26, v10, v5
.LBB195_6:
	global_load_u16 v5, v[1:2], off offset:192
	s_waitcnt vmcnt(0)
	v_cvt_f32_f16_e32 v6, v5
	s_delay_alu instid0(VALU_DEP_1) | instskip(NEXT) | instid1(VALU_DEP_1)
	v_mul_f32_e32 v7, 0x3fb8aa3b, v6
	v_cmp_gt_f32_e32 vcc_lo, 0xc2fc0000, v7
	v_cndmask_b32_e64 v8, 0, 0x42800000, vcc_lo
	v_cndmask_b32_e64 v7, 1.0, 0x1f800000, vcc_lo
	s_delay_alu instid0(VALU_DEP_2) | instskip(NEXT) | instid1(VALU_DEP_1)
	v_fma_mix_f32 v8, v5, s3, v8 op_sel_hi:[1,0,0]
	v_exp_f32_e32 v8, v8
	s_waitcnt_depctr 0xfff
	v_fma_f32 v7, v8, v7, 1.0
	s_delay_alu instid0(VALU_DEP_1) | instskip(SKIP_1) | instid1(VALU_DEP_1)
	v_cmp_gt_f32_e32 vcc_lo, 0x800000, v7
	v_cndmask_b32_e64 v8, 1.0, 0x4f800000, vcc_lo
	v_mul_f32_e32 v7, v7, v8
	v_cndmask_b32_e64 v8, 0, 0x42000000, vcc_lo
	v_cmp_lt_f16_e32 vcc_lo, 0x4d00, v5
	s_delay_alu instid0(VALU_DEP_3) | instskip(SKIP_2) | instid1(VALU_DEP_1)
	v_log_f32_e32 v7, v7
	s_waitcnt_depctr 0xfff
	v_sub_f32_e32 v7, v7, v8
	v_mul_f32_e32 v7, 0x3f317218, v7
	s_delay_alu instid0(VALU_DEP_1) | instskip(NEXT) | instid1(VALU_DEP_1)
	v_cndmask_b32_e32 v5, v7, v6, vcc_lo
	v_mul_f32_e32 v6, 0x4f800000, v5
	v_cmp_gt_f32_e32 vcc_lo, 0xf800000, v5
	s_delay_alu instid0(VALU_DEP_2) | instskip(NEXT) | instid1(VALU_DEP_1)
	v_cndmask_b32_e32 v5, v5, v6, vcc_lo
	v_sqrt_f32_e32 v6, v5
	s_waitcnt_depctr 0xfff
	v_add_nc_u32_e32 v7, -1, v6
	v_add_nc_u32_e32 v8, 1, v6
	s_delay_alu instid0(VALU_DEP_2) | instskip(NEXT) | instid1(VALU_DEP_2)
	v_fma_f32 v11, -v7, v6, v5
	v_fma_f32 v12, -v8, v6, v5
	s_delay_alu instid0(VALU_DEP_2) | instskip(NEXT) | instid1(VALU_DEP_1)
	v_cmp_ge_f32_e64 s2, 0, v11
	v_cndmask_b32_e64 v6, v6, v7, s2
	s_delay_alu instid0(VALU_DEP_3) | instskip(NEXT) | instid1(VALU_DEP_1)
	v_cmp_lt_f32_e64 s2, 0, v12
	v_cndmask_b32_e64 v6, v6, v8, s2
	s_delay_alu instid0(VALU_DEP_1) | instskip(NEXT) | instid1(VALU_DEP_1)
	v_mul_f32_e32 v7, 0x37800000, v6
	v_cndmask_b32_e32 v6, v6, v7, vcc_lo
	v_cmp_class_f32_e64 vcc_lo, v5, 0x260
	s_delay_alu instid0(VALU_DEP_2) | instskip(SKIP_1) | instid1(VALU_DEP_2)
	v_cndmask_b32_e32 v11, v6, v5, vcc_lo
	v_cmp_ne_u32_e32 vcc_lo, 1, v4
	v_mov_b32_e32 v27, v11
	s_cbranch_vccnz .LBB195_8
; %bb.7:
	global_load_u16 v5, v3, s[6:7] offset:192
	s_waitcnt vmcnt(0)
	v_lshlrev_b32_e32 v5, 16, v5
	s_delay_alu instid0(VALU_DEP_1)
	v_add_f32_e32 v27, v11, v5
.LBB195_8:
	global_load_u16 v5, v[1:2], off offset:256
	;; [unrolled: 59-line block ×5, first 2 shown]
	s_waitcnt vmcnt(0)
	v_cvt_f32_f16_e32 v2, v1
	s_delay_alu instid0(VALU_DEP_1) | instskip(NEXT) | instid1(VALU_DEP_1)
	v_mul_f32_e32 v5, 0x3fb8aa3b, v2
	v_cmp_gt_f32_e32 vcc_lo, 0xc2fc0000, v5
	v_cndmask_b32_e64 v6, 0, 0x42800000, vcc_lo
	v_cndmask_b32_e64 v5, 1.0, 0x1f800000, vcc_lo
	s_delay_alu instid0(VALU_DEP_2) | instskip(NEXT) | instid1(VALU_DEP_1)
	v_fma_mix_f32 v6, v1, s3, v6 op_sel_hi:[1,0,0]
	v_exp_f32_e32 v6, v6
	s_waitcnt_depctr 0xfff
	v_fma_f32 v5, v6, v5, 1.0
	s_delay_alu instid0(VALU_DEP_1) | instskip(SKIP_1) | instid1(VALU_DEP_1)
	v_cmp_gt_f32_e32 vcc_lo, 0x800000, v5
	v_cndmask_b32_e64 v6, 1.0, 0x4f800000, vcc_lo
	v_mul_f32_e32 v5, v5, v6
	v_cndmask_b32_e64 v6, 0, 0x42000000, vcc_lo
	v_cmp_lt_f16_e32 vcc_lo, 0x4d00, v1
	s_delay_alu instid0(VALU_DEP_3) | instskip(SKIP_2) | instid1(VALU_DEP_1)
	v_log_f32_e32 v5, v5
	s_waitcnt_depctr 0xfff
	v_sub_f32_e32 v5, v5, v6
	v_mul_f32_e32 v5, 0x3f317218, v5
	s_delay_alu instid0(VALU_DEP_1) | instskip(NEXT) | instid1(VALU_DEP_1)
	v_cndmask_b32_e32 v1, v5, v2, vcc_lo
	v_mul_f32_e32 v2, 0x4f800000, v1
	v_cmp_gt_f32_e32 vcc_lo, 0xf800000, v1
	s_delay_alu instid0(VALU_DEP_2) | instskip(NEXT) | instid1(VALU_DEP_1)
	v_cndmask_b32_e32 v1, v1, v2, vcc_lo
	v_sqrt_f32_e32 v2, v1
	s_waitcnt_depctr 0xfff
	v_add_nc_u32_e32 v5, -1, v2
	v_add_nc_u32_e32 v6, 1, v2
	s_delay_alu instid0(VALU_DEP_2) | instskip(NEXT) | instid1(VALU_DEP_2)
	v_fma_f32 v7, -v5, v2, v1
	v_fma_f32 v8, -v6, v2, v1
	s_delay_alu instid0(VALU_DEP_2) | instskip(NEXT) | instid1(VALU_DEP_1)
	v_cmp_ge_f32_e64 s2, 0, v7
	v_cndmask_b32_e64 v2, v2, v5, s2
	s_delay_alu instid0(VALU_DEP_3) | instskip(NEXT) | instid1(VALU_DEP_1)
	v_cmp_lt_f32_e64 s2, 0, v8
	v_cndmask_b32_e64 v2, v2, v6, s2
	s_delay_alu instid0(VALU_DEP_1) | instskip(NEXT) | instid1(VALU_DEP_1)
	v_mul_f32_e32 v5, 0x37800000, v2
	v_cndmask_b32_e32 v2, v2, v5, vcc_lo
	v_cmp_class_f32_e64 vcc_lo, v1, 0x260
	s_delay_alu instid0(VALU_DEP_2)
	v_cndmask_b32_e32 v15, v2, v1, vcc_lo
	v_cmp_ne_u32_e32 vcc_lo, 1, v4
	s_cbranch_vccnz .LBB195_16
; %bb.15:
	global_load_u16 v1, v3, s[6:7] offset:448
	s_waitcnt vmcnt(0)
	v_lshlrev_b32_e32 v1, 16, v1
	s_delay_alu instid0(VALU_DEP_1)
	v_add_f32_e32 v31, v15, v1
	s_branch .LBB195_17
.LBB195_16:
	s_delay_alu instid0(VALU_DEP_2)
	v_mov_b32_e32 v31, v15
.LBB195_17:
	v_add_nc_u32_e32 v7, 0xe0, v0
	v_dual_mov_b32 v16, v24 :: v_dual_add_nc_u32 v1, 32, v0
	v_dual_mov_b32 v17, v25 :: v_dual_add_nc_u32 v2, 64, v0
	;; [unrolled: 1-line block ×6, first 2 shown]
	v_dual_mov_b32 v22, v30 :: v_dual_mov_b32 v39, v7
	s_delay_alu instid0(VALU_DEP_2)
	v_dual_mov_b32 v47, v7 :: v_dual_mov_b32 v46, v6
	v_dual_mov_b32 v71, v7 :: v_dual_mov_b32 v70, v6
	;; [unrolled: 1-line block ×16, first 2 shown]
	v_mov_b32_e32 v8, v56
	s_mov_b32 s2, exec_lo
	v_cmpx_lt_f32_e32 v24, v25
	s_xor_b32 s2, exec_lo, s2
	s_cbranch_execz .LBB195_19
; %bb.18:
	v_dual_mov_b32 v38, v6 :: v_dual_mov_b32 v39, v7
	v_dual_mov_b32 v32, v1 :: v_dual_mov_b32 v33, v0
	v_dual_mov_b32 v34, v2 :: v_dual_mov_b32 v35, v3
	v_dual_mov_b32 v36, v4 :: v_dual_mov_b32 v37, v5
	s_delay_alu instid0(VALU_DEP_4)
	v_dual_mov_b32 v47, v39 :: v_dual_mov_b32 v46, v38
	v_dual_mov_b32 v71, v39 :: v_dual_mov_b32 v70, v38
	;; [unrolled: 1-line block ×17, first 2 shown]
	v_mov_b32_e32 v9, v56
	v_mov_b32_e32 v1, v0
.LBB195_19:
	s_or_b32 exec_lo, exec_lo, s2
	v_dual_mov_b32 v63, v15 :: v_dual_mov_b32 v62, v14
	v_dual_mov_b32 v79, v15 :: v_dual_mov_b32 v78, v14
	;; [unrolled: 1-line block ×16, first 2 shown]
	v_mov_b32_e32 v24, v18
	s_mov_b32 s2, exec_lo
	v_cmpx_lt_f32_e32 v25, v18
	s_cbranch_execz .LBB195_21
; %bb.20:
	v_dual_mov_b32 v55, v39 :: v_dual_mov_b32 v54, v38
	v_dual_mov_b32 v51, v35 :: v_dual_mov_b32 v50, v34
	;; [unrolled: 1-line block ×16, first 2 shown]
	v_mov_b32_e32 v83, v11
	v_dual_mov_b32 v85, v93 :: v_dual_mov_b32 v86, v94
	v_dual_mov_b32 v87, v95 :: v_dual_mov_b32 v40, v64
	;; [unrolled: 1-line block ×3, first 2 shown]
	v_mov_b32_e32 v42, v66
	v_dual_mov_b32 v17, v18 :: v_dual_mov_b32 v72, v80
	v_dual_mov_b32 v41, v65 :: v_dual_mov_b32 v44, v68
	;; [unrolled: 1-line block ×10, first 2 shown]
	s_delay_alu instid0(VALU_DEP_2)
	v_dual_mov_b32 v56, v72 :: v_dual_mov_b32 v57, v73
	v_dual_mov_b32 v36, v44 :: v_dual_mov_b32 v37, v45
	;; [unrolled: 1-line block ×11, first 2 shown]
	v_mov_b32_e32 v2, v1
.LBB195_21:
	s_or_b32 exec_lo, exec_lo, s2
	v_mov_b32_e32 v1, v19
	s_mov_b32 s2, exec_lo
	v_cmpx_lt_f32_e32 v24, v19
	s_cbranch_execz .LBB195_23
; %bb.22:
	v_mov_b32_e32 v90, v11
	v_mov_b32_e32 v50, v3
	v_dual_mov_b32 v80, v88 :: v_dual_mov_b32 v81, v89
	v_dual_mov_b32 v71, v55 :: v_dual_mov_b32 v70, v54
	;; [unrolled: 1-line block ×3, first 2 shown]
	s_delay_alu instid0(VALU_DEP_4)
	v_dual_mov_b32 v83, v91 :: v_dual_mov_b32 v66, v50
	v_dual_mov_b32 v65, v49 :: v_dual_mov_b32 v68, v52
	;; [unrolled: 1-line block ×3, first 2 shown]
	v_mov_b32_e32 v67, v2
	v_dual_mov_b32 v82, v90 :: v_dual_mov_b32 v87, v95
	v_dual_mov_b32 v85, v93 :: v_dual_mov_b32 v86, v94
	;; [unrolled: 1-line block ×11, first 2 shown]
	v_mov_b32_e32 v44, v4
	v_dual_mov_b32 v56, v72 :: v_dual_mov_b32 v57, v73
	v_dual_mov_b32 v32, v40 :: v_dual_mov_b32 v35, v43
	;; [unrolled: 1-line block ×3, first 2 shown]
	s_delay_alu instid0(VALU_DEP_4)
	v_dual_mov_b32 v37, v45 :: v_dual_mov_b32 v36, v44
	v_dual_mov_b32 v39, v47 :: v_dual_mov_b32 v38, v46
	;; [unrolled: 1-line block ×3, first 2 shown]
	v_mov_b32_e32 v63, v79
	v_dual_mov_b32 v61, v77 :: v_dual_mov_b32 v62, v78
	v_mov_b32_e32 v39, v7
	v_dual_mov_b32 v18, v19 :: v_dual_mov_b32 v19, v24
	v_dual_mov_b32 v60, v76 :: v_dual_mov_b32 v37, v5
	;; [unrolled: 1-line block ×4, first 2 shown]
	v_mov_b32_e32 v1, v24
	v_mov_b32_e32 v11, v10
	;; [unrolled: 1-line block ×3, first 2 shown]
.LBB195_23:
	s_or_b32 exec_lo, exec_lo, s2
	v_mov_b32_e32 v2, v20
	s_mov_b32 s2, exec_lo
	v_cmpx_lt_f32_e32 v1, v20
	s_cbranch_execz .LBB195_25
; %bb.24:
	v_mov_b32_e32 v91, v12
	v_mov_b32_e32 v51, v4
	;; [unrolled: 1-line block ×4, first 2 shown]
	v_dual_mov_b32 v40, v48 :: v_dual_mov_b32 v41, v49
	v_dual_mov_b32 v42, v50 :: v_dual_mov_b32 v47, v55
	;; [unrolled: 1-line block ×4, first 2 shown]
	v_mov_b32_e32 v44, v3
	v_dual_mov_b32 v76, v11 :: v_dual_mov_b32 v19, v20
	v_dual_mov_b32 v45, v53 :: v_dual_mov_b32 v46, v54
	v_dual_mov_b32 v75, v91 :: v_dual_mov_b32 v78, v94
	v_dual_mov_b32 v79, v95 :: v_dual_mov_b32 v20, v1
	v_mov_b32_e32 v73, v89
	v_mov_b32_e32 v56, v72
	v_dual_mov_b32 v32, v40 :: v_dual_mov_b32 v33, v41
	v_dual_mov_b32 v60, v76 :: v_dual_mov_b32 v61, v77
	;; [unrolled: 1-line block ×9, first 2 shown]
	v_mov_b32_e32 v59, v75
	v_dual_mov_b32 v37, v5 :: v_dual_mov_b32 v38, v6
	v_dual_mov_b32 v39, v7 :: v_dual_mov_b32 v62, v14
	;; [unrolled: 1-line block ×10, first 2 shown]
	v_mov_b32_e32 v4, v3
.LBB195_25:
	s_or_b32 exec_lo, exec_lo, s2
	v_mov_b32_e32 v1, v21
	s_mov_b32 s2, exec_lo
	v_cmpx_lt_f32_e32 v2, v21
	s_cbranch_execz .LBB195_27
; %bb.26:
	v_mov_b32_e32 v68, v5
	v_dual_mov_b32 v20, v21 :: v_dual_mov_b32 v21, v2
	v_mov_b32_e32 v84, v13
	v_dual_mov_b32 v32, v64 :: v_dual_mov_b32 v33, v65
	v_dual_mov_b32 v39, v71 :: v_dual_mov_b32 v56, v80
	;; [unrolled: 1-line block ×7, first 2 shown]
	v_mov_b32_e32 v61, v12
	v_dual_mov_b32 v72, v80 :: v_dual_mov_b32 v73, v81
	v_dual_mov_b32 v40, v64 :: v_dual_mov_b32 v41, v65
	;; [unrolled: 1-line block ×9, first 2 shown]
	v_mov_b32_e32 v45, v69
	v_mov_b32_e32 v1, v2
	;; [unrolled: 1-line block ×3, first 2 shown]
	v_dual_mov_b32 v5, v4 :: v_dual_mov_b32 v78, v86
	v_dual_mov_b32 v79, v87 :: v_dual_mov_b32 v46, v70
	v_mov_b32_e32 v47, v71
.LBB195_27:
	s_or_b32 exec_lo, exec_lo, s2
	v_mov_b32_e32 v2, v22
	s_mov_b32 s2, exec_lo
	v_cmpx_lt_f32_e32 v1, v22
	s_cbranch_execz .LBB195_29
; %bb.28:
	v_dual_mov_b32 v77, v14 :: v_dual_mov_b32 v78, v13
	v_dual_mov_b32 v45, v6 :: v_dual_mov_b32 v46, v5
	v_mov_b32_e32 v79, v15
	v_dual_mov_b32 v21, v22 :: v_dual_mov_b32 v22, v1
	v_dual_mov_b32 v47, v7 :: v_dual_mov_b32 v56, v72
	v_dual_mov_b32 v61, v77 :: v_dual_mov_b32 v32, v40
	v_dual_mov_b32 v57, v73 :: v_dual_mov_b32 v58, v74
	v_dual_mov_b32 v59, v75 :: v_dual_mov_b32 v62, v78
	v_dual_mov_b32 v60, v76 :: v_dual_mov_b32 v63, v79
	v_dual_mov_b32 v34, v42 :: v_dual_mov_b32 v33, v41
	v_dual_mov_b32 v36, v44 :: v_dual_mov_b32 v35, v43
	v_dual_mov_b32 v38, v46 :: v_dual_mov_b32 v37, v45
	v_dual_mov_b32 v39, v47 :: v_dual_mov_b32 v2, v1
.LBB195_29:
	s_or_b32 exec_lo, exec_lo, s2
	s_delay_alu instid0(VALU_DEP_1)
	v_cmp_lt_f32_e32 vcc_lo, v2, v23
	v_mov_b32_e32 v43, v59
	v_cmp_lt_f32_e64 s2, v16, v17
	v_dual_mov_b32 v41, v57 :: v_dual_mov_b32 v42, v58
	v_dual_cndmask_b32 v9, v23, v2 :: v_dual_mov_b32 v44, v60
	v_dual_cndmask_b32 v22, v22, v23 :: v_dual_cndmask_b32 v47, v63, v62
	s_delay_alu instid0(VALU_DEP_2)
	v_dual_mov_b32 v40, v56 :: v_dual_mov_b32 v23, v9
	v_dual_cndmask_b32 v46, v62, v63 :: v_dual_mov_b32 v1, v16
	v_dual_mov_b32 v4, v19 :: v_dual_mov_b32 v45, v61
	v_dual_cndmask_b32 v54, v38, v39 :: v_dual_cndmask_b32 v55, v39, v38
	v_dual_mov_b32 v2, v17 :: v_dual_mov_b32 v3, v18
	v_dual_mov_b32 v6, v21 :: v_dual_mov_b32 v5, v20
	;; [unrolled: 1-line block ×6, first 2 shown]
	s_and_saveexec_b32 s3, s2
	s_delay_alu instid0(SALU_CYCLE_1)
	s_xor_b32 s2, exec_lo, s3
	s_cbranch_execz .LBB195_31
; %bb.30:
	v_dual_mov_b32 v2, v17 :: v_dual_mov_b32 v3, v16
	v_dual_mov_b32 v4, v18 :: v_dual_mov_b32 v5, v19
	;; [unrolled: 1-line block ×4, first 2 shown]
	s_delay_alu instid0(VALU_DEP_4)
	v_dual_mov_b32 v1, v2 :: v_dual_mov_b32 v40, v57
	v_dual_mov_b32 v2, v3 :: v_dual_mov_b32 v41, v56
	;; [unrolled: 1-line block ×10, first 2 shown]
.LBB195_31:
	s_or_b32 exec_lo, exec_lo, s2
	v_dual_mov_b32 v26, v40 :: v_dual_mov_b32 v27, v41
	v_dual_mov_b32 v79, v47 :: v_dual_mov_b32 v78, v46
	;; [unrolled: 1-line block ×22, first 2 shown]
	v_mov_b32_e32 v34, v3
	s_mov_b32 s2, exec_lo
	v_dual_mov_b32 v77, v45 :: v_dual_mov_b32 v76, v44
	v_dual_mov_b32 v69, v53 :: v_dual_mov_b32 v68, v52
	v_cmpx_lt_f32_e32 v17, v3
	s_cbranch_execz .LBB195_33
; %bb.32:
	v_dual_mov_b32 v9, v48 :: v_dual_mov_b32 v10, v49
	v_dual_mov_b32 v15, v54 :: v_dual_mov_b32 v16, v55
	v_mov_b32_e32 v10, v50
	v_dual_mov_b32 v11, v50 :: v_dual_mov_b32 v12, v51
	v_dual_mov_b32 v13, v52 :: v_dual_mov_b32 v14, v53
	v_dual_mov_b32 v63, v47 :: v_dual_mov_b32 v62, v46
	v_mov_b32_e32 v11, v49
	v_dual_mov_b32 v59, v43 :: v_dual_mov_b32 v58, v42
	v_dual_mov_b32 v57, v41 :: v_dual_mov_b32 v56, v40
	;; [unrolled: 1-line block ×14, first 2 shown]
	v_mov_b32_e32 v23, v69
	v_dual_mov_b32 v23, v53 :: v_dual_mov_b32 v26, v72
	v_dual_mov_b32 v19, v65 :: v_dual_mov_b32 v22, v68
	;; [unrolled: 1-line block ×12, first 2 shown]
	v_mov_b32_e32 v42, v41
	v_mov_b32_e32 v50, v49
.LBB195_33:
	s_or_b32 exec_lo, exec_lo, s2
	v_mov_b32_e32 v17, v4
	s_mov_b32 s2, exec_lo
	v_cmpx_lt_f32_e32 v34, v4
	s_cbranch_execz .LBB195_35
; %bb.34:
	v_mov_b32_e32 v11, v51
	v_dual_mov_b32 v3, v4 :: v_dual_mov_b32 v4, v34
	v_dual_mov_b32 v58, v43 :: v_dual_mov_b32 v71, v16
	v_mov_b32_e32 v64, v9
	v_dual_mov_b32 v70, v15 :: v_dual_mov_b32 v69, v14
	v_dual_mov_b32 v79, v63 :: v_dual_mov_b32 v76, v60
	;; [unrolled: 1-line block ×5, first 2 shown]
	v_mov_b32_e32 v67, v50
	v_dual_mov_b32 v78, v62 :: v_dual_mov_b32 v77, v61
	v_dual_mov_b32 v74, v58 :: v_dual_mov_b32 v73, v57
	;; [unrolled: 1-line block ×14, first 2 shown]
	v_mov_b32_e32 v33, v47
	v_mov_b32_e32 v17, v34
	;; [unrolled: 1-line block ×4, first 2 shown]
.LBB195_35:
	s_or_b32 exec_lo, exec_lo, s2
	v_mov_b32_e32 v12, v5
	s_mov_b32 s2, exec_lo
	v_cmpx_lt_f32_e32 v17, v5
	s_cbranch_execz .LBB195_37
; %bb.36:
	v_mov_b32_e32 v12, v52
	v_dual_mov_b32 v4, v5 :: v_dual_mov_b32 v59, v44
	v_mov_b32_e32 v5, v17
	v_dual_mov_b32 v25, v16 :: v_dual_mov_b32 v24, v15
	v_dual_mov_b32 v26, v56 :: v_dual_mov_b32 v27, v57
	;; [unrolled: 1-line block ×19, first 2 shown]
	v_mov_b32_e32 v12, v17
	v_mov_b32_e32 v44, v43
	v_dual_mov_b32 v52, v51 :: v_dual_mov_b32 v77, v61
	v_mov_b32_e32 v76, v60
.LBB195_37:
	s_or_b32 exec_lo, exec_lo, s2
	v_mov_b32_e32 v9, v6
	s_mov_b32 s2, exec_lo
	v_cmpx_lt_f32_e32 v12, v6
	s_cbranch_execz .LBB195_39
; %bb.38:
	v_dual_mov_b32 v68, v53 :: v_dual_mov_b32 v69, v52
	v_dual_mov_b32 v70, v54 :: v_dual_mov_b32 v77, v44
	;; [unrolled: 1-line block ×13, first 2 shown]
	v_mov_b32_e32 v9, v12
.LBB195_39:
	s_or_b32 exec_lo, exec_lo, s2
	s_delay_alu instid0(VALU_DEP_1)
	v_cmp_lt_f32_e32 vcc_lo, v9, v7
	v_mov_b32_e32 v11, v3
	v_mov_b32_e32 v13, v5
	s_mov_b32 s2, exec_lo
	v_dual_mov_b32 v10, v2 :: v_dual_cndmask_b32 v17, v32, v31
	v_dual_cndmask_b32 v31, v31, v32 :: v_dual_cndmask_b32 v66, v24, v23
	v_dual_cndmask_b32 v23, v23, v24 :: v_dual_cndmask_b32 v14, v6, v7
	v_dual_cndmask_b32 v15, v7, v9 :: v_dual_mov_b32 v12, v4
	v_dual_mov_b32 v9, v1 :: v_dual_mov_b32 v16, v8
	v_cmpx_lt_f32_e32 v1, v2
	s_cbranch_execz .LBB195_41
; %bb.40:
	s_delay_alu instid0(VALU_DEP_2) | instskip(NEXT) | instid1(VALU_DEP_3)
	v_dual_mov_b32 v2, v10 :: v_dual_mov_b32 v3, v9
	v_dual_mov_b32 v8, v15 :: v_dual_mov_b32 v9, v16
	v_dual_mov_b32 v4, v11 :: v_dual_mov_b32 v5, v12
	v_dual_mov_b32 v6, v13 :: v_dual_mov_b32 v7, v14
	s_delay_alu instid0(VALU_DEP_3) | instskip(NEXT) | instid1(VALU_DEP_4)
	v_mov_b32_e32 v16, v9
	v_dual_mov_b32 v24, v26 :: v_dual_mov_b32 v15, v8
	s_delay_alu instid0(VALU_DEP_4)
	v_dual_mov_b32 v32, v18 :: v_dual_mov_b32 v11, v4
	v_swap_b32 v26, v27
	v_swap_b32 v18, v19
	v_dual_mov_b32 v14, v7 :: v_dual_mov_b32 v13, v6
	v_mov_b32_e32 v12, v5
	v_dual_mov_b32 v10, v3 :: v_dual_mov_b32 v9, v2
	v_mov_b32_e32 v2, v1
.LBB195_41:
	s_or_b32 exec_lo, exec_lo, s2
	v_mov_b32_e32 v24, v66
	v_mov_b32_e32 v32, v17
	;; [unrolled: 1-line block ×4, first 2 shown]
	s_delay_alu instid0(VALU_DEP_4)
	v_dual_mov_b32 v41, v33 :: v_dual_mov_b32 v48, v24
	v_dual_mov_b32 v34, v26 :: v_dual_mov_b32 v65, v33
	;; [unrolled: 1-line block ×15, first 2 shown]
	v_mov_b32_e32 v50, v18
	s_mov_b32 s2, exec_lo
	v_cmpx_lt_f32_e32 v2, v11
	s_cbranch_execz .LBB195_43
; %bb.42:
	v_dual_mov_b32 v57, v25 :: v_dual_mov_b32 v56, v24
	v_dual_mov_b32 v53, v21 :: v_dual_mov_b32 v52, v20
	;; [unrolled: 1-line block ×7, first 2 shown]
	s_delay_alu instid0(VALU_DEP_4)
	v_dual_mov_b32 v42, v50 :: v_dual_mov_b32 v43, v51
	v_dual_mov_b32 v63, v31 :: v_dual_mov_b32 v62, v30
	;; [unrolled: 1-line block ×18, first 2 shown]
	v_mov_b32_e32 v1, v2
.LBB195_43:
	s_or_b32 exec_lo, exec_lo, s2
	v_mov_b32_e32 v2, v12
	s_mov_b32 s2, exec_lo
	s_delay_alu instid0(VALU_DEP_2)
	v_cmpx_lt_f32_e32 v1, v12
	s_cbranch_execz .LBB195_45
; %bb.44:
	v_dual_mov_b32 v52, v21 :: v_dual_mov_b32 v11, v12
	v_mov_b32_e32 v60, v29
	v_dual_mov_b32 v42, v50 :: v_dual_mov_b32 v45, v53
	v_dual_mov_b32 v47, v55 :: v_dual_mov_b32 v34, v58
	s_delay_alu instid0(VALU_DEP_4)
	v_dual_mov_b32 v37, v61 :: v_dual_mov_b32 v44, v52
	v_dual_mov_b32 v49, v57 :: v_dual_mov_b32 v46, v54
	v_mov_b32_e32 v45, v20
	v_dual_mov_b32 v48, v56 :: v_dual_mov_b32 v47, v23
	v_dual_mov_b32 v36, v60 :: v_dual_mov_b32 v39, v63
	;; [unrolled: 1-line block ×9, first 2 shown]
	v_mov_b32_e32 v41, v33
	v_dual_mov_b32 v2, v1 :: v_dual_mov_b32 v21, v20
.LBB195_45:
	s_or_b32 exec_lo, exec_lo, s2
	v_mov_b32_e32 v1, v13
	s_mov_b32 s2, exec_lo
	s_delay_alu instid0(VALU_DEP_2)
	v_cmpx_lt_f32_e32 v2, v13
	s_cbranch_execz .LBB195_47
; %bb.46:
	v_dual_mov_b32 v53, v22 :: v_dual_mov_b32 v54, v21
	v_dual_mov_b32 v55, v23 :: v_dual_mov_b32 v56, v66
	v_dual_mov_b32 v61, v30 :: v_dual_mov_b32 v62, v29
	v_dual_mov_b32 v63, v31 :: v_dual_mov_b32 v64, v17
	v_mov_b32_e32 v57, v25
	v_dual_mov_b32 v65, v33 :: v_dual_mov_b32 v42, v50
	v_mov_b32_e32 v34, v58
	v_dual_mov_b32 v12, v13 :: v_dual_mov_b32 v13, v2
	v_dual_mov_b32 v35, v59 :: v_dual_mov_b32 v36, v60
	;; [unrolled: 1-line block ×7, first 2 shown]
	v_mov_b32_e32 v47, v55
	v_mov_b32_e32 v49, v57
	v_mov_b32_e32 v1, v2
.LBB195_47:
	s_or_b32 exec_lo, exec_lo, s2
	s_delay_alu instid0(VALU_DEP_1)
	v_cmp_lt_f32_e32 vcc_lo, v1, v14
	v_dual_mov_b32 v20, v10 :: v_dual_mov_b32 v25, v15
	v_mov_b32_e32 v22, v12
	v_dual_mov_b32 v26, v16 :: v_dual_cndmask_b32 v27, v39, v38
	v_cndmask_b32_e32 v38, v38, v39, vcc_lo
	v_dual_cndmask_b32 v28, v47, v46 :: v_dual_mov_b32 v19, v9
	v_dual_cndmask_b32 v46, v46, v47 :: v_dual_cndmask_b32 v23, v13, v14
	v_dual_cndmask_b32 v24, v14, v1 :: v_dual_mov_b32 v21, v11
	s_mov_b32 s2, exec_lo
	v_cmpx_lt_f32_e32 v9, v10
	s_cbranch_execz .LBB195_49
; %bb.48:
	v_dual_mov_b32 v7, v25 :: v_dual_mov_b32 v8, v26
	v_dual_mov_b32 v1, v20 :: v_dual_mov_b32 v2, v19
	;; [unrolled: 1-line block ×4, first 2 shown]
	s_delay_alu instid0(VALU_DEP_4)
	v_dual_mov_b32 v11, v34 :: v_dual_mov_b32 v26, v8
	v_dual_mov_b32 v12, v42 :: v_dual_mov_b32 v25, v7
	v_swap_b32 v34, v35
	v_swap_b32 v42, v43
	v_dual_mov_b32 v24, v6 :: v_dual_mov_b32 v23, v5
	v_dual_mov_b32 v22, v4 :: v_dual_mov_b32 v21, v3
	;; [unrolled: 1-line block ×3, first 2 shown]
	v_mov_b32_e32 v10, v9
.LBB195_49:
	s_or_b32 exec_lo, exec_lo, s2
	v_mov_b32_e32 v47, v28
	v_mov_b32_e32 v39, v27
	v_dual_mov_b32 v1, v42 :: v_dual_mov_b32 v4, v45
	v_dual_mov_b32 v11, v34 :: v_dual_mov_b32 v14, v37
	;; [unrolled: 1-line block ×3, first 2 shown]
	s_delay_alu instid0(VALU_DEP_4)
	v_dual_mov_b32 v16, v39 :: v_dual_mov_b32 v15, v38
	v_dual_mov_b32 v18, v41 :: v_dual_mov_b32 v17, v40
	;; [unrolled: 1-line block ×5, first 2 shown]
	v_mov_b32_e32 v9, v21
	s_mov_b32 s2, exec_lo
	v_cmpx_lt_f32_e32 v10, v21
	s_cbranch_execz .LBB195_51
; %bb.50:
	v_dual_mov_b32 v1, v42 :: v_dual_mov_b32 v2, v43
	v_dual_mov_b32 v5, v46 :: v_dual_mov_b32 v6, v47
	;; [unrolled: 1-line block ×16, first 2 shown]
	v_mov_b32_e32 v18, v41
	v_mov_b32_e32 v36, v35
	v_mov_b32_e32 v44, v43
.LBB195_51:
	s_or_b32 exec_lo, exec_lo, s2
	v_mov_b32_e32 v29, v22
	s_mov_b32 s2, exec_lo
	v_cmpx_lt_f32_e32 v9, v22
; %bb.52:
	v_dual_mov_b32 v21, v22 :: v_dual_mov_b32 v22, v9
	v_dual_mov_b32 v3, v45 :: v_dual_mov_b32 v4, v44
	;; [unrolled: 1-line block ×7, first 2 shown]
	v_mov_b32_e32 v29, v9
; %bb.53:
	s_or_b32 exec_lo, exec_lo, s2
	s_delay_alu instid0(VALU_DEP_1)
	v_cmp_lt_f32_e32 vcc_lo, v29, v23
	v_dual_mov_b32 v28, v20 :: v_dual_mov_b32 v33, v25
	v_mov_b32_e32 v32, v24
	v_dual_mov_b32 v34, v26 :: v_dual_cndmask_b32 v9, v15, v14
	v_cndmask_b32_e32 v14, v14, v15, vcc_lo
	v_dual_cndmask_b32 v10, v5, v4 :: v_dual_cndmask_b32 v31, v23, v29
	v_dual_cndmask_b32 v4, v4, v5 :: v_dual_mov_b32 v27, v19
	v_dual_cndmask_b32 v30, v22, v23 :: v_dual_mov_b32 v29, v21
	s_mov_b32 s2, exec_lo
	v_cmpx_lt_f32_e32 v19, v20
	s_cbranch_execz .LBB195_55
; %bb.54:
	v_dual_mov_b32 v20, v28 :: v_dual_mov_b32 v21, v27
	v_dual_mov_b32 v26, v33 :: v_dual_mov_b32 v27, v34
	;; [unrolled: 1-line block ×4, first 2 shown]
	s_delay_alu instid0(VALU_DEP_3) | instskip(SKIP_2) | instid1(VALU_DEP_4)
	v_dual_mov_b32 v15, v1 :: v_dual_mov_b32 v34, v27
	v_mov_b32_e32 v5, v11
	v_swap_b32 v11, v12
	v_mov_b32_e32 v32, v25
	v_swap_b32 v1, v2
	v_dual_mov_b32 v33, v26 :: v_dual_mov_b32 v30, v23
	v_dual_mov_b32 v31, v24 :: v_dual_mov_b32 v28, v21
	v_mov_b32_e32 v29, v22
	v_dual_mov_b32 v27, v20 :: v_dual_mov_b32 v20, v19
.LBB195_55:
	s_or_b32 exec_lo, exec_lo, s2
	v_mov_b32_e32 v5, v10
	v_mov_b32_e32 v15, v9
	;; [unrolled: 1-line block ×3, first 2 shown]
	s_mov_b32 s2, exec_lo
	v_cmpx_lt_f32_e32 v20, v29
	s_cbranch_execz .LBB195_57
; %bb.56:
	v_dual_mov_b32 v50, v18 :: v_dual_mov_b32 v49, v17
	v_dual_mov_b32 v42, v8 :: v_dual_mov_b32 v41, v7
	;; [unrolled: 1-line block ×14, first 2 shown]
	v_mov_b32_e32 v50, v18
	v_dual_mov_b32 v28, v29 :: v_dual_mov_b32 v29, v20
	v_dual_mov_b32 v42, v8 :: v_dual_mov_b32 v11, v43
	;; [unrolled: 1-line block ×10, first 2 shown]
.LBB195_57:
	s_or_b32 exec_lo, exec_lo, s2
	s_delay_alu instid0(VALU_DEP_1) | instskip(NEXT) | instid1(VALU_DEP_3)
	v_cmp_lt_f32_e32 vcc_lo, v19, v30
	v_dual_mov_b32 v20, v5 :: v_dual_mov_b32 v21, v6
	s_delay_alu instid0(VALU_DEP_3)
	v_dual_mov_b32 v22, v7 :: v_dual_mov_b32 v23, v8
	v_dual_cndmask_b32 v9, v14, v13 :: v_dual_cndmask_b32 v10, v4, v3
	v_dual_cndmask_b32 v35, v13, v14 :: v_dual_cndmask_b32 v36, v3, v4
	;; [unrolled: 1-line block ×3, first 2 shown]
	v_dual_mov_b32 v4, v15 :: v_dual_mov_b32 v13, v16
	v_dual_mov_b32 v14, v17 :: v_dual_mov_b32 v19, v18
	;; [unrolled: 1-line block ×4, first 2 shown]
	v_mov_b32_e32 v29, v34
	s_mov_b32 s2, exec_lo
	v_cmpx_lt_f32_e32 v27, v28
	s_cbranch_execz .LBB195_59
; %bb.58:
	v_dual_mov_b32 v24, v28 :: v_dual_mov_b32 v19, v18
	v_dual_mov_b32 v4, v11 :: v_dual_mov_b32 v13, v16
	;; [unrolled: 1-line block ×3, first 2 shown]
	v_swap_b32 v11, v12
	v_swap_b32 v1, v2
	v_dual_mov_b32 v28, v27 :: v_dual_mov_b32 v21, v6
	v_dual_mov_b32 v4, v15 :: v_dual_mov_b32 v23, v8
	;; [unrolled: 1-line block ×5, first 2 shown]
	v_mov_b32_e32 v24, v31
	v_mov_b32_e32 v26, v33
.LBB195_59:
	s_or_b32 exec_lo, exec_lo, s2
	s_clause 0x1
	s_load_b32 s8, s[0:1], 0x28
	s_load_b128 s[4:7], s[0:1], 0x10
	v_mov_b32_e32 v6, 0
	s_waitcnt lgkmcnt(0)
	s_cmp_lt_i32 s8, 1
	s_cbranch_scc1 .LBB195_65
; %bb.60:
	v_cmp_lt_f32_e32 vcc_lo, v28, v30
	s_mov_b32 s9, 0x76543210
	s_mov_b32 s10, s8
	v_dual_mov_b32 v7, 0 :: v_dual_mov_b32 v6, 0
	v_cndmask_b32_e32 v18, v37, v30, vcc_lo
	v_dual_cndmask_b32 v5, v36, v2 :: v_dual_cndmask_b32 v2, v2, v36
	v_cndmask_b32_e32 v8, v30, v28, vcc_lo
	v_dual_cndmask_b32 v15, v35, v12 :: v_dual_cndmask_b32 v28, v12, v35
	s_delay_alu instid0(VALU_DEP_4) | instskip(NEXT) | instid1(VALU_DEP_1)
	v_cmp_lt_f32_e64 s2, v27, v18
	v_cndmask_b32_e64 v12, v2, v1, s2
	v_cndmask_b32_e64 v16, v1, v2, s2
	;; [unrolled: 1-line block ×6, first 2 shown]
	v_dual_mov_b32 v28, v0 :: v_dual_mov_b32 v1, 0
	v_mov_b32_e32 v2, 0
.LBB195_61:                             ; =>This Inner Loop Header: Depth=1
	v_cmp_eq_u32_e32 vcc_lo, 1, v7
	v_cmp_eq_u32_e64 s2, 2, v7
	v_dual_cndmask_b32 v30, v18, v17 :: v_dual_cndmask_b32 v31, v16, v12
	v_cndmask_b32_e32 v32, v11, v27, vcc_lo
	v_cmp_eq_u32_e32 vcc_lo, 3, v7
	s_delay_alu instid0(VALU_DEP_3) | instskip(NEXT) | instid1(VALU_DEP_4)
	v_cndmask_b32_e64 v30, v30, v8, s2
	v_cndmask_b32_e64 v31, v31, v5, s2
	s_delay_alu instid0(VALU_DEP_4) | instskip(SKIP_1) | instid1(VALU_DEP_3)
	v_cndmask_b32_e64 v32, v32, v15, s2
	v_cmp_eq_u32_e64 s2, 4, v7
	v_dual_cndmask_b32 v30, v30, v3 :: v_dual_cndmask_b32 v31, v31, v10
	s_delay_alu instid0(VALU_DEP_3) | instskip(SKIP_1) | instid1(VALU_DEP_3)
	v_cndmask_b32_e32 v32, v32, v9, vcc_lo
	v_cmp_eq_u32_e32 vcc_lo, 5, v7
	v_cndmask_b32_e64 v30, v30, v24, s2
	s_delay_alu instid0(VALU_DEP_4) | instskip(NEXT) | instid1(VALU_DEP_4)
	v_cndmask_b32_e64 v31, v31, v20, s2
	v_cndmask_b32_e64 v32, v32, v4, s2
	v_cmp_eq_u32_e64 s2, 6, v7
	s_delay_alu instid0(VALU_DEP_4) | instskip(NEXT) | instid1(VALU_DEP_4)
	v_cndmask_b32_e32 v30, v30, v25, vcc_lo
	v_cndmask_b32_e32 v31, v31, v21, vcc_lo
	s_delay_alu instid0(VALU_DEP_4) | instskip(SKIP_1) | instid1(VALU_DEP_4)
	v_cndmask_b32_e32 v32, v32, v13, vcc_lo
	v_cmp_eq_u32_e32 vcc_lo, 7, v7
	v_cndmask_b32_e64 v30, v30, v26, s2
	s_delay_alu instid0(VALU_DEP_4) | instskip(NEXT) | instid1(VALU_DEP_4)
	v_cndmask_b32_e64 v31, v31, v22, s2
	v_cndmask_b32_e64 v32, v32, v14, s2
	v_cmp_gt_u32_e64 s2, 8, v7
	s_delay_alu instid0(VALU_DEP_3) | instskip(NEXT) | instid1(VALU_DEP_1)
	v_dual_cndmask_b32 v30, v30, v29 :: v_dual_cndmask_b32 v31, v31, v23
	v_cndmask_b32_e64 v30, 0xff800000, v30, s2
	;;#ASMSTART
	v_max_f32 v34, v30, v30 quad_perm:[1,0,3,2] row_mask:0xf bank_mask:0xf bound_ctrl:1
	;;#ASMEND
	;;#ASMSTART
	v_max_f32 v35, v34, v34 quad_perm:[2,3,0,1] row_mask:0xf bank_mask:0xf bound_ctrl:1
	;;#ASMEND
	;;#ASMSTART
	v_max_f32 v34, v35, v35 row_half_mirror row_mask:0xf bank_mask:0xf bound_ctrl:1
	;;#ASMEND
	;;#ASMSTART
	v_max_f32 v35, v34, v34 row_mirror row_mask:0xf bank_mask:0xf bound_ctrl:1
	;;#ASMEND
	v_permlanex16_b32 v34, v35, s9, 0xfedcba98 op_sel:[1,1]
	v_max_f32_e32 v35, v35, v35
	v_cndmask_b32_e64 v33, 0, v31, s2
	s_delay_alu instid0(VALU_DEP_3) | instskip(NEXT) | instid1(VALU_DEP_1)
	v_max_f32_e32 v34, v34, v34
	v_max_f32_e32 v34, v35, v34
	s_delay_alu instid0(VALU_DEP_1) | instskip(SKIP_1) | instid1(VALU_DEP_2)
	v_cmp_eq_f32_e64 s3, v30, v34
	v_cndmask_b32_e32 v30, v32, v19, vcc_lo
	s_ctz_i32_b32 s11, s3
	s_cmp_lg_u32 s3, 0
	s_cselect_b32 s3, s11, 0
	s_add_i32 s10, s10, -1
	v_readlane_b32 s3, v33, s3
	s_delay_alu instid0(VALU_DEP_1)
	v_cmp_eq_u32_e32 vcc_lo, s3, v31
	s_and_b32 vcc_lo, s2, vcc_lo
	s_and_b32 s2, s3, 31
	v_cndmask_b32_e32 v30, 0, v30, vcc_lo
	v_add_co_ci_u32_e32 v7, vcc_lo, 0, v7, vcc_lo
	s_cmp_eq_u32 s10, 0
	s_delay_alu instid0(VALU_DEP_2) | instskip(SKIP_2) | instid1(VALU_DEP_3)
	v_readlane_b32 s11, v30, s2
	v_cmp_eq_u32_e64 s2, 0, v28
	v_add_nc_u32_e32 v28, -1, v28
	v_add_f32_e32 v6, s11, v6
	s_delay_alu instid0(VALU_DEP_3)
	v_cndmask_b32_e64 v2, v2, s11, s2
	v_cndmask_b32_e64 v1, v1, s3, s2
	s_cbranch_scc0 .LBB195_61
; %bb.62:
	s_mov_b32 s2, exec_lo
	v_cmpx_gt_i32_e64 s8, v0
	s_cbranch_execz .LBB195_64
.LBB195_63:
	s_load_b32 s2, s[0:1], 0x30
	v_max_f32_e32 v3, v6, v6
	s_load_b64 s[0:1], s[0:1], 0x20
	s_ashr_i32 s3, s15, 31
	s_delay_alu instid0(VALU_DEP_1) | instskip(SKIP_1) | instid1(VALU_DEP_1)
	v_dual_max_f32 v3, 0x1e3ce508, v3 :: v_dual_lshlrev_b32 v0, 2, v0
	s_waitcnt lgkmcnt(0)
	v_div_scale_f32 v4, null, v3, v3, s2
	v_div_scale_f32 v7, vcc_lo, s2, v3, s2
	s_mul_i32 s1, s15, s1
	s_delay_alu instid0(VALU_DEP_2)
	v_rcp_f32_e32 v5, v4
	s_mul_hi_u32 s8, s15, s0
	s_mul_i32 s3, s3, s0
	s_add_i32 s1, s8, s1
	s_mul_i32 s0, s15, s0
	s_add_i32 s1, s1, s3
	s_delay_alu instid0(SALU_CYCLE_1) | instskip(SKIP_2) | instid1(VALU_DEP_1)
	s_lshl_b64 s[0:1], s[0:1], 2
	s_waitcnt_depctr 0xfff
	v_fma_f32 v6, -v4, v5, 1.0
	v_fmac_f32_e32 v5, v6, v5
	s_delay_alu instid0(VALU_DEP_1) | instskip(NEXT) | instid1(VALU_DEP_1)
	v_mul_f32_e32 v6, v7, v5
	v_fma_f32 v8, -v4, v6, v7
	s_delay_alu instid0(VALU_DEP_1) | instskip(NEXT) | instid1(VALU_DEP_1)
	v_fmac_f32_e32 v6, v8, v5
	v_fma_f32 v4, -v4, v6, v7
	s_delay_alu instid0(VALU_DEP_1) | instskip(NEXT) | instid1(VALU_DEP_1)
	v_div_fmas_f32 v4, v4, v5, v6
	v_div_fixup_f32 v3, v4, v3, s2
	s_add_u32 s2, s4, s0
	s_addc_u32 s3, s5, s1
	s_add_u32 s0, s6, s0
	s_addc_u32 s1, s7, s1
	v_mul_f32_e32 v2, v2, v3
	s_clause 0x1
	global_store_b32 v0, v2, s[2:3]
	global_store_b32 v0, v1, s[0:1]
.LBB195_64:
	s_nop 0
	s_sendmsg sendmsg(MSG_DEALLOC_VGPRS)
	s_endpgm
.LBB195_65:
	v_dual_mov_b32 v1, 0 :: v_dual_mov_b32 v2, 0
	s_mov_b32 s2, exec_lo
	v_cmpx_gt_i32_e64 s8, v0
	s_cbranch_execnz .LBB195_63
	s_branch .LBB195_64
	.section	.rodata,"a",@progbits
	.p2align	6, 0x0
	.amdhsa_kernel _ZN5aiter24topk_softplus_kernel_optI6__half12hip_bfloat16Li256ELb1ELi0EEEvPKT_PKT0_PfPimiif
		.amdhsa_group_segment_fixed_size 0
		.amdhsa_private_segment_fixed_size 0
		.amdhsa_kernarg_size 52
		.amdhsa_user_sgpr_count 15
		.amdhsa_user_sgpr_dispatch_ptr 0
		.amdhsa_user_sgpr_queue_ptr 0
		.amdhsa_user_sgpr_kernarg_segment_ptr 1
		.amdhsa_user_sgpr_dispatch_id 0
		.amdhsa_user_sgpr_private_segment_size 0
		.amdhsa_wavefront_size32 1
		.amdhsa_uses_dynamic_stack 0
		.amdhsa_enable_private_segment 0
		.amdhsa_system_sgpr_workgroup_id_x 1
		.amdhsa_system_sgpr_workgroup_id_y 0
		.amdhsa_system_sgpr_workgroup_id_z 0
		.amdhsa_system_sgpr_workgroup_info 0
		.amdhsa_system_vgpr_workitem_id 0
		.amdhsa_next_free_vgpr 96
		.amdhsa_next_free_sgpr 16
		.amdhsa_reserve_vcc 1
		.amdhsa_float_round_mode_32 0
		.amdhsa_float_round_mode_16_64 0
		.amdhsa_float_denorm_mode_32 3
		.amdhsa_float_denorm_mode_16_64 3
		.amdhsa_dx10_clamp 1
		.amdhsa_ieee_mode 1
		.amdhsa_fp16_overflow 0
		.amdhsa_workgroup_processor_mode 1
		.amdhsa_memory_ordered 1
		.amdhsa_forward_progress 0
		.amdhsa_shared_vgpr_count 0
		.amdhsa_exception_fp_ieee_invalid_op 0
		.amdhsa_exception_fp_denorm_src 0
		.amdhsa_exception_fp_ieee_div_zero 0
		.amdhsa_exception_fp_ieee_overflow 0
		.amdhsa_exception_fp_ieee_underflow 0
		.amdhsa_exception_fp_ieee_inexact 0
		.amdhsa_exception_int_div_zero 0
	.end_amdhsa_kernel
	.section	.text._ZN5aiter24topk_softplus_kernel_optI6__half12hip_bfloat16Li256ELb1ELi0EEEvPKT_PKT0_PfPimiif,"axG",@progbits,_ZN5aiter24topk_softplus_kernel_optI6__half12hip_bfloat16Li256ELb1ELi0EEEvPKT_PKT0_PfPimiif,comdat
.Lfunc_end195:
	.size	_ZN5aiter24topk_softplus_kernel_optI6__half12hip_bfloat16Li256ELb1ELi0EEEvPKT_PKT0_PfPimiif, .Lfunc_end195-_ZN5aiter24topk_softplus_kernel_optI6__half12hip_bfloat16Li256ELb1ELi0EEEvPKT_PKT0_PfPimiif
                                        ; -- End function
	.section	.AMDGPU.csdata,"",@progbits
; Kernel info:
; codeLenInByte = 8636
; NumSgprs: 18
; NumVgprs: 96
; ScratchSize: 0
; MemoryBound: 0
; FloatMode: 240
; IeeeMode: 1
; LDSByteSize: 0 bytes/workgroup (compile time only)
; SGPRBlocks: 2
; VGPRBlocks: 11
; NumSGPRsForWavesPerEU: 18
; NumVGPRsForWavesPerEU: 96
; Occupancy: 16
; WaveLimiterHint : 0
; COMPUTE_PGM_RSRC2:SCRATCH_EN: 0
; COMPUTE_PGM_RSRC2:USER_SGPR: 15
; COMPUTE_PGM_RSRC2:TRAP_HANDLER: 0
; COMPUTE_PGM_RSRC2:TGID_X_EN: 1
; COMPUTE_PGM_RSRC2:TGID_Y_EN: 0
; COMPUTE_PGM_RSRC2:TGID_Z_EN: 0
; COMPUTE_PGM_RSRC2:TIDIG_COMP_CNT: 0
	.section	.text._ZN5aiter24topk_softplus_kernel_optI6__half12hip_bfloat16Li256ELb0ELi0EEEvPKT_PKT0_PfPimiif,"axG",@progbits,_ZN5aiter24topk_softplus_kernel_optI6__half12hip_bfloat16Li256ELb0ELi0EEEvPKT_PKT0_PfPimiif,comdat
	.protected	_ZN5aiter24topk_softplus_kernel_optI6__half12hip_bfloat16Li256ELb0ELi0EEEvPKT_PKT0_PfPimiif ; -- Begin function _ZN5aiter24topk_softplus_kernel_optI6__half12hip_bfloat16Li256ELb0ELi0EEEvPKT_PKT0_PfPimiif
	.globl	_ZN5aiter24topk_softplus_kernel_optI6__half12hip_bfloat16Li256ELb0ELi0EEEvPKT_PKT0_PfPimiif
	.p2align	8
	.type	_ZN5aiter24topk_softplus_kernel_optI6__half12hip_bfloat16Li256ELb0ELi0EEEvPKT_PKT0_PfPimiif,@function
_ZN5aiter24topk_softplus_kernel_optI6__half12hip_bfloat16Li256ELb0ELi0EEEvPKT_PKT0_PfPimiif: ; @_ZN5aiter24topk_softplus_kernel_optI6__half12hip_bfloat16Li256ELb0ELi0EEEvPKT_PKT0_PfPimiif
; %bb.0:
	s_load_b128 s[4:7], s[0:1], 0x0
	s_lshl_b32 s2, s15, 8
	v_lshlrev_b32_e32 v3, 1, v0
	s_ashr_i32 s3, s2, 31
	s_delay_alu instid0(SALU_CYCLE_1)
	s_lshl_b64 s[2:3], s[2:3], 1
	s_waitcnt lgkmcnt(0)
	s_add_u32 s8, s4, s2
	s_addc_u32 s9, s5, s3
	s_mov_b32 s4, 0x3fb8aa3b
	global_load_u16 v1, v3, s[8:9]
	s_cmp_lg_u64 s[6:7], 0
	s_cselect_b32 s3, -1, 0
	s_waitcnt vmcnt(0)
	v_cvt_f32_f16_e32 v2, v1
	s_delay_alu instid0(VALU_DEP_1) | instskip(NEXT) | instid1(VALU_DEP_1)
	v_mul_f32_e32 v4, 0x3fb8aa3b, v2
	v_cmp_gt_f32_e32 vcc_lo, 0xc2fc0000, v4
	v_cndmask_b32_e64 v4, 0, 0x42800000, vcc_lo
	v_cndmask_b32_e64 v5, 1.0, 0x1f800000, vcc_lo
	s_delay_alu instid0(VALU_DEP_2) | instskip(NEXT) | instid1(VALU_DEP_1)
	v_fma_mix_f32 v4, v1, s4, v4 op_sel_hi:[1,0,0]
	v_exp_f32_e32 v4, v4
	s_waitcnt_depctr 0xfff
	v_fma_f32 v4, v4, v5, 1.0
	s_delay_alu instid0(VALU_DEP_1) | instskip(SKIP_1) | instid1(VALU_DEP_1)
	v_cmp_gt_f32_e32 vcc_lo, 0x800000, v4
	v_cndmask_b32_e64 v5, 1.0, 0x4f800000, vcc_lo
	v_mul_f32_e32 v4, v4, v5
	v_cndmask_b32_e64 v5, 0, 0x42000000, vcc_lo
	v_cmp_lt_f16_e32 vcc_lo, 0x4d00, v1
	s_delay_alu instid0(VALU_DEP_3) | instskip(SKIP_2) | instid1(VALU_DEP_1)
	v_log_f32_e32 v4, v4
	s_waitcnt_depctr 0xfff
	v_sub_f32_e32 v4, v4, v5
	v_mul_f32_e32 v4, 0x3f317218, v4
	s_delay_alu instid0(VALU_DEP_1) | instskip(NEXT) | instid1(VALU_DEP_1)
	v_cndmask_b32_e32 v1, v4, v2, vcc_lo
	v_mul_f32_e32 v2, 0x4f800000, v1
	v_cmp_gt_f32_e32 vcc_lo, 0xf800000, v1
	s_delay_alu instid0(VALU_DEP_2) | instskip(NEXT) | instid1(VALU_DEP_1)
	v_cndmask_b32_e32 v1, v1, v2, vcc_lo
	v_sqrt_f32_e32 v2, v1
	s_waitcnt_depctr 0xfff
	v_add_nc_u32_e32 v4, -1, v2
	v_add_nc_u32_e32 v5, 1, v2
	s_delay_alu instid0(VALU_DEP_2) | instskip(NEXT) | instid1(VALU_DEP_2)
	v_fma_f32 v6, -v4, v2, v1
	v_fma_f32 v7, -v5, v2, v1
	s_delay_alu instid0(VALU_DEP_2) | instskip(NEXT) | instid1(VALU_DEP_1)
	v_cmp_ge_f32_e64 s2, 0, v6
	v_cndmask_b32_e64 v2, v2, v4, s2
	s_delay_alu instid0(VALU_DEP_3) | instskip(NEXT) | instid1(VALU_DEP_1)
	v_cmp_lt_f32_e64 s2, 0, v7
	v_cndmask_b32_e64 v2, v2, v5, s2
	s_delay_alu instid0(VALU_DEP_1) | instskip(NEXT) | instid1(VALU_DEP_1)
	v_mul_f32_e32 v4, 0x37800000, v2
	v_cndmask_b32_e32 v2, v2, v4, vcc_lo
	v_cmp_class_f32_e64 vcc_lo, v1, 0x260
	s_delay_alu instid0(VALU_DEP_2) | instskip(SKIP_1) | instid1(VALU_DEP_1)
	v_cndmask_b32_e32 v56, v2, v1, vcc_lo
	v_add_co_u32 v1, s2, s8, v3
	v_add_co_ci_u32_e64 v2, null, s9, 0, s2
	s_delay_alu instid0(VALU_DEP_3)
	v_mov_b32_e32 v24, v56
	s_and_b32 vcc_lo, exec_lo, s3
	s_cbranch_vccz .LBB196_2
; %bb.1:
	global_load_u16 v4, v3, s[6:7]
	s_waitcnt vmcnt(0)
	v_lshlrev_b32_e32 v4, 16, v4
	s_delay_alu instid0(VALU_DEP_1)
	v_add_f32_e32 v24, v56, v4
.LBB196_2:
	global_load_u16 v4, v[1:2], off offset:64
	s_waitcnt vmcnt(0)
	v_cvt_f32_f16_e32 v5, v4
	s_delay_alu instid0(VALU_DEP_1) | instskip(NEXT) | instid1(VALU_DEP_1)
	v_mul_f32_e32 v6, 0x3fb8aa3b, v5
	v_cmp_gt_f32_e32 vcc_lo, 0xc2fc0000, v6
	v_cndmask_b32_e64 v7, 0, 0x42800000, vcc_lo
	v_cndmask_b32_e64 v6, 1.0, 0x1f800000, vcc_lo
	s_delay_alu instid0(VALU_DEP_2) | instskip(NEXT) | instid1(VALU_DEP_1)
	v_fma_mix_f32 v7, v4, s4, v7 op_sel_hi:[1,0,0]
	v_exp_f32_e32 v7, v7
	s_waitcnt_depctr 0xfff
	v_fma_f32 v6, v7, v6, 1.0
	s_delay_alu instid0(VALU_DEP_1) | instskip(SKIP_1) | instid1(VALU_DEP_1)
	v_cmp_gt_f32_e32 vcc_lo, 0x800000, v6
	v_cndmask_b32_e64 v7, 1.0, 0x4f800000, vcc_lo
	v_mul_f32_e32 v6, v6, v7
	v_cndmask_b32_e64 v7, 0, 0x42000000, vcc_lo
	v_cmp_lt_f16_e32 vcc_lo, 0x4d00, v4
	s_delay_alu instid0(VALU_DEP_3) | instskip(SKIP_2) | instid1(VALU_DEP_1)
	v_log_f32_e32 v6, v6
	s_waitcnt_depctr 0xfff
	v_sub_f32_e32 v6, v6, v7
	v_mul_f32_e32 v6, 0x3f317218, v6
	s_delay_alu instid0(VALU_DEP_1) | instskip(NEXT) | instid1(VALU_DEP_1)
	v_cndmask_b32_e32 v4, v6, v5, vcc_lo
	v_mul_f32_e32 v5, 0x4f800000, v4
	v_cmp_gt_f32_e32 vcc_lo, 0xf800000, v4
	s_delay_alu instid0(VALU_DEP_2) | instskip(NEXT) | instid1(VALU_DEP_1)
	v_cndmask_b32_e32 v5, v4, v5, vcc_lo
	v_sqrt_f32_e32 v4, v5
	s_waitcnt_depctr 0xfff
	v_add_nc_u32_e32 v6, -1, v4
	v_add_nc_u32_e32 v7, 1, v4
	s_delay_alu instid0(VALU_DEP_2) | instskip(NEXT) | instid1(VALU_DEP_2)
	v_fma_f32 v8, -v6, v4, v5
	v_fma_f32 v9, -v7, v4, v5
	s_delay_alu instid0(VALU_DEP_2) | instskip(NEXT) | instid1(VALU_DEP_1)
	v_cmp_ge_f32_e64 s2, 0, v8
	v_cndmask_b32_e64 v4, v4, v6, s2
	s_delay_alu instid0(VALU_DEP_3) | instskip(NEXT) | instid1(VALU_DEP_1)
	v_cmp_lt_f32_e64 s2, 0, v9
	v_cndmask_b32_e64 v4, v4, v7, s2
	s_delay_alu instid0(VALU_DEP_1) | instskip(NEXT) | instid1(VALU_DEP_1)
	v_mul_f32_e32 v6, 0x37800000, v4
	v_cndmask_b32_e32 v6, v4, v6, vcc_lo
	v_cmp_class_f32_e64 vcc_lo, v5, 0x260
	v_cndmask_b32_e64 v4, 0, 1, s3
	s_delay_alu instid0(VALU_DEP_3) | instskip(SKIP_1) | instid1(VALU_DEP_1)
	v_cndmask_b32_e32 v9, v6, v5, vcc_lo
	s_and_not1_b32 vcc_lo, exec_lo, s3
	v_mov_b32_e32 v25, v9
	s_cbranch_vccnz .LBB196_4
; %bb.3:
	global_load_u16 v5, v3, s[6:7] offset:64
	s_waitcnt vmcnt(0)
	v_lshlrev_b32_e32 v5, 16, v5
	s_delay_alu instid0(VALU_DEP_1)
	v_add_f32_e32 v25, v9, v5
.LBB196_4:
	global_load_u16 v5, v[1:2], off offset:128
	s_mov_b32 s3, 0x3fb8aa3b
	s_waitcnt vmcnt(0)
	v_cvt_f32_f16_e32 v6, v5
	s_delay_alu instid0(VALU_DEP_1) | instskip(NEXT) | instid1(VALU_DEP_1)
	v_mul_f32_e32 v7, 0x3fb8aa3b, v6
	v_cmp_gt_f32_e32 vcc_lo, 0xc2fc0000, v7
	v_cndmask_b32_e64 v8, 0, 0x42800000, vcc_lo
	v_cndmask_b32_e64 v7, 1.0, 0x1f800000, vcc_lo
	s_delay_alu instid0(VALU_DEP_2) | instskip(NEXT) | instid1(VALU_DEP_1)
	v_fma_mix_f32 v8, v5, s3, v8 op_sel_hi:[1,0,0]
	v_exp_f32_e32 v8, v8
	s_waitcnt_depctr 0xfff
	v_fma_f32 v7, v8, v7, 1.0
	s_delay_alu instid0(VALU_DEP_1) | instskip(SKIP_1) | instid1(VALU_DEP_1)
	v_cmp_gt_f32_e32 vcc_lo, 0x800000, v7
	v_cndmask_b32_e64 v8, 1.0, 0x4f800000, vcc_lo
	v_mul_f32_e32 v7, v7, v8
	v_cndmask_b32_e64 v8, 0, 0x42000000, vcc_lo
	v_cmp_lt_f16_e32 vcc_lo, 0x4d00, v5
	s_delay_alu instid0(VALU_DEP_3) | instskip(SKIP_2) | instid1(VALU_DEP_1)
	v_log_f32_e32 v7, v7
	s_waitcnt_depctr 0xfff
	v_sub_f32_e32 v7, v7, v8
	v_mul_f32_e32 v7, 0x3f317218, v7
	s_delay_alu instid0(VALU_DEP_1) | instskip(NEXT) | instid1(VALU_DEP_1)
	v_cndmask_b32_e32 v5, v7, v6, vcc_lo
	v_mul_f32_e32 v6, 0x4f800000, v5
	v_cmp_gt_f32_e32 vcc_lo, 0xf800000, v5
	s_delay_alu instid0(VALU_DEP_2) | instskip(NEXT) | instid1(VALU_DEP_1)
	v_cndmask_b32_e32 v5, v5, v6, vcc_lo
	v_sqrt_f32_e32 v6, v5
	s_waitcnt_depctr 0xfff
	v_add_nc_u32_e32 v7, -1, v6
	v_add_nc_u32_e32 v8, 1, v6
	s_delay_alu instid0(VALU_DEP_2) | instskip(NEXT) | instid1(VALU_DEP_2)
	v_fma_f32 v10, -v7, v6, v5
	v_fma_f32 v11, -v8, v6, v5
	s_delay_alu instid0(VALU_DEP_2) | instskip(NEXT) | instid1(VALU_DEP_1)
	v_cmp_ge_f32_e64 s2, 0, v10
	v_cndmask_b32_e64 v6, v6, v7, s2
	s_delay_alu instid0(VALU_DEP_3) | instskip(NEXT) | instid1(VALU_DEP_1)
	v_cmp_lt_f32_e64 s2, 0, v11
	v_cndmask_b32_e64 v6, v6, v8, s2
	s_delay_alu instid0(VALU_DEP_1) | instskip(NEXT) | instid1(VALU_DEP_1)
	v_mul_f32_e32 v7, 0x37800000, v6
	v_cndmask_b32_e32 v6, v6, v7, vcc_lo
	v_cmp_class_f32_e64 vcc_lo, v5, 0x260
	s_delay_alu instid0(VALU_DEP_2) | instskip(SKIP_1) | instid1(VALU_DEP_2)
	v_cndmask_b32_e32 v10, v6, v5, vcc_lo
	v_cmp_ne_u32_e32 vcc_lo, 1, v4
	v_mov_b32_e32 v26, v10
	s_cbranch_vccnz .LBB196_6
; %bb.5:
	global_load_u16 v5, v3, s[6:7] offset:128
	s_waitcnt vmcnt(0)
	v_lshlrev_b32_e32 v5, 16, v5
	s_delay_alu instid0(VALU_DEP_1)
	v_add_f32_e32 v26, v10, v5
.LBB196_6:
	global_load_u16 v5, v[1:2], off offset:192
	s_waitcnt vmcnt(0)
	v_cvt_f32_f16_e32 v6, v5
	s_delay_alu instid0(VALU_DEP_1) | instskip(NEXT) | instid1(VALU_DEP_1)
	v_mul_f32_e32 v7, 0x3fb8aa3b, v6
	v_cmp_gt_f32_e32 vcc_lo, 0xc2fc0000, v7
	v_cndmask_b32_e64 v8, 0, 0x42800000, vcc_lo
	v_cndmask_b32_e64 v7, 1.0, 0x1f800000, vcc_lo
	s_delay_alu instid0(VALU_DEP_2) | instskip(NEXT) | instid1(VALU_DEP_1)
	v_fma_mix_f32 v8, v5, s3, v8 op_sel_hi:[1,0,0]
	v_exp_f32_e32 v8, v8
	s_waitcnt_depctr 0xfff
	v_fma_f32 v7, v8, v7, 1.0
	s_delay_alu instid0(VALU_DEP_1) | instskip(SKIP_1) | instid1(VALU_DEP_1)
	v_cmp_gt_f32_e32 vcc_lo, 0x800000, v7
	v_cndmask_b32_e64 v8, 1.0, 0x4f800000, vcc_lo
	v_mul_f32_e32 v7, v7, v8
	v_cndmask_b32_e64 v8, 0, 0x42000000, vcc_lo
	v_cmp_lt_f16_e32 vcc_lo, 0x4d00, v5
	s_delay_alu instid0(VALU_DEP_3) | instskip(SKIP_2) | instid1(VALU_DEP_1)
	v_log_f32_e32 v7, v7
	s_waitcnt_depctr 0xfff
	v_sub_f32_e32 v7, v7, v8
	v_mul_f32_e32 v7, 0x3f317218, v7
	s_delay_alu instid0(VALU_DEP_1) | instskip(NEXT) | instid1(VALU_DEP_1)
	v_cndmask_b32_e32 v5, v7, v6, vcc_lo
	v_mul_f32_e32 v6, 0x4f800000, v5
	v_cmp_gt_f32_e32 vcc_lo, 0xf800000, v5
	s_delay_alu instid0(VALU_DEP_2) | instskip(NEXT) | instid1(VALU_DEP_1)
	v_cndmask_b32_e32 v5, v5, v6, vcc_lo
	v_sqrt_f32_e32 v6, v5
	s_waitcnt_depctr 0xfff
	v_add_nc_u32_e32 v7, -1, v6
	v_add_nc_u32_e32 v8, 1, v6
	s_delay_alu instid0(VALU_DEP_2) | instskip(NEXT) | instid1(VALU_DEP_2)
	v_fma_f32 v11, -v7, v6, v5
	v_fma_f32 v12, -v8, v6, v5
	s_delay_alu instid0(VALU_DEP_2) | instskip(NEXT) | instid1(VALU_DEP_1)
	v_cmp_ge_f32_e64 s2, 0, v11
	v_cndmask_b32_e64 v6, v6, v7, s2
	s_delay_alu instid0(VALU_DEP_3) | instskip(NEXT) | instid1(VALU_DEP_1)
	v_cmp_lt_f32_e64 s2, 0, v12
	v_cndmask_b32_e64 v6, v6, v8, s2
	s_delay_alu instid0(VALU_DEP_1) | instskip(NEXT) | instid1(VALU_DEP_1)
	v_mul_f32_e32 v7, 0x37800000, v6
	v_cndmask_b32_e32 v6, v6, v7, vcc_lo
	v_cmp_class_f32_e64 vcc_lo, v5, 0x260
	s_delay_alu instid0(VALU_DEP_2) | instskip(SKIP_1) | instid1(VALU_DEP_2)
	v_cndmask_b32_e32 v11, v6, v5, vcc_lo
	v_cmp_ne_u32_e32 vcc_lo, 1, v4
	v_mov_b32_e32 v27, v11
	s_cbranch_vccnz .LBB196_8
; %bb.7:
	global_load_u16 v5, v3, s[6:7] offset:192
	s_waitcnt vmcnt(0)
	v_lshlrev_b32_e32 v5, 16, v5
	s_delay_alu instid0(VALU_DEP_1)
	v_add_f32_e32 v27, v11, v5
.LBB196_8:
	global_load_u16 v5, v[1:2], off offset:256
	;; [unrolled: 59-line block ×5, first 2 shown]
	s_waitcnt vmcnt(0)
	v_cvt_f32_f16_e32 v2, v1
	s_delay_alu instid0(VALU_DEP_1) | instskip(NEXT) | instid1(VALU_DEP_1)
	v_mul_f32_e32 v5, 0x3fb8aa3b, v2
	v_cmp_gt_f32_e32 vcc_lo, 0xc2fc0000, v5
	v_cndmask_b32_e64 v6, 0, 0x42800000, vcc_lo
	v_cndmask_b32_e64 v5, 1.0, 0x1f800000, vcc_lo
	s_delay_alu instid0(VALU_DEP_2) | instskip(NEXT) | instid1(VALU_DEP_1)
	v_fma_mix_f32 v6, v1, s3, v6 op_sel_hi:[1,0,0]
	v_exp_f32_e32 v6, v6
	s_waitcnt_depctr 0xfff
	v_fma_f32 v5, v6, v5, 1.0
	s_delay_alu instid0(VALU_DEP_1) | instskip(SKIP_1) | instid1(VALU_DEP_1)
	v_cmp_gt_f32_e32 vcc_lo, 0x800000, v5
	v_cndmask_b32_e64 v6, 1.0, 0x4f800000, vcc_lo
	v_mul_f32_e32 v5, v5, v6
	v_cndmask_b32_e64 v6, 0, 0x42000000, vcc_lo
	v_cmp_lt_f16_e32 vcc_lo, 0x4d00, v1
	s_delay_alu instid0(VALU_DEP_3) | instskip(SKIP_2) | instid1(VALU_DEP_1)
	v_log_f32_e32 v5, v5
	s_waitcnt_depctr 0xfff
	v_sub_f32_e32 v5, v5, v6
	v_mul_f32_e32 v5, 0x3f317218, v5
	s_delay_alu instid0(VALU_DEP_1) | instskip(NEXT) | instid1(VALU_DEP_1)
	v_cndmask_b32_e32 v1, v5, v2, vcc_lo
	v_mul_f32_e32 v2, 0x4f800000, v1
	v_cmp_gt_f32_e32 vcc_lo, 0xf800000, v1
	s_delay_alu instid0(VALU_DEP_2) | instskip(NEXT) | instid1(VALU_DEP_1)
	v_cndmask_b32_e32 v1, v1, v2, vcc_lo
	v_sqrt_f32_e32 v2, v1
	s_waitcnt_depctr 0xfff
	v_add_nc_u32_e32 v5, -1, v2
	v_add_nc_u32_e32 v6, 1, v2
	s_delay_alu instid0(VALU_DEP_2) | instskip(NEXT) | instid1(VALU_DEP_2)
	v_fma_f32 v7, -v5, v2, v1
	v_fma_f32 v8, -v6, v2, v1
	s_delay_alu instid0(VALU_DEP_2) | instskip(NEXT) | instid1(VALU_DEP_1)
	v_cmp_ge_f32_e64 s2, 0, v7
	v_cndmask_b32_e64 v2, v2, v5, s2
	s_delay_alu instid0(VALU_DEP_3) | instskip(NEXT) | instid1(VALU_DEP_1)
	v_cmp_lt_f32_e64 s2, 0, v8
	v_cndmask_b32_e64 v2, v2, v6, s2
	s_delay_alu instid0(VALU_DEP_1) | instskip(NEXT) | instid1(VALU_DEP_1)
	v_mul_f32_e32 v5, 0x37800000, v2
	v_cndmask_b32_e32 v2, v2, v5, vcc_lo
	v_cmp_class_f32_e64 vcc_lo, v1, 0x260
	s_delay_alu instid0(VALU_DEP_2)
	v_cndmask_b32_e32 v15, v2, v1, vcc_lo
	v_cmp_ne_u32_e32 vcc_lo, 1, v4
	s_cbranch_vccnz .LBB196_16
; %bb.15:
	global_load_u16 v1, v3, s[6:7] offset:448
	s_waitcnt vmcnt(0)
	v_lshlrev_b32_e32 v1, 16, v1
	s_delay_alu instid0(VALU_DEP_1)
	v_add_f32_e32 v31, v15, v1
	s_branch .LBB196_17
.LBB196_16:
	s_delay_alu instid0(VALU_DEP_2)
	v_mov_b32_e32 v31, v15
.LBB196_17:
	v_add_nc_u32_e32 v7, 0xe0, v0
	v_dual_mov_b32 v16, v24 :: v_dual_add_nc_u32 v1, 32, v0
	v_dual_mov_b32 v17, v25 :: v_dual_add_nc_u32 v2, 64, v0
	;; [unrolled: 1-line block ×6, first 2 shown]
	v_dual_mov_b32 v22, v30 :: v_dual_mov_b32 v39, v7
	s_delay_alu instid0(VALU_DEP_2)
	v_dual_mov_b32 v47, v7 :: v_dual_mov_b32 v46, v6
	v_dual_mov_b32 v71, v7 :: v_dual_mov_b32 v70, v6
	;; [unrolled: 1-line block ×16, first 2 shown]
	v_mov_b32_e32 v8, v56
	s_mov_b32 s2, exec_lo
	v_cmpx_lt_f32_e32 v24, v25
	s_xor_b32 s2, exec_lo, s2
	s_cbranch_execz .LBB196_19
; %bb.18:
	v_dual_mov_b32 v38, v6 :: v_dual_mov_b32 v39, v7
	v_dual_mov_b32 v32, v1 :: v_dual_mov_b32 v33, v0
	;; [unrolled: 1-line block ×4, first 2 shown]
	s_delay_alu instid0(VALU_DEP_4)
	v_dual_mov_b32 v47, v39 :: v_dual_mov_b32 v46, v38
	v_dual_mov_b32 v71, v39 :: v_dual_mov_b32 v70, v38
	;; [unrolled: 1-line block ×17, first 2 shown]
	v_mov_b32_e32 v9, v56
	v_mov_b32_e32 v1, v0
.LBB196_19:
	s_or_b32 exec_lo, exec_lo, s2
	v_dual_mov_b32 v63, v15 :: v_dual_mov_b32 v62, v14
	v_dual_mov_b32 v79, v15 :: v_dual_mov_b32 v78, v14
	;; [unrolled: 1-line block ×16, first 2 shown]
	v_mov_b32_e32 v24, v18
	s_mov_b32 s2, exec_lo
	v_cmpx_lt_f32_e32 v25, v18
	s_cbranch_execz .LBB196_21
; %bb.20:
	v_dual_mov_b32 v55, v39 :: v_dual_mov_b32 v54, v38
	v_dual_mov_b32 v51, v35 :: v_dual_mov_b32 v50, v34
	;; [unrolled: 1-line block ×16, first 2 shown]
	v_mov_b32_e32 v83, v11
	v_dual_mov_b32 v85, v93 :: v_dual_mov_b32 v86, v94
	v_dual_mov_b32 v87, v95 :: v_dual_mov_b32 v40, v64
	;; [unrolled: 1-line block ×3, first 2 shown]
	v_mov_b32_e32 v42, v66
	v_dual_mov_b32 v17, v18 :: v_dual_mov_b32 v72, v80
	v_dual_mov_b32 v41, v65 :: v_dual_mov_b32 v44, v68
	;; [unrolled: 1-line block ×10, first 2 shown]
	s_delay_alu instid0(VALU_DEP_2)
	v_dual_mov_b32 v56, v72 :: v_dual_mov_b32 v57, v73
	v_dual_mov_b32 v36, v44 :: v_dual_mov_b32 v37, v45
	;; [unrolled: 1-line block ×11, first 2 shown]
	v_mov_b32_e32 v2, v1
.LBB196_21:
	s_or_b32 exec_lo, exec_lo, s2
	v_mov_b32_e32 v1, v19
	s_mov_b32 s2, exec_lo
	v_cmpx_lt_f32_e32 v24, v19
	s_cbranch_execz .LBB196_23
; %bb.22:
	v_mov_b32_e32 v90, v11
	v_mov_b32_e32 v50, v3
	v_dual_mov_b32 v80, v88 :: v_dual_mov_b32 v81, v89
	v_dual_mov_b32 v71, v55 :: v_dual_mov_b32 v70, v54
	;; [unrolled: 1-line block ×3, first 2 shown]
	s_delay_alu instid0(VALU_DEP_4)
	v_dual_mov_b32 v83, v91 :: v_dual_mov_b32 v66, v50
	v_dual_mov_b32 v65, v49 :: v_dual_mov_b32 v68, v52
	;; [unrolled: 1-line block ×3, first 2 shown]
	v_mov_b32_e32 v67, v2
	v_dual_mov_b32 v82, v90 :: v_dual_mov_b32 v87, v95
	v_dual_mov_b32 v85, v93 :: v_dual_mov_b32 v86, v94
	;; [unrolled: 1-line block ×11, first 2 shown]
	v_mov_b32_e32 v44, v4
	v_dual_mov_b32 v56, v72 :: v_dual_mov_b32 v57, v73
	v_dual_mov_b32 v32, v40 :: v_dual_mov_b32 v35, v43
	;; [unrolled: 1-line block ×3, first 2 shown]
	s_delay_alu instid0(VALU_DEP_4)
	v_dual_mov_b32 v37, v45 :: v_dual_mov_b32 v36, v44
	v_dual_mov_b32 v39, v47 :: v_dual_mov_b32 v38, v46
	;; [unrolled: 1-line block ×3, first 2 shown]
	v_mov_b32_e32 v63, v79
	v_dual_mov_b32 v61, v77 :: v_dual_mov_b32 v62, v78
	v_mov_b32_e32 v39, v7
	v_dual_mov_b32 v18, v19 :: v_dual_mov_b32 v19, v24
	v_dual_mov_b32 v60, v76 :: v_dual_mov_b32 v37, v5
	;; [unrolled: 1-line block ×4, first 2 shown]
	v_mov_b32_e32 v1, v24
	v_mov_b32_e32 v11, v10
	;; [unrolled: 1-line block ×3, first 2 shown]
.LBB196_23:
	s_or_b32 exec_lo, exec_lo, s2
	v_mov_b32_e32 v2, v20
	s_mov_b32 s2, exec_lo
	v_cmpx_lt_f32_e32 v1, v20
	s_cbranch_execz .LBB196_25
; %bb.24:
	v_mov_b32_e32 v91, v12
	v_mov_b32_e32 v51, v4
	;; [unrolled: 1-line block ×4, first 2 shown]
	v_dual_mov_b32 v40, v48 :: v_dual_mov_b32 v41, v49
	v_dual_mov_b32 v42, v50 :: v_dual_mov_b32 v47, v55
	;; [unrolled: 1-line block ×4, first 2 shown]
	v_mov_b32_e32 v44, v3
	v_dual_mov_b32 v76, v11 :: v_dual_mov_b32 v19, v20
	v_dual_mov_b32 v45, v53 :: v_dual_mov_b32 v46, v54
	;; [unrolled: 1-line block ×4, first 2 shown]
	v_mov_b32_e32 v73, v89
	v_mov_b32_e32 v56, v72
	v_dual_mov_b32 v32, v40 :: v_dual_mov_b32 v33, v41
	v_dual_mov_b32 v60, v76 :: v_dual_mov_b32 v61, v77
	;; [unrolled: 1-line block ×9, first 2 shown]
	v_mov_b32_e32 v59, v75
	v_dual_mov_b32 v37, v5 :: v_dual_mov_b32 v38, v6
	v_dual_mov_b32 v39, v7 :: v_dual_mov_b32 v62, v14
	;; [unrolled: 1-line block ×10, first 2 shown]
	v_mov_b32_e32 v4, v3
.LBB196_25:
	s_or_b32 exec_lo, exec_lo, s2
	v_mov_b32_e32 v1, v21
	s_mov_b32 s2, exec_lo
	v_cmpx_lt_f32_e32 v2, v21
	s_cbranch_execz .LBB196_27
; %bb.26:
	v_mov_b32_e32 v68, v5
	v_dual_mov_b32 v20, v21 :: v_dual_mov_b32 v21, v2
	v_mov_b32_e32 v84, v13
	v_dual_mov_b32 v32, v64 :: v_dual_mov_b32 v33, v65
	v_dual_mov_b32 v39, v71 :: v_dual_mov_b32 v56, v80
	;; [unrolled: 1-line block ×7, first 2 shown]
	v_mov_b32_e32 v61, v12
	v_dual_mov_b32 v72, v80 :: v_dual_mov_b32 v73, v81
	v_dual_mov_b32 v40, v64 :: v_dual_mov_b32 v41, v65
	;; [unrolled: 1-line block ×9, first 2 shown]
	v_mov_b32_e32 v45, v69
	v_mov_b32_e32 v1, v2
	;; [unrolled: 1-line block ×3, first 2 shown]
	v_dual_mov_b32 v5, v4 :: v_dual_mov_b32 v78, v86
	v_dual_mov_b32 v79, v87 :: v_dual_mov_b32 v46, v70
	v_mov_b32_e32 v47, v71
.LBB196_27:
	s_or_b32 exec_lo, exec_lo, s2
	v_mov_b32_e32 v2, v22
	s_mov_b32 s2, exec_lo
	v_cmpx_lt_f32_e32 v1, v22
	s_cbranch_execz .LBB196_29
; %bb.28:
	v_dual_mov_b32 v77, v14 :: v_dual_mov_b32 v78, v13
	v_dual_mov_b32 v45, v6 :: v_dual_mov_b32 v46, v5
	v_mov_b32_e32 v79, v15
	v_dual_mov_b32 v21, v22 :: v_dual_mov_b32 v22, v1
	v_dual_mov_b32 v47, v7 :: v_dual_mov_b32 v56, v72
	;; [unrolled: 1-line block ×10, first 2 shown]
.LBB196_29:
	s_or_b32 exec_lo, exec_lo, s2
	s_delay_alu instid0(VALU_DEP_1)
	v_cmp_lt_f32_e32 vcc_lo, v2, v23
	v_mov_b32_e32 v43, v59
	v_cmp_lt_f32_e64 s2, v16, v17
	v_dual_mov_b32 v41, v57 :: v_dual_mov_b32 v42, v58
	v_dual_cndmask_b32 v9, v23, v2 :: v_dual_mov_b32 v44, v60
	v_dual_cndmask_b32 v22, v22, v23 :: v_dual_cndmask_b32 v47, v63, v62
	s_delay_alu instid0(VALU_DEP_2)
	v_dual_mov_b32 v40, v56 :: v_dual_mov_b32 v23, v9
	v_dual_cndmask_b32 v46, v62, v63 :: v_dual_mov_b32 v1, v16
	v_dual_mov_b32 v4, v19 :: v_dual_mov_b32 v45, v61
	v_dual_cndmask_b32 v54, v38, v39 :: v_dual_cndmask_b32 v55, v39, v38
	v_dual_mov_b32 v2, v17 :: v_dual_mov_b32 v3, v18
	v_dual_mov_b32 v6, v21 :: v_dual_mov_b32 v5, v20
	;; [unrolled: 1-line block ×6, first 2 shown]
	s_and_saveexec_b32 s3, s2
	s_delay_alu instid0(SALU_CYCLE_1)
	s_xor_b32 s2, exec_lo, s3
	s_cbranch_execz .LBB196_31
; %bb.30:
	v_dual_mov_b32 v2, v17 :: v_dual_mov_b32 v3, v16
	v_dual_mov_b32 v4, v18 :: v_dual_mov_b32 v5, v19
	;; [unrolled: 1-line block ×4, first 2 shown]
	s_delay_alu instid0(VALU_DEP_4)
	v_dual_mov_b32 v1, v2 :: v_dual_mov_b32 v40, v57
	v_dual_mov_b32 v2, v3 :: v_dual_mov_b32 v41, v56
	;; [unrolled: 1-line block ×10, first 2 shown]
.LBB196_31:
	s_or_b32 exec_lo, exec_lo, s2
	v_dual_mov_b32 v26, v40 :: v_dual_mov_b32 v27, v41
	v_dual_mov_b32 v79, v47 :: v_dual_mov_b32 v78, v46
	;; [unrolled: 1-line block ×22, first 2 shown]
	v_mov_b32_e32 v34, v3
	s_mov_b32 s2, exec_lo
	v_dual_mov_b32 v77, v45 :: v_dual_mov_b32 v76, v44
	v_dual_mov_b32 v69, v53 :: v_dual_mov_b32 v68, v52
	v_cmpx_lt_f32_e32 v17, v3
	s_cbranch_execz .LBB196_33
; %bb.32:
	v_dual_mov_b32 v9, v48 :: v_dual_mov_b32 v10, v49
	v_dual_mov_b32 v15, v54 :: v_dual_mov_b32 v16, v55
	v_mov_b32_e32 v10, v50
	v_dual_mov_b32 v11, v50 :: v_dual_mov_b32 v12, v51
	v_dual_mov_b32 v13, v52 :: v_dual_mov_b32 v14, v53
	;; [unrolled: 1-line block ×3, first 2 shown]
	v_mov_b32_e32 v11, v49
	v_dual_mov_b32 v59, v43 :: v_dual_mov_b32 v58, v42
	v_dual_mov_b32 v57, v41 :: v_dual_mov_b32 v56, v40
	;; [unrolled: 1-line block ×14, first 2 shown]
	v_mov_b32_e32 v23, v69
	v_dual_mov_b32 v23, v53 :: v_dual_mov_b32 v26, v72
	v_dual_mov_b32 v19, v65 :: v_dual_mov_b32 v22, v68
	v_dual_mov_b32 v21, v67 :: v_dual_mov_b32 v24, v70
	v_dual_mov_b32 v25, v71 :: v_dual_mov_b32 v24, v54
	v_dual_mov_b32 v27, v73 :: v_dual_mov_b32 v30, v76
	v_dual_mov_b32 v29, v75 :: v_dual_mov_b32 v32, v78
	v_dual_mov_b32 v31, v77 :: v_dual_mov_b32 v30, v44
	v_dual_mov_b32 v33, v79 :: v_dual_mov_b32 v32, v46
	v_dual_mov_b32 v2, v3 :: v_dual_mov_b32 v3, v17
	v_dual_mov_b32 v22, v52 :: v_dual_mov_b32 v25, v55
	v_dual_mov_b32 v28, v74 :: v_dual_mov_b32 v31, v45
	v_dual_mov_b32 v33, v47 :: v_dual_mov_b32 v34, v17
	v_mov_b32_e32 v42, v41
	v_mov_b32_e32 v50, v49
.LBB196_33:
	s_or_b32 exec_lo, exec_lo, s2
	v_mov_b32_e32 v17, v4
	s_mov_b32 s2, exec_lo
	v_cmpx_lt_f32_e32 v34, v4
	s_cbranch_execz .LBB196_35
; %bb.34:
	v_mov_b32_e32 v11, v51
	v_dual_mov_b32 v3, v4 :: v_dual_mov_b32 v4, v34
	v_dual_mov_b32 v58, v43 :: v_dual_mov_b32 v71, v16
	v_mov_b32_e32 v64, v9
	v_dual_mov_b32 v70, v15 :: v_dual_mov_b32 v69, v14
	v_dual_mov_b32 v79, v63 :: v_dual_mov_b32 v76, v60
	;; [unrolled: 1-line block ×5, first 2 shown]
	v_mov_b32_e32 v67, v50
	v_dual_mov_b32 v78, v62 :: v_dual_mov_b32 v77, v61
	v_dual_mov_b32 v74, v58 :: v_dual_mov_b32 v73, v57
	;; [unrolled: 1-line block ×14, first 2 shown]
	v_mov_b32_e32 v33, v47
	v_mov_b32_e32 v17, v34
	;; [unrolled: 1-line block ×4, first 2 shown]
.LBB196_35:
	s_or_b32 exec_lo, exec_lo, s2
	v_mov_b32_e32 v12, v5
	s_mov_b32 s2, exec_lo
	v_cmpx_lt_f32_e32 v17, v5
	s_cbranch_execz .LBB196_37
; %bb.36:
	v_mov_b32_e32 v12, v52
	v_dual_mov_b32 v4, v5 :: v_dual_mov_b32 v59, v44
	v_mov_b32_e32 v5, v17
	v_dual_mov_b32 v25, v16 :: v_dual_mov_b32 v24, v15
	v_dual_mov_b32 v26, v56 :: v_dual_mov_b32 v27, v57
	;; [unrolled: 1-line block ×19, first 2 shown]
	v_mov_b32_e32 v12, v17
	v_mov_b32_e32 v44, v43
	v_dual_mov_b32 v52, v51 :: v_dual_mov_b32 v77, v61
	v_mov_b32_e32 v76, v60
.LBB196_37:
	s_or_b32 exec_lo, exec_lo, s2
	v_mov_b32_e32 v9, v6
	s_mov_b32 s2, exec_lo
	v_cmpx_lt_f32_e32 v12, v6
	s_cbranch_execz .LBB196_39
; %bb.38:
	v_dual_mov_b32 v68, v53 :: v_dual_mov_b32 v69, v52
	v_dual_mov_b32 v70, v54 :: v_dual_mov_b32 v77, v44
	;; [unrolled: 1-line block ×13, first 2 shown]
	v_mov_b32_e32 v9, v12
.LBB196_39:
	s_or_b32 exec_lo, exec_lo, s2
	s_delay_alu instid0(VALU_DEP_1)
	v_cmp_lt_f32_e32 vcc_lo, v9, v7
	v_mov_b32_e32 v11, v3
	v_mov_b32_e32 v13, v5
	s_mov_b32 s2, exec_lo
	v_dual_mov_b32 v10, v2 :: v_dual_cndmask_b32 v17, v32, v31
	v_dual_cndmask_b32 v31, v31, v32 :: v_dual_cndmask_b32 v66, v24, v23
	v_dual_cndmask_b32 v23, v23, v24 :: v_dual_cndmask_b32 v14, v6, v7
	v_dual_cndmask_b32 v15, v7, v9 :: v_dual_mov_b32 v12, v4
	v_dual_mov_b32 v9, v1 :: v_dual_mov_b32 v16, v8
	v_cmpx_lt_f32_e32 v1, v2
	s_cbranch_execz .LBB196_41
; %bb.40:
	s_delay_alu instid0(VALU_DEP_2) | instskip(NEXT) | instid1(VALU_DEP_3)
	v_dual_mov_b32 v2, v10 :: v_dual_mov_b32 v3, v9
	v_dual_mov_b32 v8, v15 :: v_dual_mov_b32 v9, v16
	;; [unrolled: 1-line block ×4, first 2 shown]
	s_delay_alu instid0(VALU_DEP_3) | instskip(NEXT) | instid1(VALU_DEP_4)
	v_mov_b32_e32 v16, v9
	v_dual_mov_b32 v24, v26 :: v_dual_mov_b32 v15, v8
	s_delay_alu instid0(VALU_DEP_4)
	v_dual_mov_b32 v32, v18 :: v_dual_mov_b32 v11, v4
	v_swap_b32 v26, v27
	v_swap_b32 v18, v19
	v_dual_mov_b32 v14, v7 :: v_dual_mov_b32 v13, v6
	v_mov_b32_e32 v12, v5
	v_dual_mov_b32 v10, v3 :: v_dual_mov_b32 v9, v2
	v_mov_b32_e32 v2, v1
.LBB196_41:
	s_or_b32 exec_lo, exec_lo, s2
	v_mov_b32_e32 v24, v66
	v_mov_b32_e32 v32, v17
	v_mov_b32_e32 v49, v25
	v_mov_b32_e32 v47, v23
	s_delay_alu instid0(VALU_DEP_4)
	v_dual_mov_b32 v41, v33 :: v_dual_mov_b32 v48, v24
	v_dual_mov_b32 v34, v26 :: v_dual_mov_b32 v65, v33
	;; [unrolled: 1-line block ×15, first 2 shown]
	v_mov_b32_e32 v50, v18
	s_mov_b32 s2, exec_lo
	v_cmpx_lt_f32_e32 v2, v11
	s_cbranch_execz .LBB196_43
; %bb.42:
	v_dual_mov_b32 v57, v25 :: v_dual_mov_b32 v56, v24
	v_dual_mov_b32 v53, v21 :: v_dual_mov_b32 v52, v20
	;; [unrolled: 1-line block ×7, first 2 shown]
	s_delay_alu instid0(VALU_DEP_4)
	v_dual_mov_b32 v42, v50 :: v_dual_mov_b32 v43, v51
	v_dual_mov_b32 v63, v31 :: v_dual_mov_b32 v62, v30
	;; [unrolled: 1-line block ×18, first 2 shown]
	v_mov_b32_e32 v1, v2
.LBB196_43:
	s_or_b32 exec_lo, exec_lo, s2
	v_mov_b32_e32 v2, v12
	s_mov_b32 s2, exec_lo
	s_delay_alu instid0(VALU_DEP_2)
	v_cmpx_lt_f32_e32 v1, v12
	s_cbranch_execz .LBB196_45
; %bb.44:
	v_dual_mov_b32 v52, v21 :: v_dual_mov_b32 v11, v12
	v_mov_b32_e32 v60, v29
	v_dual_mov_b32 v42, v50 :: v_dual_mov_b32 v45, v53
	v_dual_mov_b32 v47, v55 :: v_dual_mov_b32 v34, v58
	s_delay_alu instid0(VALU_DEP_4)
	v_dual_mov_b32 v37, v61 :: v_dual_mov_b32 v44, v52
	v_dual_mov_b32 v49, v57 :: v_dual_mov_b32 v46, v54
	v_mov_b32_e32 v45, v20
	v_dual_mov_b32 v48, v56 :: v_dual_mov_b32 v47, v23
	v_dual_mov_b32 v36, v60 :: v_dual_mov_b32 v39, v63
	;; [unrolled: 1-line block ×9, first 2 shown]
	v_mov_b32_e32 v41, v33
	v_dual_mov_b32 v2, v1 :: v_dual_mov_b32 v21, v20
.LBB196_45:
	s_or_b32 exec_lo, exec_lo, s2
	v_mov_b32_e32 v1, v13
	s_mov_b32 s2, exec_lo
	s_delay_alu instid0(VALU_DEP_2)
	v_cmpx_lt_f32_e32 v2, v13
	s_cbranch_execz .LBB196_47
; %bb.46:
	v_dual_mov_b32 v53, v22 :: v_dual_mov_b32 v54, v21
	v_dual_mov_b32 v55, v23 :: v_dual_mov_b32 v56, v66
	;; [unrolled: 1-line block ×4, first 2 shown]
	v_mov_b32_e32 v57, v25
	v_dual_mov_b32 v65, v33 :: v_dual_mov_b32 v42, v50
	v_mov_b32_e32 v34, v58
	v_dual_mov_b32 v12, v13 :: v_dual_mov_b32 v13, v2
	v_dual_mov_b32 v35, v59 :: v_dual_mov_b32 v36, v60
	;; [unrolled: 1-line block ×7, first 2 shown]
	v_mov_b32_e32 v47, v55
	v_mov_b32_e32 v49, v57
	;; [unrolled: 1-line block ×3, first 2 shown]
.LBB196_47:
	s_or_b32 exec_lo, exec_lo, s2
	s_delay_alu instid0(VALU_DEP_1)
	v_cmp_lt_f32_e32 vcc_lo, v1, v14
	v_dual_mov_b32 v20, v10 :: v_dual_mov_b32 v25, v15
	v_mov_b32_e32 v22, v12
	v_dual_mov_b32 v26, v16 :: v_dual_cndmask_b32 v27, v39, v38
	v_cndmask_b32_e32 v38, v38, v39, vcc_lo
	v_dual_cndmask_b32 v28, v47, v46 :: v_dual_mov_b32 v19, v9
	v_dual_cndmask_b32 v46, v46, v47 :: v_dual_cndmask_b32 v23, v13, v14
	v_dual_cndmask_b32 v24, v14, v1 :: v_dual_mov_b32 v21, v11
	s_mov_b32 s2, exec_lo
	v_cmpx_lt_f32_e32 v9, v10
	s_cbranch_execz .LBB196_49
; %bb.48:
	v_dual_mov_b32 v7, v25 :: v_dual_mov_b32 v8, v26
	v_dual_mov_b32 v1, v20 :: v_dual_mov_b32 v2, v19
	;; [unrolled: 1-line block ×4, first 2 shown]
	s_delay_alu instid0(VALU_DEP_4)
	v_dual_mov_b32 v11, v34 :: v_dual_mov_b32 v26, v8
	v_dual_mov_b32 v12, v42 :: v_dual_mov_b32 v25, v7
	v_swap_b32 v34, v35
	v_swap_b32 v42, v43
	v_dual_mov_b32 v24, v6 :: v_dual_mov_b32 v23, v5
	v_dual_mov_b32 v22, v4 :: v_dual_mov_b32 v21, v3
	;; [unrolled: 1-line block ×3, first 2 shown]
	v_mov_b32_e32 v10, v9
.LBB196_49:
	s_or_b32 exec_lo, exec_lo, s2
	v_mov_b32_e32 v47, v28
	v_mov_b32_e32 v39, v27
	v_dual_mov_b32 v1, v42 :: v_dual_mov_b32 v4, v45
	v_dual_mov_b32 v11, v34 :: v_dual_mov_b32 v14, v37
	;; [unrolled: 1-line block ×3, first 2 shown]
	s_delay_alu instid0(VALU_DEP_4)
	v_dual_mov_b32 v16, v39 :: v_dual_mov_b32 v15, v38
	v_dual_mov_b32 v18, v41 :: v_dual_mov_b32 v17, v40
	;; [unrolled: 1-line block ×5, first 2 shown]
	v_mov_b32_e32 v9, v21
	s_mov_b32 s2, exec_lo
	v_cmpx_lt_f32_e32 v10, v21
	s_cbranch_execz .LBB196_51
; %bb.50:
	v_dual_mov_b32 v1, v42 :: v_dual_mov_b32 v2, v43
	v_dual_mov_b32 v5, v46 :: v_dual_mov_b32 v6, v47
	;; [unrolled: 1-line block ×16, first 2 shown]
	v_mov_b32_e32 v18, v41
	v_mov_b32_e32 v36, v35
	;; [unrolled: 1-line block ×3, first 2 shown]
.LBB196_51:
	s_or_b32 exec_lo, exec_lo, s2
	v_mov_b32_e32 v29, v22
	s_mov_b32 s2, exec_lo
	v_cmpx_lt_f32_e32 v9, v22
; %bb.52:
	v_dual_mov_b32 v21, v22 :: v_dual_mov_b32 v22, v9
	v_dual_mov_b32 v3, v45 :: v_dual_mov_b32 v4, v44
	v_dual_mov_b32 v5, v46 :: v_dual_mov_b32 v6, v28
	v_dual_mov_b32 v7, v48 :: v_dual_mov_b32 v8, v49
	v_dual_mov_b32 v13, v37 :: v_dual_mov_b32 v14, v36
	v_dual_mov_b32 v15, v38 :: v_dual_mov_b32 v16, v27
	v_dual_mov_b32 v17, v40 :: v_dual_mov_b32 v18, v41
	v_mov_b32_e32 v29, v9
; %bb.53:
	s_or_b32 exec_lo, exec_lo, s2
	s_delay_alu instid0(VALU_DEP_1)
	v_cmp_lt_f32_e32 vcc_lo, v29, v23
	v_dual_mov_b32 v28, v20 :: v_dual_mov_b32 v33, v25
	v_mov_b32_e32 v32, v24
	v_dual_mov_b32 v34, v26 :: v_dual_cndmask_b32 v9, v15, v14
	v_cndmask_b32_e32 v14, v14, v15, vcc_lo
	v_dual_cndmask_b32 v10, v5, v4 :: v_dual_cndmask_b32 v31, v23, v29
	v_dual_cndmask_b32 v4, v4, v5 :: v_dual_mov_b32 v27, v19
	v_dual_cndmask_b32 v30, v22, v23 :: v_dual_mov_b32 v29, v21
	s_mov_b32 s2, exec_lo
	v_cmpx_lt_f32_e32 v19, v20
	s_cbranch_execz .LBB196_55
; %bb.54:
	v_dual_mov_b32 v20, v28 :: v_dual_mov_b32 v21, v27
	v_dual_mov_b32 v26, v33 :: v_dual_mov_b32 v27, v34
	;; [unrolled: 1-line block ×4, first 2 shown]
	s_delay_alu instid0(VALU_DEP_3) | instskip(SKIP_2) | instid1(VALU_DEP_4)
	v_dual_mov_b32 v15, v1 :: v_dual_mov_b32 v34, v27
	v_mov_b32_e32 v5, v11
	v_swap_b32 v11, v12
	v_mov_b32_e32 v32, v25
	v_swap_b32 v1, v2
	v_dual_mov_b32 v33, v26 :: v_dual_mov_b32 v30, v23
	v_dual_mov_b32 v31, v24 :: v_dual_mov_b32 v28, v21
	v_mov_b32_e32 v29, v22
	v_dual_mov_b32 v27, v20 :: v_dual_mov_b32 v20, v19
.LBB196_55:
	s_or_b32 exec_lo, exec_lo, s2
	v_mov_b32_e32 v5, v10
	v_mov_b32_e32 v15, v9
	v_mov_b32_e32 v19, v29
	s_mov_b32 s2, exec_lo
	v_cmpx_lt_f32_e32 v20, v29
	s_cbranch_execz .LBB196_57
; %bb.56:
	v_dual_mov_b32 v50, v18 :: v_dual_mov_b32 v49, v17
	v_dual_mov_b32 v42, v8 :: v_dual_mov_b32 v41, v7
	;; [unrolled: 1-line block ×14, first 2 shown]
	v_mov_b32_e32 v50, v18
	v_dual_mov_b32 v28, v29 :: v_dual_mov_b32 v29, v20
	v_dual_mov_b32 v42, v8 :: v_dual_mov_b32 v11, v43
	;; [unrolled: 1-line block ×10, first 2 shown]
.LBB196_57:
	s_or_b32 exec_lo, exec_lo, s2
	s_delay_alu instid0(VALU_DEP_1) | instskip(NEXT) | instid1(VALU_DEP_3)
	v_cmp_lt_f32_e32 vcc_lo, v19, v30
	v_dual_mov_b32 v20, v5 :: v_dual_mov_b32 v21, v6
	s_delay_alu instid0(VALU_DEP_3)
	v_dual_mov_b32 v22, v7 :: v_dual_mov_b32 v23, v8
	v_dual_cndmask_b32 v9, v14, v13 :: v_dual_cndmask_b32 v10, v4, v3
	v_dual_cndmask_b32 v35, v13, v14 :: v_dual_cndmask_b32 v36, v3, v4
	v_dual_cndmask_b32 v3, v30, v19 :: v_dual_cndmask_b32 v30, v29, v30
	v_dual_mov_b32 v4, v15 :: v_dual_mov_b32 v13, v16
	v_dual_mov_b32 v14, v17 :: v_dual_mov_b32 v19, v18
	;; [unrolled: 1-line block ×4, first 2 shown]
	v_mov_b32_e32 v29, v34
	s_mov_b32 s2, exec_lo
	v_cmpx_lt_f32_e32 v27, v28
	s_cbranch_execz .LBB196_59
; %bb.58:
	v_dual_mov_b32 v24, v28 :: v_dual_mov_b32 v19, v18
	v_dual_mov_b32 v4, v11 :: v_dual_mov_b32 v13, v16
	;; [unrolled: 1-line block ×3, first 2 shown]
	v_swap_b32 v11, v12
	v_swap_b32 v1, v2
	v_dual_mov_b32 v28, v27 :: v_dual_mov_b32 v21, v6
	v_dual_mov_b32 v4, v15 :: v_dual_mov_b32 v23, v8
	;; [unrolled: 1-line block ×5, first 2 shown]
	v_mov_b32_e32 v24, v31
	v_mov_b32_e32 v26, v33
.LBB196_59:
	s_or_b32 exec_lo, exec_lo, s2
	s_clause 0x1
	s_load_b32 s8, s[0:1], 0x28
	s_load_b128 s[4:7], s[0:1], 0x10
	s_waitcnt lgkmcnt(0)
	s_cmp_lt_i32 s8, 1
	s_cbranch_scc1 .LBB196_65
; %bb.60:
	v_cmp_lt_f32_e32 vcc_lo, v28, v30
	v_mov_b32_e32 v7, 0
	s_mov_b32 s9, 0x76543210
	s_mov_b32 s10, s8
	v_mov_b32_e32 v6, 0
	v_dual_cndmask_b32 v8, v35, v12 :: v_dual_cndmask_b32 v17, v37, v30
	v_cndmask_b32_e32 v5, v36, v2, vcc_lo
	v_cndmask_b32_e32 v15, v2, v36, vcc_lo
	;; [unrolled: 1-line block ×4, first 2 shown]
	v_cmp_lt_f32_e64 s2, v27, v17
	s_delay_alu instid0(VALU_DEP_1)
	v_cndmask_b32_e64 v12, v15, v1, s2
	v_cndmask_b32_e64 v15, v1, v15, s2
	;; [unrolled: 1-line block ×6, first 2 shown]
	v_mov_b32_e32 v27, v0
	v_mov_b32_e32 v1, 0
.LBB196_61:                             ; =>This Inner Loop Header: Depth=1
	v_cmp_eq_u32_e32 vcc_lo, 1, v7
	v_cmp_eq_u32_e64 s2, 2, v7
	v_cmp_gt_u32_e64 s3, 8, v7
	v_dual_cndmask_b32 v28, v17, v16 :: v_dual_cndmask_b32 v31, v11, v18
	v_cndmask_b32_e32 v30, v15, v12, vcc_lo
	v_cmp_eq_u32_e32 vcc_lo, 3, v7
	s_delay_alu instid0(VALU_DEP_3) | instskip(NEXT) | instid1(VALU_DEP_4)
	v_cndmask_b32_e64 v28, v28, v2, s2
	v_cndmask_b32_e64 v31, v31, v8, s2
	s_delay_alu instid0(VALU_DEP_4) | instskip(SKIP_1) | instid1(VALU_DEP_3)
	v_cndmask_b32_e64 v30, v30, v5, s2
	v_cmp_eq_u32_e64 s2, 4, v7
	v_dual_cndmask_b32 v28, v28, v3 :: v_dual_cndmask_b32 v31, v31, v9
	s_delay_alu instid0(VALU_DEP_1) | instskip(NEXT) | instid1(VALU_DEP_2)
	v_cndmask_b32_e64 v28, v28, v24, s2
	v_cndmask_b32_e64 v31, v31, v4, s2
	v_cndmask_b32_e32 v30, v30, v10, vcc_lo
	v_cmp_eq_u32_e32 vcc_lo, 5, v7
	s_delay_alu instid0(VALU_DEP_3) | instskip(SKIP_1) | instid1(VALU_DEP_4)
	v_cndmask_b32_e32 v31, v31, v13, vcc_lo
	v_cndmask_b32_e32 v28, v28, v25, vcc_lo
	v_cndmask_b32_e64 v30, v30, v20, s2
	v_cmp_eq_u32_e64 s2, 6, v7
	s_delay_alu instid0(VALU_DEP_2) | instskip(NEXT) | instid1(VALU_DEP_2)
	v_cndmask_b32_e32 v30, v30, v21, vcc_lo
	v_cndmask_b32_e64 v28, v28, v26, s2
	v_cmp_eq_u32_e32 vcc_lo, 7, v7
	v_cndmask_b32_e64 v31, v31, v14, s2
	s_delay_alu instid0(VALU_DEP_4) | instskip(NEXT) | instid1(VALU_DEP_4)
	v_cndmask_b32_e64 v30, v30, v22, s2
	v_cndmask_b32_e32 v28, v28, v29, vcc_lo
	s_delay_alu instid0(VALU_DEP_2) | instskip(NEXT) | instid1(VALU_DEP_2)
	v_cndmask_b32_e32 v30, v30, v23, vcc_lo
	v_cndmask_b32_e64 v28, 0xff800000, v28, s3
	;;#ASMSTART
	v_max_f32 v32, v28, v28 quad_perm:[1,0,3,2] row_mask:0xf bank_mask:0xf bound_ctrl:1
	;;#ASMEND
	;;#ASMSTART
	v_max_f32 v33, v32, v32 quad_perm:[2,3,0,1] row_mask:0xf bank_mask:0xf bound_ctrl:1
	;;#ASMEND
	;;#ASMSTART
	v_max_f32 v32, v33, v33 row_half_mirror row_mask:0xf bank_mask:0xf bound_ctrl:1
	;;#ASMEND
	;;#ASMSTART
	v_max_f32 v33, v32, v32 row_mirror row_mask:0xf bank_mask:0xf bound_ctrl:1
	;;#ASMEND
	v_permlanex16_b32 v32, v33, s9, 0xfedcba98 op_sel:[1,1]
	s_delay_alu instid0(VALU_DEP_1) | instskip(NEXT) | instid1(VALU_DEP_1)
	v_dual_max_f32 v33, v33, v33 :: v_dual_max_f32 v32, v32, v32
	v_max_f32_e32 v32, v33, v32
	s_delay_alu instid0(VALU_DEP_1) | instskip(SKIP_1) | instid1(VALU_DEP_2)
	v_cmp_eq_f32_e64 s2, v28, v32
	v_cndmask_b32_e64 v28, 0, v30, s3
	s_ctz_i32_b32 s11, s2
	s_cmp_lg_u32 s2, 0
	s_cselect_b32 s2, s11, 0
	s_add_i32 s10, s10, -1
	v_readlane_b32 s11, v28, s2
	v_cndmask_b32_e32 v28, v31, v19, vcc_lo
	s_delay_alu instid0(VALU_DEP_2)
	v_cmp_eq_u32_e32 vcc_lo, s11, v30
	s_and_b32 s2, s11, 31
	s_and_b32 vcc_lo, s3, vcc_lo
	s_cmp_eq_u32 s10, 0
	v_cndmask_b32_e32 v28, 0, v28, vcc_lo
	v_add_co_ci_u32_e32 v7, vcc_lo, 0, v7, vcc_lo
	s_delay_alu instid0(VALU_DEP_2) | instskip(SKIP_2) | instid1(VALU_DEP_2)
	v_readlane_b32 s3, v28, s2
	v_cmp_eq_u32_e64 s2, 0, v27
	v_add_nc_u32_e32 v27, -1, v27
	v_cndmask_b32_e64 v6, v6, s3, s2
	v_cndmask_b32_e64 v1, v1, s11, s2
	s_cbranch_scc0 .LBB196_61
; %bb.62:
	s_mov_b32 s2, exec_lo
	v_cmpx_gt_i32_e64 s8, v0
	s_cbranch_execz .LBB196_64
.LBB196_63:
	s_clause 0x1
	s_load_b64 s[2:3], s[0:1], 0x20
	s_load_b32 s8, s[0:1], 0x30
	s_ashr_i32 s0, s15, 31
	v_lshlrev_b32_e32 v0, 2, v0
	s_waitcnt lgkmcnt(0)
	s_mul_i32 s1, s15, s3
	s_mul_hi_u32 s3, s15, s2
	s_mul_i32 s0, s0, s2
	s_add_i32 s1, s3, s1
	v_mul_f32_e32 v2, s8, v6
	s_add_i32 s1, s1, s0
	s_mul_i32 s0, s15, s2
	s_delay_alu instid0(SALU_CYCLE_1) | instskip(NEXT) | instid1(SALU_CYCLE_1)
	s_lshl_b64 s[0:1], s[0:1], 2
	s_add_u32 s2, s4, s0
	s_addc_u32 s3, s5, s1
	s_add_u32 s0, s6, s0
	s_addc_u32 s1, s7, s1
	s_clause 0x1
	global_store_b32 v0, v2, s[2:3]
	global_store_b32 v0, v1, s[0:1]
.LBB196_64:
	s_nop 0
	s_sendmsg sendmsg(MSG_DEALLOC_VGPRS)
	s_endpgm
.LBB196_65:
	v_dual_mov_b32 v1, 0 :: v_dual_mov_b32 v6, 0
	s_mov_b32 s2, exec_lo
	v_cmpx_gt_i32_e64 s8, v0
	s_cbranch_execnz .LBB196_63
	s_branch .LBB196_64
	.section	.rodata,"a",@progbits
	.p2align	6, 0x0
	.amdhsa_kernel _ZN5aiter24topk_softplus_kernel_optI6__half12hip_bfloat16Li256ELb0ELi0EEEvPKT_PKT0_PfPimiif
		.amdhsa_group_segment_fixed_size 0
		.amdhsa_private_segment_fixed_size 0
		.amdhsa_kernarg_size 52
		.amdhsa_user_sgpr_count 15
		.amdhsa_user_sgpr_dispatch_ptr 0
		.amdhsa_user_sgpr_queue_ptr 0
		.amdhsa_user_sgpr_kernarg_segment_ptr 1
		.amdhsa_user_sgpr_dispatch_id 0
		.amdhsa_user_sgpr_private_segment_size 0
		.amdhsa_wavefront_size32 1
		.amdhsa_uses_dynamic_stack 0
		.amdhsa_enable_private_segment 0
		.amdhsa_system_sgpr_workgroup_id_x 1
		.amdhsa_system_sgpr_workgroup_id_y 0
		.amdhsa_system_sgpr_workgroup_id_z 0
		.amdhsa_system_sgpr_workgroup_info 0
		.amdhsa_system_vgpr_workitem_id 0
		.amdhsa_next_free_vgpr 96
		.amdhsa_next_free_sgpr 16
		.amdhsa_reserve_vcc 1
		.amdhsa_float_round_mode_32 0
		.amdhsa_float_round_mode_16_64 0
		.amdhsa_float_denorm_mode_32 3
		.amdhsa_float_denorm_mode_16_64 3
		.amdhsa_dx10_clamp 1
		.amdhsa_ieee_mode 1
		.amdhsa_fp16_overflow 0
		.amdhsa_workgroup_processor_mode 1
		.amdhsa_memory_ordered 1
		.amdhsa_forward_progress 0
		.amdhsa_shared_vgpr_count 0
		.amdhsa_exception_fp_ieee_invalid_op 0
		.amdhsa_exception_fp_denorm_src 0
		.amdhsa_exception_fp_ieee_div_zero 0
		.amdhsa_exception_fp_ieee_overflow 0
		.amdhsa_exception_fp_ieee_underflow 0
		.amdhsa_exception_fp_ieee_inexact 0
		.amdhsa_exception_int_div_zero 0
	.end_amdhsa_kernel
	.section	.text._ZN5aiter24topk_softplus_kernel_optI6__half12hip_bfloat16Li256ELb0ELi0EEEvPKT_PKT0_PfPimiif,"axG",@progbits,_ZN5aiter24topk_softplus_kernel_optI6__half12hip_bfloat16Li256ELb0ELi0EEEvPKT_PKT0_PfPimiif,comdat
.Lfunc_end196:
	.size	_ZN5aiter24topk_softplus_kernel_optI6__half12hip_bfloat16Li256ELb0ELi0EEEvPKT_PKT0_PfPimiif, .Lfunc_end196-_ZN5aiter24topk_softplus_kernel_optI6__half12hip_bfloat16Li256ELb0ELi0EEEvPKT_PKT0_PfPimiif
                                        ; -- End function
	.section	.AMDGPU.csdata,"",@progbits
; Kernel info:
; codeLenInByte = 8512
; NumSgprs: 18
; NumVgprs: 96
; ScratchSize: 0
; MemoryBound: 0
; FloatMode: 240
; IeeeMode: 1
; LDSByteSize: 0 bytes/workgroup (compile time only)
; SGPRBlocks: 2
; VGPRBlocks: 11
; NumSGPRsForWavesPerEU: 18
; NumVGPRsForWavesPerEU: 96
; Occupancy: 16
; WaveLimiterHint : 0
; COMPUTE_PGM_RSRC2:SCRATCH_EN: 0
; COMPUTE_PGM_RSRC2:USER_SGPR: 15
; COMPUTE_PGM_RSRC2:TRAP_HANDLER: 0
; COMPUTE_PGM_RSRC2:TGID_X_EN: 1
; COMPUTE_PGM_RSRC2:TGID_Y_EN: 0
; COMPUTE_PGM_RSRC2:TGID_Z_EN: 0
; COMPUTE_PGM_RSRC2:TIDIG_COMP_CNT: 0
	.section	.text._ZN5aiter24topk_softplus_kernel_optI6__half12hip_bfloat16Li384ELb1ELi0EEEvPKT_PKT0_PfPimiif,"axG",@progbits,_ZN5aiter24topk_softplus_kernel_optI6__half12hip_bfloat16Li384ELb1ELi0EEEvPKT_PKT0_PfPimiif,comdat
	.protected	_ZN5aiter24topk_softplus_kernel_optI6__half12hip_bfloat16Li384ELb1ELi0EEEvPKT_PKT0_PfPimiif ; -- Begin function _ZN5aiter24topk_softplus_kernel_optI6__half12hip_bfloat16Li384ELb1ELi0EEEvPKT_PKT0_PfPimiif
	.globl	_ZN5aiter24topk_softplus_kernel_optI6__half12hip_bfloat16Li384ELb1ELi0EEEvPKT_PKT0_PfPimiif
	.p2align	8
	.type	_ZN5aiter24topk_softplus_kernel_optI6__half12hip_bfloat16Li384ELb1ELi0EEEvPKT_PKT0_PfPimiif,@function
_ZN5aiter24topk_softplus_kernel_optI6__half12hip_bfloat16Li384ELb1ELi0EEEvPKT_PKT0_PfPimiif: ; @_ZN5aiter24topk_softplus_kernel_optI6__half12hip_bfloat16Li384ELb1ELi0EEEvPKT_PKT0_PfPimiif
; %bb.0:
	s_load_b128 s[4:7], s[0:1], 0x0
	s_mul_i32 s2, s15, 0x180
	v_lshlrev_b32_e32 v1, 1, v0
	s_ashr_i32 s3, s2, 31
	s_delay_alu instid0(SALU_CYCLE_1)
	s_lshl_b64 s[2:3], s[2:3], 1
	s_waitcnt lgkmcnt(0)
	s_add_u32 s8, s4, s2
	s_addc_u32 s9, s5, s3
	s_mov_b32 s4, 0x3fb8aa3b
	global_load_u16 v2, v1, s[8:9]
	s_cmp_lg_u64 s[6:7], 0
	s_cselect_b32 s3, -1, 0
	s_waitcnt vmcnt(0)
	v_cvt_f32_f16_e32 v3, v2
	s_delay_alu instid0(VALU_DEP_1) | instskip(NEXT) | instid1(VALU_DEP_1)
	v_mul_f32_e32 v4, 0x3fb8aa3b, v3
	v_cmp_gt_f32_e32 vcc_lo, 0xc2fc0000, v4
	v_cndmask_b32_e64 v4, 0, 0x42800000, vcc_lo
	v_cndmask_b32_e64 v5, 1.0, 0x1f800000, vcc_lo
	s_delay_alu instid0(VALU_DEP_2) | instskip(NEXT) | instid1(VALU_DEP_1)
	v_fma_mix_f32 v4, v2, s4, v4 op_sel_hi:[1,0,0]
	v_exp_f32_e32 v4, v4
	s_waitcnt_depctr 0xfff
	v_fma_f32 v4, v4, v5, 1.0
	s_delay_alu instid0(VALU_DEP_1) | instskip(SKIP_1) | instid1(VALU_DEP_1)
	v_cmp_gt_f32_e32 vcc_lo, 0x800000, v4
	v_cndmask_b32_e64 v5, 1.0, 0x4f800000, vcc_lo
	v_mul_f32_e32 v4, v4, v5
	v_cndmask_b32_e64 v5, 0, 0x42000000, vcc_lo
	v_cmp_lt_f16_e32 vcc_lo, 0x4d00, v2
	s_delay_alu instid0(VALU_DEP_3) | instskip(SKIP_2) | instid1(VALU_DEP_1)
	v_log_f32_e32 v4, v4
	s_waitcnt_depctr 0xfff
	v_sub_f32_e32 v4, v4, v5
	v_mul_f32_e32 v4, 0x3f317218, v4
	s_delay_alu instid0(VALU_DEP_1) | instskip(NEXT) | instid1(VALU_DEP_1)
	v_cndmask_b32_e32 v2, v4, v3, vcc_lo
	v_mul_f32_e32 v3, 0x4f800000, v2
	v_cmp_gt_f32_e32 vcc_lo, 0xf800000, v2
	s_delay_alu instid0(VALU_DEP_2) | instskip(NEXT) | instid1(VALU_DEP_1)
	v_cndmask_b32_e32 v2, v2, v3, vcc_lo
	v_sqrt_f32_e32 v3, v2
	s_waitcnt_depctr 0xfff
	v_add_nc_u32_e32 v4, -1, v3
	v_add_nc_u32_e32 v5, 1, v3
	s_delay_alu instid0(VALU_DEP_2) | instskip(NEXT) | instid1(VALU_DEP_2)
	v_fma_f32 v6, -v4, v3, v2
	v_fma_f32 v7, -v5, v3, v2
	s_delay_alu instid0(VALU_DEP_2) | instskip(NEXT) | instid1(VALU_DEP_1)
	v_cmp_ge_f32_e64 s2, 0, v6
	v_cndmask_b32_e64 v3, v3, v4, s2
	s_delay_alu instid0(VALU_DEP_3) | instskip(NEXT) | instid1(VALU_DEP_1)
	v_cmp_lt_f32_e64 s2, 0, v7
	v_cndmask_b32_e64 v3, v3, v5, s2
	v_add_co_u32 v12, s2, s8, v1
	s_delay_alu instid0(VALU_DEP_1) | instskip(NEXT) | instid1(VALU_DEP_3)
	v_add_co_ci_u32_e64 v13, null, s9, 0, s2
	v_mul_f32_e32 v4, 0x37800000, v3
	s_delay_alu instid0(VALU_DEP_1) | instskip(SKIP_1) | instid1(VALU_DEP_2)
	v_cndmask_b32_e32 v3, v3, v4, vcc_lo
	v_cmp_class_f32_e64 vcc_lo, v2, 0x260
	v_cndmask_b32_e32 v49, v3, v2, vcc_lo
	s_and_b32 vcc_lo, exec_lo, s3
	s_delay_alu instid0(VALU_DEP_1)
	v_mov_b32_e32 v37, v49
	s_cbranch_vccz .LBB197_2
; %bb.1:
	global_load_u16 v2, v1, s[6:7]
	s_waitcnt vmcnt(0)
	v_lshlrev_b32_e32 v2, 16, v2
	s_delay_alu instid0(VALU_DEP_1)
	v_add_f32_e32 v37, v49, v2
.LBB197_2:
	global_load_u16 v2, v[12:13], off offset:64
	v_cndmask_b32_e64 v14, 0, 1, s3
	s_waitcnt vmcnt(0)
	v_cvt_f32_f16_e32 v3, v2
	s_delay_alu instid0(VALU_DEP_1) | instskip(NEXT) | instid1(VALU_DEP_1)
	v_mul_f32_e32 v4, 0x3fb8aa3b, v3
	v_cmp_gt_f32_e32 vcc_lo, 0xc2fc0000, v4
	v_cndmask_b32_e64 v5, 0, 0x42800000, vcc_lo
	v_cndmask_b32_e64 v4, 1.0, 0x1f800000, vcc_lo
	s_delay_alu instid0(VALU_DEP_2) | instskip(NEXT) | instid1(VALU_DEP_1)
	v_fma_mix_f32 v5, v2, s4, v5 op_sel_hi:[1,0,0]
	v_exp_f32_e32 v5, v5
	s_waitcnt_depctr 0xfff
	v_fma_f32 v4, v5, v4, 1.0
	s_delay_alu instid0(VALU_DEP_1) | instskip(SKIP_1) | instid1(VALU_DEP_1)
	v_cmp_gt_f32_e32 vcc_lo, 0x800000, v4
	v_cndmask_b32_e64 v5, 1.0, 0x4f800000, vcc_lo
	v_mul_f32_e32 v4, v4, v5
	v_cndmask_b32_e64 v5, 0, 0x42000000, vcc_lo
	v_cmp_lt_f16_e32 vcc_lo, 0x4d00, v2
	s_delay_alu instid0(VALU_DEP_3) | instskip(SKIP_2) | instid1(VALU_DEP_1)
	v_log_f32_e32 v4, v4
	s_waitcnt_depctr 0xfff
	v_sub_f32_e32 v4, v4, v5
	v_mul_f32_e32 v4, 0x3f317218, v4
	s_delay_alu instid0(VALU_DEP_1) | instskip(NEXT) | instid1(VALU_DEP_1)
	v_cndmask_b32_e32 v2, v4, v3, vcc_lo
	v_mul_f32_e32 v3, 0x4f800000, v2
	v_cmp_gt_f32_e32 vcc_lo, 0xf800000, v2
	s_delay_alu instid0(VALU_DEP_2) | instskip(NEXT) | instid1(VALU_DEP_1)
	v_cndmask_b32_e32 v2, v2, v3, vcc_lo
	v_sqrt_f32_e32 v3, v2
	s_waitcnt_depctr 0xfff
	v_add_nc_u32_e32 v4, -1, v3
	v_add_nc_u32_e32 v5, 1, v3
	s_delay_alu instid0(VALU_DEP_2) | instskip(NEXT) | instid1(VALU_DEP_2)
	v_fma_f32 v6, -v4, v3, v2
	v_fma_f32 v7, -v5, v3, v2
	s_delay_alu instid0(VALU_DEP_2) | instskip(NEXT) | instid1(VALU_DEP_1)
	v_cmp_ge_f32_e64 s2, 0, v6
	v_cndmask_b32_e64 v3, v3, v4, s2
	s_delay_alu instid0(VALU_DEP_3) | instskip(NEXT) | instid1(VALU_DEP_1)
	v_cmp_lt_f32_e64 s2, 0, v7
	v_cndmask_b32_e64 v3, v3, v5, s2
	s_delay_alu instid0(VALU_DEP_1) | instskip(NEXT) | instid1(VALU_DEP_1)
	v_mul_f32_e32 v4, 0x37800000, v3
	v_cndmask_b32_e32 v3, v3, v4, vcc_lo
	v_cmp_class_f32_e64 vcc_lo, v2, 0x260
	s_delay_alu instid0(VALU_DEP_2) | instskip(SKIP_1) | instid1(VALU_DEP_1)
	v_cndmask_b32_e32 v2, v3, v2, vcc_lo
	s_and_not1_b32 vcc_lo, exec_lo, s3
	v_mov_b32_e32 v38, v2
	s_cbranch_vccnz .LBB197_4
; %bb.3:
	global_load_u16 v3, v1, s[6:7] offset:64
	s_waitcnt vmcnt(0)
	v_lshlrev_b32_e32 v3, 16, v3
	s_delay_alu instid0(VALU_DEP_1)
	v_add_f32_e32 v38, v2, v3
.LBB197_4:
	global_load_u16 v3, v[12:13], off offset:128
	s_mov_b32 s3, 0x3fb8aa3b
	s_waitcnt vmcnt(0)
	v_cvt_f32_f16_e32 v4, v3
	s_delay_alu instid0(VALU_DEP_1) | instskip(NEXT) | instid1(VALU_DEP_1)
	v_mul_f32_e32 v5, 0x3fb8aa3b, v4
	v_cmp_gt_f32_e32 vcc_lo, 0xc2fc0000, v5
	v_cndmask_b32_e64 v6, 0, 0x42800000, vcc_lo
	v_cndmask_b32_e64 v5, 1.0, 0x1f800000, vcc_lo
	s_delay_alu instid0(VALU_DEP_2) | instskip(NEXT) | instid1(VALU_DEP_1)
	v_fma_mix_f32 v6, v3, s3, v6 op_sel_hi:[1,0,0]
	v_exp_f32_e32 v6, v6
	s_waitcnt_depctr 0xfff
	v_fma_f32 v5, v6, v5, 1.0
	s_delay_alu instid0(VALU_DEP_1) | instskip(SKIP_1) | instid1(VALU_DEP_1)
	v_cmp_gt_f32_e32 vcc_lo, 0x800000, v5
	v_cndmask_b32_e64 v6, 1.0, 0x4f800000, vcc_lo
	v_mul_f32_e32 v5, v5, v6
	v_cndmask_b32_e64 v6, 0, 0x42000000, vcc_lo
	v_cmp_lt_f16_e32 vcc_lo, 0x4d00, v3
	s_delay_alu instid0(VALU_DEP_3) | instskip(SKIP_2) | instid1(VALU_DEP_1)
	v_log_f32_e32 v5, v5
	s_waitcnt_depctr 0xfff
	v_sub_f32_e32 v5, v5, v6
	v_mul_f32_e32 v5, 0x3f317218, v5
	s_delay_alu instid0(VALU_DEP_1) | instskip(NEXT) | instid1(VALU_DEP_1)
	v_cndmask_b32_e32 v3, v5, v4, vcc_lo
	v_mul_f32_e32 v4, 0x4f800000, v3
	v_cmp_gt_f32_e32 vcc_lo, 0xf800000, v3
	s_delay_alu instid0(VALU_DEP_2) | instskip(NEXT) | instid1(VALU_DEP_1)
	v_cndmask_b32_e32 v3, v3, v4, vcc_lo
	v_sqrt_f32_e32 v4, v3
	s_waitcnt_depctr 0xfff
	v_add_nc_u32_e32 v5, -1, v4
	v_add_nc_u32_e32 v6, 1, v4
	s_delay_alu instid0(VALU_DEP_2) | instskip(NEXT) | instid1(VALU_DEP_2)
	v_fma_f32 v7, -v5, v4, v3
	v_fma_f32 v8, -v6, v4, v3
	s_delay_alu instid0(VALU_DEP_2) | instskip(NEXT) | instid1(VALU_DEP_1)
	v_cmp_ge_f32_e64 s2, 0, v7
	v_cndmask_b32_e64 v4, v4, v5, s2
	s_delay_alu instid0(VALU_DEP_3) | instskip(NEXT) | instid1(VALU_DEP_1)
	v_cmp_lt_f32_e64 s2, 0, v8
	v_cndmask_b32_e64 v4, v4, v6, s2
	s_delay_alu instid0(VALU_DEP_1) | instskip(NEXT) | instid1(VALU_DEP_1)
	v_mul_f32_e32 v5, 0x37800000, v4
	v_cndmask_b32_e32 v4, v4, v5, vcc_lo
	v_cmp_class_f32_e64 vcc_lo, v3, 0x260
	s_delay_alu instid0(VALU_DEP_2) | instskip(SKIP_1) | instid1(VALU_DEP_2)
	v_cndmask_b32_e32 v3, v4, v3, vcc_lo
	v_cmp_ne_u32_e32 vcc_lo, 1, v14
	v_mov_b32_e32 v39, v3
	s_cbranch_vccnz .LBB197_6
; %bb.5:
	global_load_u16 v4, v1, s[6:7] offset:128
	s_waitcnt vmcnt(0)
	v_lshlrev_b32_e32 v4, 16, v4
	s_delay_alu instid0(VALU_DEP_1)
	v_add_f32_e32 v39, v3, v4
.LBB197_6:
	global_load_u16 v4, v[12:13], off offset:192
	s_waitcnt vmcnt(0)
	v_cvt_f32_f16_e32 v5, v4
	s_delay_alu instid0(VALU_DEP_1) | instskip(NEXT) | instid1(VALU_DEP_1)
	v_mul_f32_e32 v6, 0x3fb8aa3b, v5
	v_cmp_gt_f32_e32 vcc_lo, 0xc2fc0000, v6
	v_cndmask_b32_e64 v7, 0, 0x42800000, vcc_lo
	v_cndmask_b32_e64 v6, 1.0, 0x1f800000, vcc_lo
	s_delay_alu instid0(VALU_DEP_2) | instskip(NEXT) | instid1(VALU_DEP_1)
	v_fma_mix_f32 v7, v4, s3, v7 op_sel_hi:[1,0,0]
	v_exp_f32_e32 v7, v7
	s_waitcnt_depctr 0xfff
	v_fma_f32 v6, v7, v6, 1.0
	s_delay_alu instid0(VALU_DEP_1) | instskip(SKIP_1) | instid1(VALU_DEP_1)
	v_cmp_gt_f32_e32 vcc_lo, 0x800000, v6
	v_cndmask_b32_e64 v7, 1.0, 0x4f800000, vcc_lo
	v_mul_f32_e32 v6, v6, v7
	v_cndmask_b32_e64 v7, 0, 0x42000000, vcc_lo
	v_cmp_lt_f16_e32 vcc_lo, 0x4d00, v4
	s_delay_alu instid0(VALU_DEP_3) | instskip(SKIP_2) | instid1(VALU_DEP_1)
	v_log_f32_e32 v6, v6
	s_waitcnt_depctr 0xfff
	v_sub_f32_e32 v6, v6, v7
	v_mul_f32_e32 v6, 0x3f317218, v6
	s_delay_alu instid0(VALU_DEP_1) | instskip(NEXT) | instid1(VALU_DEP_1)
	v_cndmask_b32_e32 v4, v6, v5, vcc_lo
	v_mul_f32_e32 v5, 0x4f800000, v4
	v_cmp_gt_f32_e32 vcc_lo, 0xf800000, v4
	s_delay_alu instid0(VALU_DEP_2) | instskip(NEXT) | instid1(VALU_DEP_1)
	v_cndmask_b32_e32 v4, v4, v5, vcc_lo
	v_sqrt_f32_e32 v5, v4
	s_waitcnt_depctr 0xfff
	v_add_nc_u32_e32 v6, -1, v5
	v_add_nc_u32_e32 v7, 1, v5
	s_delay_alu instid0(VALU_DEP_2) | instskip(NEXT) | instid1(VALU_DEP_2)
	v_fma_f32 v8, -v6, v5, v4
	v_fma_f32 v9, -v7, v5, v4
	s_delay_alu instid0(VALU_DEP_2) | instskip(NEXT) | instid1(VALU_DEP_1)
	v_cmp_ge_f32_e64 s2, 0, v8
	v_cndmask_b32_e64 v5, v5, v6, s2
	s_delay_alu instid0(VALU_DEP_3) | instskip(NEXT) | instid1(VALU_DEP_1)
	v_cmp_lt_f32_e64 s2, 0, v9
	v_cndmask_b32_e64 v5, v5, v7, s2
	s_delay_alu instid0(VALU_DEP_1) | instskip(NEXT) | instid1(VALU_DEP_1)
	v_mul_f32_e32 v6, 0x37800000, v5
	v_cndmask_b32_e32 v5, v5, v6, vcc_lo
	v_cmp_class_f32_e64 vcc_lo, v4, 0x260
	s_delay_alu instid0(VALU_DEP_2) | instskip(SKIP_1) | instid1(VALU_DEP_2)
	v_cndmask_b32_e32 v4, v5, v4, vcc_lo
	v_cmp_ne_u32_e32 vcc_lo, 1, v14
	v_mov_b32_e32 v40, v4
	s_cbranch_vccnz .LBB197_8
; %bb.7:
	global_load_u16 v5, v1, s[6:7] offset:192
	s_waitcnt vmcnt(0)
	v_lshlrev_b32_e32 v5, 16, v5
	s_delay_alu instid0(VALU_DEP_1)
	v_add_f32_e32 v40, v4, v5
.LBB197_8:
	global_load_u16 v5, v[12:13], off offset:256
	;; [unrolled: 59-line block ×8, first 2 shown]
	s_waitcnt vmcnt(0)
	v_cvt_f32_f16_e32 v15, v11
	s_delay_alu instid0(VALU_DEP_1) | instskip(NEXT) | instid1(VALU_DEP_1)
	v_mul_f32_e32 v16, 0x3fb8aa3b, v15
	v_cmp_gt_f32_e32 vcc_lo, 0xc2fc0000, v16
	v_cndmask_b32_e64 v17, 0, 0x42800000, vcc_lo
	v_cndmask_b32_e64 v16, 1.0, 0x1f800000, vcc_lo
	s_delay_alu instid0(VALU_DEP_2) | instskip(NEXT) | instid1(VALU_DEP_1)
	v_fma_mix_f32 v17, v11, s3, v17 op_sel_hi:[1,0,0]
	v_exp_f32_e32 v17, v17
	s_waitcnt_depctr 0xfff
	v_fma_f32 v16, v17, v16, 1.0
	s_delay_alu instid0(VALU_DEP_1) | instskip(SKIP_1) | instid1(VALU_DEP_1)
	v_cmp_gt_f32_e32 vcc_lo, 0x800000, v16
	v_cndmask_b32_e64 v17, 1.0, 0x4f800000, vcc_lo
	v_mul_f32_e32 v16, v16, v17
	v_cndmask_b32_e64 v17, 0, 0x42000000, vcc_lo
	v_cmp_lt_f16_e32 vcc_lo, 0x4d00, v11
	s_delay_alu instid0(VALU_DEP_3) | instskip(SKIP_2) | instid1(VALU_DEP_1)
	v_log_f32_e32 v16, v16
	s_waitcnt_depctr 0xfff
	v_sub_f32_e32 v16, v16, v17
	v_mul_f32_e32 v16, 0x3f317218, v16
	s_delay_alu instid0(VALU_DEP_1) | instskip(NEXT) | instid1(VALU_DEP_1)
	v_cndmask_b32_e32 v11, v16, v15, vcc_lo
	v_mul_f32_e32 v15, 0x4f800000, v11
	v_cmp_gt_f32_e32 vcc_lo, 0xf800000, v11
	s_delay_alu instid0(VALU_DEP_2) | instskip(NEXT) | instid1(VALU_DEP_1)
	v_cndmask_b32_e32 v11, v11, v15, vcc_lo
	v_sqrt_f32_e32 v15, v11
	s_waitcnt_depctr 0xfff
	v_add_nc_u32_e32 v17, 1, v15
	v_add_nc_u32_e32 v16, -1, v15
	s_delay_alu instid0(VALU_DEP_2) | instskip(NEXT) | instid1(VALU_DEP_2)
	v_fma_f32 v19, -v17, v15, v11
	v_fma_f32 v18, -v16, v15, v11
	s_delay_alu instid0(VALU_DEP_1) | instskip(NEXT) | instid1(VALU_DEP_1)
	v_cmp_ge_f32_e64 s2, 0, v18
	v_cndmask_b32_e64 v15, v15, v16, s2
	s_delay_alu instid0(VALU_DEP_4) | instskip(NEXT) | instid1(VALU_DEP_1)
	v_cmp_lt_f32_e64 s2, 0, v19
	v_cndmask_b32_e64 v15, v15, v17, s2
	s_delay_alu instid0(VALU_DEP_1) | instskip(NEXT) | instid1(VALU_DEP_1)
	v_mul_f32_e32 v16, 0x37800000, v15
	v_cndmask_b32_e32 v15, v15, v16, vcc_lo
	v_cmp_class_f32_e64 vcc_lo, v11, 0x260
	s_delay_alu instid0(VALU_DEP_2) | instskip(SKIP_1) | instid1(VALU_DEP_2)
	v_cndmask_b32_e32 v11, v15, v11, vcc_lo
	v_cmp_ne_u32_e32 vcc_lo, 1, v14
	v_mov_b32_e32 v47, v11
	s_cbranch_vccnz .LBB197_22
; %bb.21:
	global_load_u16 v15, v1, s[6:7] offset:640
	s_waitcnt vmcnt(0)
	v_lshlrev_b32_e32 v15, 16, v15
	s_delay_alu instid0(VALU_DEP_1)
	v_add_f32_e32 v47, v11, v15
.LBB197_22:
	global_load_u16 v12, v[12:13], off offset:704
	s_waitcnt vmcnt(0)
	v_cvt_f32_f16_e32 v13, v12
	s_delay_alu instid0(VALU_DEP_1) | instskip(NEXT) | instid1(VALU_DEP_1)
	v_mul_f32_e32 v15, 0x3fb8aa3b, v13
	v_cmp_gt_f32_e32 vcc_lo, 0xc2fc0000, v15
	v_cndmask_b32_e64 v16, 0, 0x42800000, vcc_lo
	v_cndmask_b32_e64 v15, 1.0, 0x1f800000, vcc_lo
	s_delay_alu instid0(VALU_DEP_2) | instskip(NEXT) | instid1(VALU_DEP_1)
	v_fma_mix_f32 v16, v12, s3, v16 op_sel_hi:[1,0,0]
	v_exp_f32_e32 v16, v16
	s_waitcnt_depctr 0xfff
	v_fma_f32 v15, v16, v15, 1.0
	s_delay_alu instid0(VALU_DEP_1) | instskip(SKIP_1) | instid1(VALU_DEP_1)
	v_cmp_gt_f32_e32 vcc_lo, 0x800000, v15
	v_cndmask_b32_e64 v16, 1.0, 0x4f800000, vcc_lo
	v_mul_f32_e32 v15, v15, v16
	v_cndmask_b32_e64 v16, 0, 0x42000000, vcc_lo
	v_cmp_lt_f16_e32 vcc_lo, 0x4d00, v12
	s_delay_alu instid0(VALU_DEP_3) | instskip(SKIP_2) | instid1(VALU_DEP_1)
	v_log_f32_e32 v15, v15
	s_waitcnt_depctr 0xfff
	v_sub_f32_e32 v15, v15, v16
	v_mul_f32_e32 v15, 0x3f317218, v15
	s_delay_alu instid0(VALU_DEP_1) | instskip(NEXT) | instid1(VALU_DEP_1)
	v_cndmask_b32_e32 v12, v15, v13, vcc_lo
	v_mul_f32_e32 v13, 0x4f800000, v12
	v_cmp_gt_f32_e32 vcc_lo, 0xf800000, v12
	s_delay_alu instid0(VALU_DEP_2) | instskip(NEXT) | instid1(VALU_DEP_1)
	v_cndmask_b32_e32 v12, v12, v13, vcc_lo
	v_sqrt_f32_e32 v13, v12
	s_waitcnt_depctr 0xfff
	v_add_nc_u32_e32 v15, -1, v13
	v_add_nc_u32_e32 v16, 1, v13
	s_delay_alu instid0(VALU_DEP_2) | instskip(NEXT) | instid1(VALU_DEP_2)
	v_fma_f32 v17, -v15, v13, v12
	v_fma_f32 v18, -v16, v13, v12
	s_delay_alu instid0(VALU_DEP_2) | instskip(NEXT) | instid1(VALU_DEP_1)
	v_cmp_ge_f32_e64 s2, 0, v17
	v_cndmask_b32_e64 v13, v13, v15, s2
	s_delay_alu instid0(VALU_DEP_3) | instskip(NEXT) | instid1(VALU_DEP_1)
	v_cmp_lt_f32_e64 s2, 0, v18
	v_cndmask_b32_e64 v13, v13, v16, s2
	s_delay_alu instid0(VALU_DEP_1) | instskip(NEXT) | instid1(VALU_DEP_1)
	v_mul_f32_e32 v15, 0x37800000, v13
	v_cndmask_b32_e32 v13, v13, v15, vcc_lo
	v_cmp_class_f32_e64 vcc_lo, v12, 0x260
	s_delay_alu instid0(VALU_DEP_2)
	v_cndmask_b32_e32 v12, v13, v12, vcc_lo
	v_cmp_ne_u32_e32 vcc_lo, 1, v14
	s_cbranch_vccnz .LBB197_24
; %bb.23:
	global_load_u16 v1, v1, s[6:7] offset:704
	s_waitcnt vmcnt(0)
	v_lshlrev_b32_e32 v1, 16, v1
	s_delay_alu instid0(VALU_DEP_1)
	v_add_f32_e32 v48, v12, v1
	s_branch .LBB197_25
.LBB197_24:
	s_delay_alu instid0(VALU_DEP_2)
	v_mov_b32_e32 v48, v12
.LBB197_25:
	v_dual_mov_b32 v13, v37 :: v_dual_add_nc_u32 v26, 32, v0
	v_dual_mov_b32 v14, v38 :: v_dual_add_nc_u32 v27, 64, v0
	;; [unrolled: 1-line block ×11, first 2 shown]
	v_dual_mov_b32 v24, v48 :: v_dual_mov_b32 v1, v49
	v_mov_b32_e32 v25, v0
	s_mov_b32 s2, exec_lo
	v_cmpx_lt_f32_e32 v37, v38
	s_xor_b32 s2, exec_lo, s2
; %bb.26:
	v_dual_mov_b32 v13, v38 :: v_dual_mov_b32 v14, v37
	v_dual_mov_b32 v15, v39 :: v_dual_mov_b32 v16, v40
	;; [unrolled: 1-line block ×8, first 2 shown]
	v_mov_b32_e32 v26, v0
; %bb.27:
	s_or_b32 exec_lo, exec_lo, s2
	v_dual_mov_b32 v37, v15 :: v_dual_mov_b32 v86, v12
	v_dual_mov_b32 v75, v1 :: v_dual_mov_b32 v146, v12
	;; [unrolled: 1-line block ×36, first 2 shown]
	s_clause 0x8
	scratch_store_b128 off, v[1:4], off
	scratch_store_b128 off, v[5:8], off offset:16
	scratch_store_b128 off, v[9:12], off offset:32
	;; [unrolled: 1-line block ×8, first 2 shown]
	v_dual_mov_b32 v73, v35 :: v_dual_mov_b32 v72, v34
	v_dual_mov_b32 v71, v33 :: v_dual_mov_b32 v70, v32
	;; [unrolled: 1-line block ×30, first 2 shown]
	v_mov_b32_e32 v159, v25
	s_clause 0x2
	scratch_store_b128 off, v[25:28], off offset:144
	scratch_store_b128 off, v[29:32], off offset:160
	;; [unrolled: 1-line block ×3, first 2 shown]
	s_mov_b32 s2, exec_lo
	v_dual_mov_b32 v182, v36 :: v_dual_mov_b32 v181, v35
	v_dual_mov_b32 v180, v34 :: v_dual_mov_b32 v179, v33
	;; [unrolled: 1-line block ×6, first 2 shown]
	v_cmpx_lt_f32_e32 v38, v15
	s_cbranch_execz .LBB197_29
; %bb.28:
	v_dual_mov_b32 v37, v38 :: v_dual_mov_b32 v182, v36
	v_dual_mov_b32 v173, v27 :: v_dual_mov_b32 v172, v26
	;; [unrolled: 1-line block ×14, first 2 shown]
	v_mov_b32_e32 v125, v2
	v_dual_mov_b32 v159, v171 :: v_dual_mov_b32 v162, v174
	v_dual_mov_b32 v161, v173 :: v_dual_mov_b32 v164, v176
	;; [unrolled: 1-line block ×6, first 2 shown]
	v_mov_b32_e32 v162, v28
	s_clause 0x2
	scratch_store_b128 off, v[123:126], off offset:96
	scratch_store_b128 off, v[127:130], off offset:112
	;; [unrolled: 1-line block ×3, first 2 shown]
	v_dual_mov_b32 v14, v15 :: v_dual_mov_b32 v15, v38
	v_dual_mov_b32 v43, v164 :: v_dual_mov_b32 v44, v165
	v_dual_mov_b32 v38, v159 :: v_dual_mov_b32 v39, v160
	v_dual_mov_b32 v126, v4 :: v_dual_mov_b32 v45, v166
	v_dual_mov_b32 v46, v167 :: v_dual_mov_b32 v47, v168
	v_dual_mov_b32 v48, v169 :: v_dual_mov_b32 v49, v170
	v_dual_mov_b32 v40, v161 :: v_dual_mov_b32 v41, v162
	s_clause 0x2
	scratch_store_b128 off, v[38:41], off offset:144
	scratch_store_b128 off, v[42:45], off offset:160
	;; [unrolled: 1-line block ×3, first 2 shown]
	v_mov_b32_e32 v163, v29
	v_mov_b32_e32 v27, v26
	v_dual_mov_b32 v43, v128 :: v_dual_mov_b32 v44, v129
	v_dual_mov_b32 v47, v132 :: v_dual_mov_b32 v38, v123
	;; [unrolled: 1-line block ×5, first 2 shown]
	v_mov_b32_e32 v41, v126
	v_dual_mov_b32 v147, v159 :: v_dual_mov_b32 v154, v166
	v_mov_b32_e32 v148, v160
	v_mov_b32_e32 v150, v162
	s_clause 0x2
	scratch_store_b128 off, v[38:41], off offset:48
	scratch_store_b128 off, v[42:45], off offset:64
	;; [unrolled: 1-line block ×3, first 2 shown]
	v_dual_mov_b32 v127, v5 :: v_dual_mov_b32 v152, v164
	v_dual_mov_b32 v153, v165 :: v_dual_mov_b32 v152, v30
	;; [unrolled: 1-line block ×7, first 2 shown]
	v_mov_b32_e32 v41, v126
	v_dual_mov_b32 v128, v6 :: v_dual_mov_b32 v99, v147
	v_dual_mov_b32 v105, v153 :: v_dual_mov_b32 v106, v154
	;; [unrolled: 1-line block ×3, first 2 shown]
	v_mov_b32_e32 v105, v31
	v_dual_mov_b32 v103, v151 :: v_dual_mov_b32 v104, v152
	v_dual_mov_b32 v107, v155 :: v_dual_mov_b32 v108, v156
	v_dual_mov_b32 v51, v123 :: v_dual_mov_b32 v54, v126
	v_dual_mov_b32 v100, v148 :: v_dual_mov_b32 v101, v149
	v_dual_mov_b32 v102, v150 :: v_dual_mov_b32 v59, v131
	v_dual_mov_b32 v62, v134 :: v_dual_mov_b32 v57, v129
	v_mov_b32_e32 v60, v132
	v_dual_mov_b32 v52, v124 :: v_dual_mov_b32 v55, v127
	v_dual_mov_b32 v58, v130 :: v_dual_mov_b32 v61, v133
	v_mov_b32_e32 v57, v7
	v_dual_mov_b32 v53, v125 :: v_dual_mov_b32 v56, v128
	s_clause 0x2
	scratch_store_b128 off, v[38:41], off
	scratch_store_b128 off, v[42:45], off offset:16
	scratch_store_b128 off, v[46:49], off offset:32
	v_dual_mov_b32 v39, v99 :: v_dual_mov_b32 v44, v104
	v_dual_mov_b32 v45, v105 :: v_dual_mov_b32 v50, v110
	;; [unrolled: 1-line block ×6, first 2 shown]
	v_mov_b32_e32 v122, v62
	v_dual_mov_b32 v46, v32 :: v_dual_mov_b32 v111, v51
	v_dual_mov_b32 v121, v61 :: v_dual_mov_b32 v120, v60
	;; [unrolled: 1-line block ×6, first 2 shown]
	v_mov_b32_e32 v118, v8
	v_dual_mov_b32 v98, v50 :: v_dual_mov_b32 v97, v49
	v_dual_mov_b32 v96, v48 :: v_dual_mov_b32 v95, v47
	;; [unrolled: 1-line block ×7, first 2 shown]
	v_mov_b32_e32 v135, v111
	v_dual_mov_b32 v3, v2 :: v_dual_mov_b32 v144, v120
	v_dual_mov_b32 v145, v121 :: v_dual_mov_b32 v142, v118
	;; [unrolled: 1-line block ×5, first 2 shown]
	v_mov_b32_e32 v137, v113
	v_mov_b32_e32 v143, v9
	v_dual_mov_b32 v63, v87 :: v_dual_mov_b32 v70, v94
	v_mov_b32_e32 v64, v88
	v_mov_b32_e32 v66, v90
	v_dual_mov_b32 v68, v92 :: v_dual_mov_b32 v75, v135
	v_dual_mov_b32 v80, v140 :: v_dual_mov_b32 v65, v89
	;; [unrolled: 1-line block ×13, first 2 shown]
.LBB197_29:
	s_or_b32 exec_lo, exec_lo, s2
	v_mov_b32_e32 v1, v16
	s_mov_b32 s2, exec_lo
	v_cmpx_lt_f32_e32 v37, v16
	s_cbranch_execz .LBB197_31
; %bb.30:
	s_clause 0x2
	scratch_load_b128 v[38:41], off, off offset:96
	scratch_load_b128 v[42:45], off, off offset:112
	;; [unrolled: 1-line block ×3, first 2 shown]
	v_mov_b32_e32 v173, v28
	v_dual_mov_b32 v15, v16 :: v_dual_mov_b32 v16, v37
	v_dual_mov_b32 v1, v37 :: v_dual_mov_b32 v28, v27
	s_waitcnt vmcnt(2)
	v_dual_mov_b32 v124, v39 :: v_dual_mov_b32 v123, v38
	s_waitcnt vmcnt(0)
	v_dual_mov_b32 v134, v49 :: v_dual_mov_b32 v125, v4
	v_dual_mov_b32 v159, v171 :: v_dual_mov_b32 v160, v172
	v_mov_b32_e32 v162, v174
	v_dual_mov_b32 v38, v123 :: v_dual_mov_b32 v39, v124
	v_dual_mov_b32 v161, v173 :: v_dual_mov_b32 v164, v176
	;; [unrolled: 1-line block ×10, first 2 shown]
	v_mov_b32_e32 v126, v41
	s_clause 0x2
	scratch_store_b128 off, v[38:41], off offset:96
	scratch_store_b128 off, v[42:45], off offset:112
	;; [unrolled: 1-line block ×3, first 2 shown]
	v_dual_mov_b32 v43, v164 :: v_dual_mov_b32 v38, v159
	v_dual_mov_b32 v41, v162 :: v_dual_mov_b32 v126, v3
	;; [unrolled: 1-line block ×7, first 2 shown]
	s_clause 0x2
	scratch_store_b128 off, v[38:41], off offset:144
	scratch_store_b128 off, v[42:45], off offset:160
	;; [unrolled: 1-line block ×3, first 2 shown]
	v_dual_mov_b32 v43, v128 :: v_dual_mov_b32 v46, v131
	v_dual_mov_b32 v49, v134 :: v_dual_mov_b32 v38, v123
	;; [unrolled: 1-line block ×5, first 2 shown]
	v_mov_b32_e32 v41, v126
	v_dual_mov_b32 v147, v159 :: v_dual_mov_b32 v152, v164
	v_dual_mov_b32 v148, v160 :: v_dual_mov_b32 v127, v5
	;; [unrolled: 1-line block ×7, first 2 shown]
	s_clause 0x2
	scratch_store_b128 off, v[38:41], off offset:48
	scratch_store_b128 off, v[42:45], off offset:64
	;; [unrolled: 1-line block ×3, first 2 shown]
	v_dual_mov_b32 v38, v123 :: v_dual_mov_b32 v39, v124
	v_dual_mov_b32 v40, v125 :: v_dual_mov_b32 v41, v126
	v_mov_b32_e32 v42, v127
	v_dual_mov_b32 v128, v6 :: v_dual_mov_b32 v99, v147
	v_dual_mov_b32 v106, v154 :: v_dual_mov_b32 v107, v155
	;; [unrolled: 1-line block ×3, first 2 shown]
	v_mov_b32_e32 v52, v124
	v_dual_mov_b32 v100, v148 :: v_dual_mov_b32 v101, v149
	v_dual_mov_b32 v102, v150 :: v_dual_mov_b32 v103, v151
	v_dual_mov_b32 v108, v156 :: v_dual_mov_b32 v109, v157
	v_dual_mov_b32 v61, v133 :: v_dual_mov_b32 v62, v134
	v_dual_mov_b32 v104, v152 :: v_dual_mov_b32 v105, v153
	v_dual_mov_b32 v59, v131 :: v_dual_mov_b32 v60, v132
	v_mov_b32_e32 v105, v31
	v_dual_mov_b32 v57, v129 :: v_dual_mov_b32 v58, v130
	v_dual_mov_b32 v53, v125 :: v_dual_mov_b32 v54, v126
	;; [unrolled: 1-line block ×3, first 2 shown]
	v_mov_b32_e32 v57, v7
	s_clause 0x2
	scratch_store_b128 off, v[38:41], off
	scratch_store_b128 off, v[42:45], off offset:16
	scratch_store_b128 off, v[46:49], off offset:32
	v_dual_mov_b32 v39, v99 :: v_dual_mov_b32 v42, v102
	v_dual_mov_b32 v47, v107 :: v_dual_mov_b32 v50, v110
	;; [unrolled: 1-line block ×9, first 2 shown]
	v_mov_b32_e32 v46, v32
	v_dual_mov_b32 v118, v58 :: v_dual_mov_b32 v117, v57
	v_dual_mov_b32 v116, v56 :: v_dual_mov_b32 v115, v55
	v_dual_mov_b32 v114, v54 :: v_dual_mov_b32 v113, v53
	v_mov_b32_e32 v118, v8
	v_dual_mov_b32 v98, v50 :: v_dual_mov_b32 v95, v47
	v_dual_mov_b32 v97, v49 :: v_dual_mov_b32 v90, v42
	;; [unrolled: 1-line block ×9, first 2 shown]
	v_mov_b32_e32 v89, v41
	v_dual_mov_b32 v143, v9 :: v_dual_mov_b32 v142, v118
	v_dual_mov_b32 v141, v117 :: v_dual_mov_b32 v140, v116
	v_dual_mov_b32 v139, v115 :: v_dual_mov_b32 v138, v114
	v_mov_b32_e32 v137, v113
	v_dual_mov_b32 v63, v87 :: v_dual_mov_b32 v66, v90
	v_dual_mov_b32 v64, v88 :: v_dual_mov_b32 v75, v135
	;; [unrolled: 1-line block ×13, first 2 shown]
	v_mov_b32_e32 v82, v142
	v_dual_mov_b32 v84, v10 :: v_dual_mov_b32 v85, v11
	v_mov_b32_e32 v86, v12
.LBB197_31:
	s_or_b32 exec_lo, exec_lo, s2
	v_mov_b32_e32 v2, v17
	s_mov_b32 s2, exec_lo
	v_cmpx_lt_f32_e32 v1, v17
	s_cbranch_execz .LBB197_33
; %bb.32:
	s_clause 0x2
	scratch_load_b128 v[37:40], off, off offset:96
	scratch_load_b128 v[41:44], off, off offset:112
	;; [unrolled: 1-line block ×3, first 2 shown]
	v_mov_b32_e32 v174, v29
	v_dual_mov_b32 v2, v1 :: v_dual_mov_b32 v29, v28
	v_mov_b32_e32 v16, v17
	s_waitcnt vmcnt(0)
	v_dual_mov_b32 v74, v48 :: v_dual_mov_b32 v71, v45
	v_dual_mov_b32 v68, v42 :: v_dual_mov_b32 v65, v39
	;; [unrolled: 1-line block ×18, first 2 shown]
	v_mov_b32_e32 v125, v65
	v_mov_b32_e32 v127, v4
	v_dual_mov_b32 v147, v159 :: v_dual_mov_b32 v148, v160
	v_dual_mov_b32 v153, v165 :: v_dual_mov_b32 v156, v168
	v_dual_mov_b32 v155, v167 :: v_dual_mov_b32 v158, v170
	v_mov_b32_e32 v157, v169
	v_dual_mov_b32 v151, v163 :: v_dual_mov_b32 v154, v166
	v_dual_mov_b32 v149, v161 :: v_dual_mov_b32 v152, v164
	;; [unrolled: 1-line block ×4, first 2 shown]
	v_mov_b32_e32 v38, v124
	v_dual_mov_b32 v152, v30 :: v_dual_mov_b32 v45, v131
	v_dual_mov_b32 v46, v132 :: v_dual_mov_b32 v47, v133
	v_dual_mov_b32 v48, v134 :: v_dual_mov_b32 v39, v125
	v_dual_mov_b32 v40, v126 :: v_dual_mov_b32 v41, v127
	v_dual_mov_b32 v128, v6 :: v_dual_mov_b32 v99, v147
	v_dual_mov_b32 v100, v148 :: v_dual_mov_b32 v105, v153
	v_dual_mov_b32 v106, v154 :: v_dual_mov_b32 v109, v157
	v_dual_mov_b32 v110, v158 :: v_dual_mov_b32 v105, v31
	v_dual_mov_b32 v103, v151 :: v_dual_mov_b32 v104, v152
	v_dual_mov_b32 v107, v155 :: v_dual_mov_b32 v108, v156
	v_dual_mov_b32 v51, v123 :: v_dual_mov_b32 v54, v126
	v_dual_mov_b32 v101, v149 :: v_dual_mov_b32 v102, v150
	v_dual_mov_b32 v59, v131 :: v_dual_mov_b32 v62, v134
	s_clause 0x2
	scratch_store_b128 off, v[37:40], off
	scratch_store_b128 off, v[41:44], off offset:16
	scratch_store_b128 off, v[45:48], off offset:32
	v_dual_mov_b32 v57, v129 :: v_dual_mov_b32 v60, v132
	v_dual_mov_b32 v55, v127 :: v_dual_mov_b32 v58, v130
	v_mov_b32_e32 v61, v133
	v_mov_b32_e32 v57, v7
	v_dual_mov_b32 v39, v99 :: v_dual_mov_b32 v44, v104
	v_dual_mov_b32 v17, v1 :: v_dual_mov_b32 v52, v124
	;; [unrolled: 1-line block ×8, first 2 shown]
	v_mov_b32_e32 v122, v62
	v_dual_mov_b32 v46, v32 :: v_dual_mov_b32 v119, v59
	v_dual_mov_b32 v118, v58 :: v_dual_mov_b32 v111, v51
	;; [unrolled: 1-line block ×6, first 2 shown]
	v_mov_b32_e32 v112, v52
	v_dual_mov_b32 v98, v50 :: v_dual_mov_b32 v97, v49
	v_dual_mov_b32 v96, v48 :: v_dual_mov_b32 v95, v47
	;; [unrolled: 1-line block ×8, first 2 shown]
	v_mov_b32_e32 v135, v111
	v_dual_mov_b32 v145, v121 :: v_dual_mov_b32 v144, v120
	v_dual_mov_b32 v141, v117 :: v_dual_mov_b32 v140, v116
	v_mov_b32_e32 v143, v9
	v_dual_mov_b32 v139, v115 :: v_dual_mov_b32 v138, v114
	v_dual_mov_b32 v137, v113 :: v_dual_mov_b32 v136, v112
	s_clause 0x5
	scratch_store_b128 off, v[63:66], off offset:48
	scratch_store_b128 off, v[67:70], off offset:64
	;; [unrolled: 1-line block ×6, first 2 shown]
	v_dual_mov_b32 v63, v87 :: v_dual_mov_b32 v68, v92
	v_mov_b32_e32 v64, v88
	v_dual_mov_b32 v66, v90 :: v_dual_mov_b32 v75, v135
	v_dual_mov_b32 v78, v138 :: v_dual_mov_b32 v67, v91
	;; [unrolled: 1-line block ×14, first 2 shown]
.LBB197_33:
	s_or_b32 exec_lo, exec_lo, s2
	v_mov_b32_e32 v1, v18
	s_mov_b32 s2, exec_lo
	v_cmpx_lt_f32_e32 v2, v18
	s_cbranch_execz .LBB197_35
; %bb.34:
	s_clause 0x2
	scratch_load_b128 v[37:40], off, off offset:144
	scratch_load_b128 v[41:44], off, off offset:160
	;; [unrolled: 1-line block ×3, first 2 shown]
	s_waitcnt vmcnt(0)
	v_dual_mov_b32 v17, v18 :: v_dual_mov_b32 v170, v48
	v_dual_mov_b32 v169, v47 :: v_dual_mov_b32 v162, v40
	v_dual_mov_b32 v159, v37 :: v_dual_mov_b32 v168, v46
	v_dual_mov_b32 v167, v45 :: v_dual_mov_b32 v166, v44
	v_dual_mov_b32 v165, v43 :: v_dual_mov_b32 v164, v42
	v_dual_mov_b32 v161, v39 :: v_dual_mov_b32 v160, v38
	s_clause 0x2
	scratch_load_b128 v[37:40], off, off offset:48
	scratch_load_b128 v[41:44], off, off offset:64
	;; [unrolled: 1-line block ×3, first 2 shown]
	v_dual_mov_b32 v163, v30 :: v_dual_mov_b32 v30, v29
	s_waitcnt vmcnt(0)
	v_mov_b32_e32 v74, v48
	v_dual_mov_b32 v66, v40 :: v_dual_mov_b32 v63, v37
	v_dual_mov_b32 v73, v47 :: v_dual_mov_b32 v64, v38
	;; [unrolled: 1-line block ×5, first 2 shown]
	v_mov_b32_e32 v69, v43
	v_dual_mov_b32 v67, v6 :: v_dual_mov_b32 v148, v160
	v_dual_mov_b32 v134, v74 :: v_dual_mov_b32 v133, v73
	;; [unrolled: 1-line block ×12, first 2 shown]
	v_mov_b32_e32 v128, v5
	v_dual_mov_b32 v152, v29 :: v_dual_mov_b32 v51, v123
	v_dual_mov_b32 v99, v147 :: v_dual_mov_b32 v108, v156
	;; [unrolled: 1-line block ×13, first 2 shown]
	v_mov_b32_e32 v57, v7
	v_dual_mov_b32 v39, v99 :: v_dual_mov_b32 v40, v100
	v_dual_mov_b32 v49, v109 :: v_dual_mov_b32 v50, v110
	s_delay_alu instid0(VALU_DEP_4)
	v_dual_mov_b32 v122, v62 :: v_dual_mov_b32 v121, v61
	v_dual_mov_b32 v43, v103 :: v_dual_mov_b32 v44, v104
	;; [unrolled: 1-line block ×10, first 2 shown]
	v_mov_b32_e32 v46, v32
	v_mov_b32_e32 v118, v8
	v_dual_mov_b32 v98, v50 :: v_dual_mov_b32 v93, v45
	v_dual_mov_b32 v97, v49 :: v_dual_mov_b32 v146, v122
	;; [unrolled: 1-line block ×13, first 2 shown]
	v_mov_b32_e32 v137, v113
	s_clause 0x2
	scratch_store_b128 off, v[63:66], off
	scratch_store_b128 off, v[67:70], off offset:16
	scratch_store_b128 off, v[71:74], off offset:32
	v_dual_mov_b32 v63, v87 :: v_dual_mov_b32 v66, v90
	v_dual_mov_b32 v75, v135 :: v_dual_mov_b32 v78, v138
	;; [unrolled: 1-line block ×15, first 2 shown]
	v_mov_b32_e32 v86, v12
	v_mov_b32_e32 v6, v5
.LBB197_35:
	s_or_b32 exec_lo, exec_lo, s2
	v_mov_b32_e32 v2, v19
	s_mov_b32 s2, exec_lo
	v_cmpx_lt_f32_e32 v1, v19
	s_cbranch_execz .LBB197_37
; %bb.36:
	s_clause 0x2
	scratch_load_b128 v[37:40], off, off
	scratch_load_b128 v[41:44], off, off offset:16
	scratch_load_b128 v[45:48], off, off offset:32
	v_mov_b32_e32 v164, v31
	v_dual_mov_b32 v2, v1 :: v_dual_mov_b32 v31, v30
	v_mov_b32_e32 v18, v19
	s_waitcnt vmcnt(0)
	v_dual_mov_b32 v134, v48 :: v_dual_mov_b32 v133, v47
	v_dual_mov_b32 v130, v44 :: v_dual_mov_b32 v127, v41
	;; [unrolled: 1-line block ×17, first 2 shown]
	v_mov_b32_e32 v61, v133
	v_mov_b32_e32 v57, v6
	;; [unrolled: 1-line block ×3, first 2 shown]
	v_dual_mov_b32 v62, v134 :: v_dual_mov_b32 v39, v99
	v_dual_mov_b32 v147, v159 :: v_dual_mov_b32 v148, v160
	s_delay_alu instid0(VALU_DEP_2)
	v_dual_mov_b32 v149, v161 :: v_dual_mov_b32 v122, v62
	v_dual_mov_b32 v120, v60 :: v_dual_mov_b32 v49, v109
	v_mov_b32_e32 v50, v110
	v_dual_mov_b32 v40, v100 :: v_dual_mov_b32 v119, v59
	v_dual_mov_b32 v118, v58 :: v_dual_mov_b32 v115, v55
	;; [unrolled: 1-line block ×6, first 2 shown]
	v_mov_b32_e32 v121, v61
	v_dual_mov_b32 v117, v57 :: v_dual_mov_b32 v116, v56
	v_dual_mov_b32 v113, v53 :: v_dual_mov_b32 v112, v52
	v_dual_mov_b32 v43, v103 :: v_dual_mov_b32 v44, v104
	v_mov_b32_e32 v46, v32
	v_mov_b32_e32 v118, v8
	v_dual_mov_b32 v98, v50 :: v_dual_mov_b32 v95, v47
	v_dual_mov_b32 v97, v49 :: v_dual_mov_b32 v146, v122
	;; [unrolled: 1-line block ×4, first 2 shown]
	v_mov_b32_e32 v87, v39
	v_dual_mov_b32 v143, v9 :: v_dual_mov_b32 v96, v48
	v_dual_mov_b32 v93, v45 :: v_dual_mov_b32 v88, v40
	;; [unrolled: 1-line block ×8, first 2 shown]
	v_mov_b32_e32 v137, v113
	v_dual_mov_b32 v75, v135 :: v_dual_mov_b32 v78, v138
	v_dual_mov_b32 v63, v87 :: v_dual_mov_b32 v66, v90
	;; [unrolled: 1-line block ×14, first 2 shown]
	v_mov_b32_e32 v74, v36
	v_dual_mov_b32 v84, v10 :: v_dual_mov_b32 v85, v11
	v_dual_mov_b32 v150, v162 :: v_dual_mov_b32 v151, v163
	;; [unrolled: 1-line block ×5, first 2 shown]
	v_mov_b32_e32 v158, v170
	v_mov_b32_e32 v7, v6
.LBB197_37:
	s_or_b32 exec_lo, exec_lo, s2
	v_mov_b32_e32 v1, v20
	s_mov_b32 s2, exec_lo
	v_cmpx_lt_f32_e32 v2, v20
	s_cbranch_execz .LBB197_39
; %bb.38:
	v_mov_b32_e32 v129, v8
	v_mov_b32_e32 v153, v32
	v_dual_mov_b32 v111, v123 :: v_dual_mov_b32 v114, v126
	v_dual_mov_b32 v39, v147 :: v_dual_mov_b32 v40, v148
	;; [unrolled: 1-line block ×10, first 2 shown]
	v_mov_b32_e32 v120, v132
	v_dual_mov_b32 v116, v128 :: v_dual_mov_b32 v121, v133
	v_mov_b32_e32 v46, v31
	v_dual_mov_b32 v119, v131 :: v_dual_mov_b32 v98, v50
	v_dual_mov_b32 v118, v7 :: v_dual_mov_b32 v97, v49
	;; [unrolled: 1-line block ×13, first 2 shown]
	v_mov_b32_e32 v95, v33
	v_dual_mov_b32 v19, v20 :: v_dual_mov_b32 v20, v2
	v_mov_b32_e32 v143, v9
	v_dual_mov_b32 v63, v87 :: v_dual_mov_b32 v68, v92
	v_dual_mov_b32 v64, v88 :: v_dual_mov_b32 v75, v135
	;; [unrolled: 1-line block ×11, first 2 shown]
	v_mov_b32_e32 v70, v94
	v_dual_mov_b32 v66, v90 :: v_dual_mov_b32 v71, v95
	v_dual_mov_b32 v76, v136 :: v_dual_mov_b32 v77, v137
	;; [unrolled: 1-line block ×15, first 2 shown]
	v_mov_b32_e32 v110, v158
	v_dual_mov_b32 v1, v2 :: v_dual_mov_b32 v8, v7
	v_mov_b32_e32 v32, v31
.LBB197_39:
	s_or_b32 exec_lo, exec_lo, s2
	v_mov_b32_e32 v2, v21
	s_mov_b32 s2, exec_lo
	v_cmpx_lt_f32_e32 v1, v21
	s_cbranch_execz .LBB197_41
; %bb.40:
	v_mov_b32_e32 v58, v9
	v_mov_b32_e32 v106, v33
	v_dual_mov_b32 v146, v62 :: v_dual_mov_b32 v143, v59
	v_mov_b32_e32 v87, v99
	s_delay_alu instid0(VALU_DEP_3)
	v_dual_mov_b32 v141, v57 :: v_dual_mov_b32 v94, v106
	v_dual_mov_b32 v95, v107 :: v_dual_mov_b32 v140, v56
	;; [unrolled: 1-line block ×6, first 2 shown]
	v_mov_b32_e32 v95, v32
	v_dual_mov_b32 v143, v8 :: v_dual_mov_b32 v20, v21
	v_dual_mov_b32 v88, v100 :: v_dual_mov_b32 v89, v101
	;; [unrolled: 1-line block ×7, first 2 shown]
	s_delay_alu instid0(VALU_DEP_2)
	v_dual_mov_b32 v75, v135 :: v_dual_mov_b32 v76, v136
	v_dual_mov_b32 v122, v62 :: v_dual_mov_b32 v117, v57
	;; [unrolled: 1-line block ×25, first 2 shown]
	v_mov_b32_e32 v48, v108
	v_dual_mov_b32 v50, v110 :: v_dual_mov_b32 v9, v8
	v_dual_mov_b32 v2, v1 :: v_dual_mov_b32 v33, v32
.LBB197_41:
	s_or_b32 exec_lo, exec_lo, s2
	v_mov_b32_e32 v3, v22
	s_mov_b32 s2, exec_lo
	s_delay_alu instid0(VALU_DEP_2)
	v_cmpx_lt_f32_e32 v2, v22
	s_cbranch_execz .LBB197_43
; %bb.42:
	v_mov_b32_e32 v47, v34
	v_mov_b32_e32 v74, v50
	v_dual_mov_b32 v21, v22 :: v_dual_mov_b32 v72, v48
	v_dual_mov_b32 v72, v33 :: v_dual_mov_b32 v119, v10
	;; [unrolled: 1-line block ×3, first 2 shown]
	v_mov_b32_e32 v78, v114
	v_dual_mov_b32 v22, v2 :: v_dual_mov_b32 v73, v49
	v_dual_mov_b32 v81, v117 :: v_dual_mov_b32 v84, v120
	;; [unrolled: 1-line block ×7, first 2 shown]
	v_mov_b32_e32 v69, v45
	v_dual_mov_b32 v67, v43 :: v_dual_mov_b32 v66, v42
	v_dual_mov_b32 v65, v41 :: v_dual_mov_b32 v64, v40
	;; [unrolled: 1-line block ×18, first 2 shown]
	v_mov_b32_e32 v34, v33
.LBB197_43:
	s_or_b32 exec_lo, exec_lo, s2
	v_mov_b32_e32 v1, v23
	s_mov_b32 s2, exec_lo
	v_cmpx_lt_f32_e32 v3, v23
	s_cbranch_execz .LBB197_45
; %bb.44:
	v_dual_mov_b32 v144, v11 :: v_dual_mov_b32 v145, v10
	v_dual_mov_b32 v96, v35 :: v_dual_mov_b32 v97, v34
	v_mov_b32_e32 v146, v12
	v_mov_b32_e32 v22, v23
	v_dual_mov_b32 v23, v3 :: v_dual_mov_b32 v98, v36
	v_dual_mov_b32 v75, v135 :: v_dual_mov_b32 v84, v144
	;; [unrolled: 1-line block ×3, first 2 shown]
	v_mov_b32_e32 v79, v139
	v_dual_mov_b32 v77, v137 :: v_dual_mov_b32 v78, v138
	v_dual_mov_b32 v81, v141 :: v_dual_mov_b32 v80, v140
	;; [unrolled: 1-line block ×10, first 2 shown]
.LBB197_45:
	s_or_b32 exec_lo, exec_lo, s2
	s_delay_alu instid0(VALU_DEP_1)
	v_cmp_lt_f32_e32 vcc_lo, v1, v24
	v_mov_b32_e32 v42, v78
	v_cmp_lt_f32_e64 s2, v13, v14
	v_dual_mov_b32 v40, v76 :: v_dual_mov_b32 v41, v77
	v_dual_cndmask_b32 v12, v24, v1 :: v_dual_mov_b32 v43, v79
	v_dual_cndmask_b32 v23, v23, v24 :: v_dual_cndmask_b32 v50, v86, v85
	s_delay_alu instid0(VALU_DEP_2) | instskip(SKIP_2) | instid1(VALU_DEP_3)
	v_dual_mov_b32 v39, v75 :: v_dual_mov_b32 v24, v12
	v_dual_cndmask_b32 v49, v85, v86 :: v_dual_mov_b32 v44, v80
	v_dual_cndmask_b32 v61, v73, v74 :: v_dual_cndmask_b32 v62, v74, v73
	v_dual_mov_b32 v38, v24 :: v_dual_mov_b32 v35, v21
	v_dual_mov_b32 v37, v23 :: v_dual_mov_b32 v36, v22
	;; [unrolled: 1-line block ×13, first 2 shown]
	s_and_saveexec_b32 s3, s2
	s_delay_alu instid0(SALU_CYCLE_1)
	s_xor_b32 s2, exec_lo, s3
	s_cbranch_execz .LBB197_47
; %bb.46:
	v_dual_mov_b32 v1, v14 :: v_dual_mov_b32 v2, v13
	v_dual_mov_b32 v3, v15 :: v_dual_mov_b32 v4, v16
	;; [unrolled: 1-line block ×6, first 2 shown]
	s_delay_alu instid0(VALU_DEP_2) | instskip(NEXT) | instid1(VALU_DEP_2)
	v_dual_mov_b32 v38, v12 :: v_dual_mov_b32 v35, v9
	v_dual_mov_b32 v36, v10 :: v_dual_mov_b32 v37, v11
	;; [unrolled: 1-line block ×16, first 2 shown]
.LBB197_47:
	s_or_b32 exec_lo, exec_lo, s2
	v_dual_mov_b32 v13, v29 :: v_dual_mov_b32 v122, v50
	v_dual_mov_b32 v15, v39 :: v_dual_mov_b32 v16, v40
	;; [unrolled: 1-line block ×30, first 2 shown]
	v_mov_b32_e32 v135, v39
	s_clause 0x2
	scratch_store_b128 off, v[39:42], off offset:48
	scratch_store_b128 off, v[43:46], off offset:64
	;; [unrolled: 1-line block ×3, first 2 shown]
	v_dual_mov_b32 v1, v51 :: v_dual_mov_b32 v4, v54
	v_dual_mov_b32 v11, v61 :: v_dual_mov_b32 v74, v62
	;; [unrolled: 1-line block ×34, first 2 shown]
	v_mov_b32_e32 v159, v51
	s_mov_b32 s2, exec_lo
	v_dual_mov_b32 v73, v61 :: v_dual_mov_b32 v72, v60
	v_mov_b32_e32 v2, v52
	s_clause 0x2
	scratch_store_b128 off, v[51:54], off
	scratch_store_b128 off, v[55:58], off offset:16
	scratch_store_b128 off, v[59:62], off offset:32
	v_dual_mov_b32 v182, v50 :: v_dual_mov_b32 v181, v49
	v_dual_mov_b32 v180, v48 :: v_dual_mov_b32 v179, v47
	;; [unrolled: 1-line block ×6, first 2 shown]
	v_cmpx_lt_f32_e32 v14, v29
	s_cbranch_execz .LBB197_49
; %bb.48:
	v_dual_mov_b32 v170, v62 :: v_dual_mov_b32 v169, v61
	v_dual_mov_b32 v162, v54 :: v_dual_mov_b32 v161, v53
	;; [unrolled: 1-line block ×7, first 2 shown]
	s_clause 0x2
	scratch_store_b128 off, v[159:162], off
	scratch_store_b128 off, v[163:166], off offset:16
	scratch_store_b128 off, v[167:170], off offset:32
	v_dual_mov_b32 v182, v50 :: v_dual_mov_b32 v181, v49
	v_dual_mov_b32 v172, v40 :: v_dual_mov_b32 v171, v39
	;; [unrolled: 1-line block ×8, first 2 shown]
	s_delay_alu instid0(VALU_DEP_3)
	v_dual_mov_b32 v140, v176 :: v_dual_mov_b32 v141, v177
	v_dual_mov_b32 v138, v174 :: v_dual_mov_b32 v139, v175
	v_dual_mov_b32 v144, v180 :: v_dual_mov_b32 v145, v181
	v_mov_b32_e32 v146, v182
	v_dual_mov_b32 v136, v172 :: v_dual_mov_b32 v137, v173
	v_mov_b32_e32 v138, v42
	v_dual_mov_b32 v142, v178 :: v_dual_mov_b32 v143, v179
	v_mov_b32_e32 v53, v52
	v_mov_b32_e32 v139, v43
	;; [unrolled: 1-line block ×3, first 2 shown]
	v_dual_mov_b32 v147, v159 :: v_dual_mov_b32 v148, v160
	v_mov_b32_e32 v151, v163
	v_dual_mov_b32 v149, v161 :: v_dual_mov_b32 v150, v162
	v_dual_mov_b32 v153, v165 :: v_dual_mov_b32 v152, v164
	;; [unrolled: 1-line block ×16, first 2 shown]
	v_mov_b32_e32 v122, v146
	v_dual_mov_b32 v114, v138 :: v_dual_mov_b32 v117, v141
	v_dual_mov_b32 v116, v140 :: v_dual_mov_b32 v119, v143
	;; [unrolled: 1-line block ×14, first 2 shown]
	v_mov_b32_e32 v82, v118
	v_dual_mov_b32 v76, v112 :: v_dual_mov_b32 v81, v117
	v_dual_mov_b32 v80, v116 :: v_dual_mov_b32 v85, v121
	;; [unrolled: 1-line block ×6, first 2 shown]
	v_mov_b32_e32 v81, v45
	v_dual_mov_b32 v65, v89 :: v_dual_mov_b32 v72, v96
	v_mov_b32_e32 v29, v14
	s_delay_alu instid0(VALU_DEP_3)
	v_dual_mov_b32 v110, v86 :: v_dual_mov_b32 v105, v81
	v_dual_mov_b32 v70, v94 :: v_dual_mov_b32 v73, v97
	;; [unrolled: 1-line block ×11, first 2 shown]
	v_mov_b32_e32 v106, v46
	s_clause 0x2
	scratch_store_b128 off, v[1:4], off offset:48
	scratch_store_b128 off, v[5:8], off offset:64
	;; [unrolled: 1-line block ×3, first 2 shown]
	v_dual_mov_b32 v100, v76 :: v_dual_mov_b32 v1, v63
	v_dual_mov_b32 v10, v72 :: v_dual_mov_b32 v3, v65
	;; [unrolled: 1-line block ×16, first 2 shown]
	v_mov_b32_e32 v26, v50
.LBB197_49:
	s_or_b32 exec_lo, exec_lo, s2
	v_mov_b32_e32 v14, v30
	s_mov_b32 s2, exec_lo
	v_cmpx_lt_f32_e32 v13, v30
	s_cbranch_execz .LBB197_51
; %bb.50:
	s_clause 0x2
	scratch_load_b128 v[1:4], off, off
	scratch_load_b128 v[5:8], off, off offset:16
	scratch_load_b128 v[9:12], off, off offset:32
	v_mov_b32_e32 v161, v54
	v_dual_mov_b32 v29, v30 :: v_dual_mov_b32 v30, v13
	v_mov_b32_e32 v54, v53
	s_waitcnt vmcnt(0)
	v_dual_mov_b32 v170, v12 :: v_dual_mov_b32 v169, v11
	v_mov_b32_e32 v162, v4
	v_dual_mov_b32 v162, v53 :: v_dual_mov_b32 v173, v42
	v_dual_mov_b32 v160, v2 :: v_dual_mov_b32 v135, v171
	;; [unrolled: 1-line block ×4, first 2 shown]
	v_mov_b32_e32 v165, v7
	s_delay_alu instid0(VALU_DEP_3)
	v_dual_mov_b32 v1, v159 :: v_dual_mov_b32 v2, v160
	v_dual_mov_b32 v136, v172 :: v_dual_mov_b32 v3, v161
	v_mov_b32_e32 v138, v174
	v_dual_mov_b32 v164, v6 :: v_dual_mov_b32 v163, v5
	s_clause 0x2
	scratch_store_b128 off, v[1:4], off
	scratch_store_b128 off, v[5:8], off offset:16
	scratch_store_b128 off, v[9:12], off offset:32
	v_dual_mov_b32 v137, v173 :: v_dual_mov_b32 v140, v176
	v_dual_mov_b32 v138, v41 :: v_dual_mov_b32 v147, v159
	;; [unrolled: 1-line block ×12, first 2 shown]
	v_mov_b32_e32 v139, v43
	v_dual_mov_b32 v123, v147 :: v_dual_mov_b32 v126, v150
	v_dual_mov_b32 v124, v148 :: v_dual_mov_b32 v111, v135
	;; [unrolled: 1-line block ×3, first 2 shown]
	s_delay_alu instid0(VALU_DEP_4)
	v_dual_mov_b32 v128, v152 :: v_dual_mov_b32 v115, v139
	v_dual_mov_b32 v116, v140 :: v_dual_mov_b32 v121, v145
	;; [unrolled: 1-line block ×6, first 2 shown]
	v_mov_b32_e32 v128, v56
	v_dual_mov_b32 v116, v44 :: v_dual_mov_b32 v87, v123
	v_dual_mov_b32 v113, v137 :: v_dual_mov_b32 v114, v138
	;; [unrolled: 1-line block ×17, first 2 shown]
	v_mov_b32_e32 v81, v45
	v_dual_mov_b32 v7, v141 :: v_dual_mov_b32 v8, v142
	v_dual_mov_b32 v9, v143 :: v_dual_mov_b32 v10, v144
	;; [unrolled: 1-line block ×5, first 2 shown]
	v_mov_b32_e32 v64, v88
	v_dual_mov_b32 v110, v86 :: v_dual_mov_b32 v109, v85
	v_dual_mov_b32 v65, v89 :: v_dual_mov_b32 v68, v92
	;; [unrolled: 1-line block ×10, first 2 shown]
	v_mov_b32_e32 v102, v78
	v_dual_mov_b32 v42, v41 :: v_dual_mov_b32 v103, v79
	v_mov_b32_e32 v100, v76
	v_mov_b32_e32 v106, v46
	s_clause 0x2
	scratch_store_b128 off, v[1:4], off offset:48
	scratch_store_b128 off, v[5:8], off offset:64
	;; [unrolled: 1-line block ×3, first 2 shown]
	v_mov_b32_e32 v1, v63
	v_mov_b32_e32 v5, v67
	v_dual_mov_b32 v3, v65 :: v_dual_mov_b32 v12, v74
	v_dual_mov_b32 v15, v99 :: v_dual_mov_b32 v4, v66
	;; [unrolled: 1-line block ×14, first 2 shown]
	v_mov_b32_e32 v24, v48
	v_mov_b32_e32 v26, v50
.LBB197_51:
	s_or_b32 exec_lo, exec_lo, s2
	v_mov_b32_e32 v13, v31
	s_mov_b32 s2, exec_lo
	v_cmpx_lt_f32_e32 v14, v31
	s_cbranch_execz .LBB197_53
; %bb.52:
	s_clause 0x2
	scratch_load_b128 v[1:4], off, off
	scratch_load_b128 v[5:8], off, off offset:16
	scratch_load_b128 v[9:12], off, off offset:32
	v_dual_mov_b32 v30, v31 :: v_dual_mov_b32 v31, v14
	v_dual_mov_b32 v13, v14 :: v_dual_mov_b32 v162, v55
	v_mov_b32_e32 v55, v54
	s_waitcnt vmcnt(2)
	v_dual_mov_b32 v161, v3 :: v_dual_mov_b32 v160, v2
	s_waitcnt vmcnt(0)
	v_dual_mov_b32 v159, v1 :: v_dual_mov_b32 v170, v12
	v_dual_mov_b32 v169, v11 :: v_dual_mov_b32 v168, v10
	;; [unrolled: 1-line block ×8, first 2 shown]
	s_delay_alu instid0(VALU_DEP_4)
	v_dual_mov_b32 v151, v163 :: v_dual_mov_b32 v156, v168
	v_dual_mov_b32 v157, v169 :: v_dual_mov_b32 v136, v172
	v_dual_mov_b32 v137, v173 :: v_dual_mov_b32 v138, v174
	v_dual_mov_b32 v139, v175 :: v_dual_mov_b32 v152, v164
	v_dual_mov_b32 v153, v165 :: v_dual_mov_b32 v154, v166
	v_dual_mov_b32 v155, v167 :: v_dual_mov_b32 v140, v176
	v_dual_mov_b32 v141, v177 :: v_dual_mov_b32 v142, v178
	v_dual_mov_b32 v143, v179 :: v_dual_mov_b32 v144, v180
	v_mov_b32_e32 v145, v181
	v_mov_b32_e32 v139, v42
	;; [unrolled: 1-line block ×3, first 2 shown]
	v_dual_mov_b32 v146, v182 :: v_dual_mov_b32 v123, v147
	v_dual_mov_b32 v111, v135 :: v_dual_mov_b32 v112, v136
	;; [unrolled: 1-line block ×3, first 2 shown]
	s_delay_alu instid0(VALU_DEP_4)
	v_dual_mov_b32 v124, v148 :: v_dual_mov_b32 v127, v151
	v_dual_mov_b32 v128, v152 :: v_dual_mov_b32 v131, v155
	;; [unrolled: 1-line block ×9, first 2 shown]
	v_mov_b32_e32 v120, v144
	v_dual_mov_b32 v116, v44 :: v_dual_mov_b32 v87, v123
	v_mov_b32_e32 v114, v138
	v_dual_mov_b32 v98, v134 :: v_dual_mov_b32 v75, v111
	v_dual_mov_b32 v88, v124 :: v_dual_mov_b32 v89, v125
	;; [unrolled: 1-line block ×3, first 2 shown]
	v_mov_b32_e32 v86, v122
	v_dual_mov_b32 v90, v126 :: v_dual_mov_b32 v91, v127
	v_dual_mov_b32 v92, v128 :: v_dual_mov_b32 v93, v129
	;; [unrolled: 1-line block ×8, first 2 shown]
	v_mov_b32_e32 v79, v115
	v_mov_b32_e32 v81, v45
	v_dual_mov_b32 v63, v87 :: v_dual_mov_b32 v66, v90
	v_dual_mov_b32 v64, v88 :: v_dual_mov_b32 v73, v97
	;; [unrolled: 1-line block ×9, first 2 shown]
	v_mov_b32_e32 v108, v84
	v_dual_mov_b32 v106, v46 :: v_dual_mov_b32 v1, v63
	v_dual_mov_b32 v105, v81 :: v_dual_mov_b32 v104, v80
	;; [unrolled: 1-line block ×19, first 2 shown]
	v_mov_b32_e32 v26, v50
	v_mov_b32_e32 v43, v42
	s_clause 0x2
	scratch_store_b128 off, v[171:174], off offset:48
	scratch_store_b128 off, v[175:178], off offset:64
	;; [unrolled: 1-line block ×3, first 2 shown]
.LBB197_53:
	s_or_b32 exec_lo, exec_lo, s2
	v_mov_b32_e32 v14, v32
	s_mov_b32 s2, exec_lo
	v_cmpx_lt_f32_e32 v13, v32
	s_cbranch_execz .LBB197_55
; %bb.54:
	s_clause 0x2
	scratch_load_b128 v[1:4], off, off offset:48
	scratch_load_b128 v[5:8], off, off offset:64
	;; [unrolled: 1-line block ×3, first 2 shown]
	v_dual_mov_b32 v163, v56 :: v_dual_mov_b32 v14, v13
	v_dual_mov_b32 v56, v55 :: v_dual_mov_b32 v31, v32
	s_waitcnt vmcnt(2)
	v_dual_mov_b32 v138, v4 :: v_dual_mov_b32 v137, v3
	s_waitcnt vmcnt(0)
	v_dual_mov_b32 v146, v12 :: v_dual_mov_b32 v145, v11
	v_dual_mov_b32 v136, v2 :: v_dual_mov_b32 v135, v1
	;; [unrolled: 1-line block ×17, first 2 shown]
	v_mov_b32_e32 v120, v144
	v_mov_b32_e32 v116, v43
	v_dual_mov_b32 v87, v123 :: v_dual_mov_b32 v88, v124
	v_dual_mov_b32 v89, v125 :: v_dual_mov_b32 v98, v134
	;; [unrolled: 1-line block ×12, first 2 shown]
	v_mov_b32_e32 v79, v115
	v_mov_b32_e32 v81, v45
	v_dual_mov_b32 v63, v87 :: v_dual_mov_b32 v66, v90
	v_dual_mov_b32 v64, v88 :: v_dual_mov_b32 v73, v97
	v_dual_mov_b32 v110, v86 :: v_dual_mov_b32 v71, v95
	v_dual_mov_b32 v74, v98 :: v_dual_mov_b32 v99, v75
	v_dual_mov_b32 v67, v91 :: v_dual_mov_b32 v70, v94
	v_dual_mov_b32 v107, v83 :: v_dual_mov_b32 v106, v82
	v_dual_mov_b32 v69, v93 :: v_dual_mov_b32 v72, v96
	v_dual_mov_b32 v109, v85 :: v_dual_mov_b32 v108, v84
	v_mov_b32_e32 v70, v58
	v_dual_mov_b32 v106, v46 :: v_dual_mov_b32 v65, v89
	v_dual_mov_b32 v68, v92 :: v_dual_mov_b32 v105, v81
	;; [unrolled: 1-line block ×4, first 2 shown]
	v_mov_b32_e32 v100, v76
	v_dual_mov_b32 v32, v13 :: v_dual_mov_b32 v1, v63
	v_dual_mov_b32 v12, v74 :: v_dual_mov_b32 v15, v99
	v_mov_b32_e32 v26, v110
	v_dual_mov_b32 v8, v70 :: v_dual_mov_b32 v9, v71
	v_dual_mov_b32 v10, v72 :: v_dual_mov_b32 v11, v73
	;; [unrolled: 1-line block ×20, first 2 shown]
	v_mov_b32_e32 v44, v43
.LBB197_55:
	s_or_b32 exec_lo, exec_lo, s2
	v_mov_b32_e32 v13, v33
	s_mov_b32 s2, exec_lo
	v_cmpx_lt_f32_e32 v14, v33
	s_cbranch_execz .LBB197_57
; %bb.56:
	v_mov_b32_e32 v140, v45
	v_dual_mov_b32 v152, v57 :: v_dual_mov_b32 v75, v135
	v_dual_mov_b32 v87, v147 :: v_dual_mov_b32 v90, v150
	;; [unrolled: 1-line block ×3, first 2 shown]
	s_delay_alu instid0(VALU_DEP_3)
	v_dual_mov_b32 v92, v152 :: v_dual_mov_b32 v93, v153
	v_dual_mov_b32 v76, v136 :: v_dual_mov_b32 v79, v139
	v_dual_mov_b32 v88, v148 :: v_dual_mov_b32 v89, v149
	v_dual_mov_b32 v94, v154 :: v_dual_mov_b32 v95, v155
	v_dual_mov_b32 v96, v156 :: v_dual_mov_b32 v97, v157
	v_dual_mov_b32 v98, v158 :: v_dual_mov_b32 v77, v137
	v_mov_b32_e32 v93, v56
	v_dual_mov_b32 v84, v144 :: v_dual_mov_b32 v63, v87
	v_dual_mov_b32 v78, v138 :: v_dual_mov_b32 v81, v141
	;; [unrolled: 1-line block ×5, first 2 shown]
	s_delay_alu instid0(VALU_DEP_3) | instskip(SKIP_1) | instid1(VALU_DEP_4)
	v_dual_mov_b32 v110, v86 :: v_dual_mov_b32 v109, v85
	v_dual_mov_b32 v100, v76 :: v_dual_mov_b32 v99, v75
	;; [unrolled: 1-line block ×11, first 2 shown]
	v_mov_b32_e32 v106, v46
	v_dual_mov_b32 v70, v58 :: v_dual_mov_b32 v15, v99
	v_dual_mov_b32 v1, v63 :: v_dual_mov_b32 v24, v108
	;; [unrolled: 1-line block ×3, first 2 shown]
	s_delay_alu instid0(VALU_DEP_3)
	v_dual_mov_b32 v8, v70 :: v_dual_mov_b32 v9, v71
	v_dual_mov_b32 v10, v72 :: v_dual_mov_b32 v11, v73
	;; [unrolled: 1-line block ×26, first 2 shown]
	v_mov_b32_e32 v13, v14
	v_dual_mov_b32 v134, v158 :: v_dual_mov_b32 v45, v44
	v_mov_b32_e32 v57, v56
.LBB197_57:
	s_or_b32 exec_lo, exec_lo, s2
	v_mov_b32_e32 v14, v34
	s_mov_b32 s2, exec_lo
	v_cmpx_lt_f32_e32 v13, v34
	s_cbranch_execz .LBB197_59
; %bb.58:
	v_mov_b32_e32 v129, v58
	v_dual_mov_b32 v63, v123 :: v_dual_mov_b32 v70, v130
	v_dual_mov_b32 v70, v57 :: v_dual_mov_b32 v71, v131
	;; [unrolled: 1-line block ×22, first 2 shown]
	v_mov_b32_e32 v34, v13
	v_dual_mov_b32 v3, v65 :: v_dual_mov_b32 v4, v66
	v_dual_mov_b32 v5, v67 :: v_dual_mov_b32 v6, v68
	;; [unrolled: 1-line block ×20, first 2 shown]
	v_mov_b32_e32 v14, v13
	v_mov_b32_e32 v46, v45
	;; [unrolled: 1-line block ×3, first 2 shown]
.LBB197_59:
	s_or_b32 exec_lo, exec_lo, s2
	v_mov_b32_e32 v13, v35
	s_mov_b32 s2, exec_lo
	v_cmpx_lt_f32_e32 v14, v35
	s_cbranch_execz .LBB197_61
; %bb.60:
	v_mov_b32_e32 v94, v59
	v_dual_mov_b32 v34, v35 :: v_dual_mov_b32 v35, v14
	v_mov_b32_e32 v82, v47
	v_dual_mov_b32 v1, v87 :: v_dual_mov_b32 v2, v88
	v_dual_mov_b32 v10, v96 :: v_dual_mov_b32 v7, v93
	;; [unrolled: 1-line block ×13, first 2 shown]
	v_mov_b32_e32 v5, v91
	v_mov_b32_e32 v9, v58
	v_dual_mov_b32 v12, v62 :: v_dual_mov_b32 v17, v77
	v_dual_mov_b32 v16, v76 :: v_dual_mov_b32 v19, v79
	;; [unrolled: 1-line block ×14, first 2 shown]
	v_mov_b32_e32 v47, v46
	v_mov_b32_e32 v59, v58
	;; [unrolled: 1-line block ×3, first 2 shown]
.LBB197_61:
	s_or_b32 exec_lo, exec_lo, s2
	v_mov_b32_e32 v39, v36
	s_mov_b32 s2, exec_lo
	v_cmpx_lt_f32_e32 v13, v36
	s_cbranch_execz .LBB197_63
; %bb.62:
	v_dual_mov_b32 v71, v60 :: v_dual_mov_b32 v72, v59
	v_dual_mov_b32 v73, v61 :: v_dual_mov_b32 v108, v47
	;; [unrolled: 1-line block ×17, first 2 shown]
	v_mov_b32_e32 v39, v13
.LBB197_63:
	s_or_b32 exec_lo, exec_lo, s2
	s_delay_alu instid0(VALU_DEP_1)
	v_cmp_lt_f32_e32 vcc_lo, v39, v37
	v_dual_mov_b32 v40, v28 :: v_dual_mov_b32 v43, v31
	v_dual_mov_b32 v42, v30 :: v_dual_mov_b32 v45, v33
	v_dual_cndmask_b32 v13, v25, v24 :: v_dual_cndmask_b32 v24, v24, v25
	v_dual_cndmask_b32 v14, v11, v10 :: v_dual_cndmask_b32 v49, v37, v39
	v_dual_cndmask_b32 v10, v10, v11 :: v_dual_mov_b32 v39, v27
	v_dual_cndmask_b32 v48, v36, v37 :: v_dual_mov_b32 v41, v29
	v_dual_mov_b32 v44, v32 :: v_dual_mov_b32 v47, v35
	v_mov_b32_e32 v46, v34
	v_mov_b32_e32 v50, v38
	s_mov_b32 s2, exec_lo
	v_cmpx_lt_f32_e32 v27, v28
	s_cbranch_execz .LBB197_65
; %bb.64:
	v_dual_mov_b32 v28, v40 :: v_dual_mov_b32 v29, v39
	v_dual_mov_b32 v38, v49 :: v_dual_mov_b32 v39, v50
	;; [unrolled: 1-line block ×7, first 2 shown]
	v_mov_b32_e32 v11, v15
	v_swap_b32 v15, v16
	s_delay_alu instid0(VALU_DEP_4)
	v_mov_b32_e32 v48, v37
	v_swap_b32 v1, v2
	v_dual_mov_b32 v49, v38 :: v_dual_mov_b32 v46, v35
	v_dual_mov_b32 v47, v36 :: v_dual_mov_b32 v44, v33
	;; [unrolled: 1-line block ×4, first 2 shown]
	v_mov_b32_e32 v41, v30
	v_dual_mov_b32 v39, v28 :: v_dual_mov_b32 v28, v27
.LBB197_65:
	s_or_b32 exec_lo, exec_lo, s2
	v_mov_b32_e32 v11, v14
	v_dual_mov_b32 v25, v13 :: v_dual_mov_b32 v62, v12
	v_dual_mov_b32 v74, v26 :: v_dual_mov_b32 v63, v15
	v_mov_b32_e32 v86, v26
	v_dual_mov_b32 v72, v24 :: v_dual_mov_b32 v75, v15
	v_dual_mov_b32 v110, v26 :: v_dual_mov_b32 v53, v3
	;; [unrolled: 1-line block ×61, first 2 shown]
	v_mov_b32_e32 v149, v3
	v_mov_b32_e32 v147, v1
	;; [unrolled: 1-line block ×3, first 2 shown]
	s_mov_b32 s2, exec_lo
	v_dual_mov_b32 v85, v25 :: v_dual_mov_b32 v84, v24
	v_dual_mov_b32 v83, v23 :: v_dual_mov_b32 v82, v22
	s_clause 0x2
	scratch_store_b128 off, v[1:4], off
	scratch_store_b128 off, v[5:8], off offset:16
	scratch_store_b128 off, v[9:12], off offset:32
	v_cmpx_lt_f32_e32 v28, v41
	s_cbranch_execz .LBB197_67
; %bb.66:
	v_dual_mov_b32 v158, v12 :: v_dual_mov_b32 v157, v11
	v_dual_mov_b32 v150, v4 :: v_dual_mov_b32 v149, v3
	;; [unrolled: 1-line block ×7, first 2 shown]
	s_clause 0x2
	scratch_store_b128 off, v[147:150], off
	scratch_store_b128 off, v[151:154], off offset:16
	scratch_store_b128 off, v[155:158], off offset:32
	v_dual_mov_b32 v182, v26 :: v_dual_mov_b32 v181, v25
	v_dual_mov_b32 v172, v16 :: v_dual_mov_b32 v171, v15
	;; [unrolled: 1-line block ×8, first 2 shown]
	s_delay_alu instid0(VALU_DEP_4) | instskip(SKIP_1) | instid1(VALU_DEP_4)
	v_dual_mov_b32 v160, v172 :: v_dual_mov_b32 v161, v173
	v_dual_mov_b32 v162, v174 :: v_dual_mov_b32 v163, v175
	;; [unrolled: 1-line block ×4, first 2 shown]
	v_mov_b32_e32 v170, v182
	v_dual_mov_b32 v166, v178 :: v_dual_mov_b32 v167, v179
	v_mov_b32_e32 v162, v18
	v_dual_mov_b32 v40, v41 :: v_dual_mov_b32 v41, v28
	v_mov_b32_e32 v3, v2
	v_mov_b32_e32 v17, v16
	v_mov_b32_e32 v135, v147
	v_dual_mov_b32 v137, v149 :: v_dual_mov_b32 v144, v156
	v_dual_mov_b32 v123, v159 :: v_dual_mov_b32 v136, v148
	;; [unrolled: 1-line block ×12, first 2 shown]
	v_mov_b32_e32 v133, v169
	v_dual_mov_b32 v111, v135 :: v_dual_mov_b32 v112, v136
	v_dual_mov_b32 v99, v123 :: v_dual_mov_b32 v100, v124
	;; [unrolled: 1-line block ×12, first 2 shown]
	v_mov_b32_e32 v104, v20
	v_dual_mov_b32 v116, v6 :: v_dual_mov_b32 v75, v99
	v_mov_b32_e32 v87, v111
	v_dual_mov_b32 v93, v117 :: v_dual_mov_b32 v78, v102
	s_delay_alu instid0(VALU_DEP_3)
	v_dual_mov_b32 v81, v105 :: v_dual_mov_b32 v92, v116
	v_dual_mov_b32 v90, v114 :: v_dual_mov_b32 v91, v115
	;; [unrolled: 1-line block ×11, first 2 shown]
	v_mov_b32_e32 v51, v87
	v_dual_mov_b32 v63, v75 :: v_dual_mov_b32 v66, v78
	v_dual_mov_b32 v55, v91 :: v_dual_mov_b32 v58, v94
	;; [unrolled: 1-line block ×13, first 2 shown]
	v_mov_b32_e32 v60, v10
	v_dual_mov_b32 v61, v14 :: v_dual_mov_b32 v62, v12
	v_dual_mov_b32 v70, v22 :: v_dual_mov_b32 v71, v23
	;; [unrolled: 1-line block ×3, first 2 shown]
	v_mov_b32_e32 v74, v26
.LBB197_67:
	s_or_b32 exec_lo, exec_lo, s2
	v_mov_b32_e32 v1, v42
	v_cmp_lt_f32_e32 vcc_lo, v11, v42
	s_mov_b32 s2, exec_lo
	s_clause 0x2
	scratch_load_b128 v[27:30], off, off
	scratch_load_b128 v[31:34], off, off offset:16
	scratch_load_b128 v[35:38], off, off offset:32
	s_and_b32 s3, s2, vcc_lo
	s_delay_alu instid0(SALU_CYCLE_1)
	s_mov_b32 exec_lo, s3
	s_cbranch_execz .LBB197_69
; %bb.68:
	v_mov_b32_e32 v173, v18
	s_waitcnt vmcnt(2)
	v_mov_b32_e32 v29, v4
	v_dual_mov_b32 v159, v171 :: v_dual_mov_b32 v162, v174
	s_waitcnt vmcnt(0)
	v_dual_mov_b32 v158, v38 :: v_dual_mov_b32 v157, v37
	v_dual_mov_b32 v156, v36 :: v_dual_mov_b32 v147, v27
	;; [unrolled: 1-line block ×6, first 2 shown]
	v_mov_b32_e32 v168, v180
	v_dual_mov_b32 v164, v176 :: v_dual_mov_b32 v165, v177
	v_dual_mov_b32 v170, v182 :: v_dual_mov_b32 v155, v35
	;; [unrolled: 1-line block ×4, first 2 shown]
	v_mov_b32_e32 v162, v17
	v_dual_mov_b32 v169, v181 :: v_dual_mov_b32 v150, v3
	v_dual_mov_b32 v123, v159 :: v_dual_mov_b32 v124, v160
	;; [unrolled: 1-line block ×3, first 2 shown]
	s_delay_alu instid0(VALU_DEP_3)
	v_dual_mov_b32 v137, v149 :: v_dual_mov_b32 v138, v150
	v_dual_mov_b32 v139, v151 :: v_dual_mov_b32 v140, v152
	;; [unrolled: 1-line block ×10, first 2 shown]
	v_mov_b32_e32 v127, v19
	v_mov_b32_e32 v139, v5
	v_dual_mov_b32 v99, v123 :: v_dual_mov_b32 v100, v124
	v_dual_mov_b32 v111, v135 :: v_dual_mov_b32 v114, v138
	;; [unrolled: 1-line block ×4, first 2 shown]
	v_mov_b32_e32 v120, v144
	v_dual_mov_b32 v104, v128 :: v_dual_mov_b32 v105, v129
	v_dual_mov_b32 v110, v134 :: v_dual_mov_b32 v115, v139
	;; [unrolled: 1-line block ×22, first 2 shown]
	v_mov_b32_e32 v93, v7
	v_dual_mov_b32 v63, v75 :: v_dual_mov_b32 v68, v80
	v_dual_mov_b32 v64, v76 :: v_dual_mov_b32 v51, v87
	;; [unrolled: 1-line block ×3, first 2 shown]
	s_delay_alu instid0(VALU_DEP_4)
	v_dual_mov_b32 v58, v94 :: v_dual_mov_b32 v57, v93
	v_dual_mov_b32 v60, v96 :: v_dual_mov_b32 v59, v95
	v_dual_mov_b32 v62, v98 :: v_dual_mov_b32 v61, v97
	v_dual_mov_b32 v66, v78 :: v_dual_mov_b32 v65, v77
	v_dual_mov_b32 v70, v82 :: v_dual_mov_b32 v67, v79
	v_dual_mov_b32 v72, v84 :: v_dual_mov_b32 v69, v81
	v_dual_mov_b32 v74, v86 :: v_dual_mov_b32 v71, v83
	v_dual_mov_b32 v58, v8 :: v_dual_mov_b32 v73, v85
	v_mov_b32_e32 v60, v10
	v_dual_mov_b32 v52, v88 :: v_dual_mov_b32 v53, v89
	v_dual_mov_b32 v56, v92 :: v_dual_mov_b32 v59, v9
	;; [unrolled: 1-line block ×3, first 2 shown]
	v_mov_b32_e32 v72, v24
	v_dual_mov_b32 v70, v22 :: v_dual_mov_b32 v71, v23
	v_dual_mov_b32 v73, v13 :: v_dual_mov_b32 v74, v26
	;; [unrolled: 1-line block ×3, first 2 shown]
	v_mov_b32_e32 v4, v3
.LBB197_69:
	s_or_b32 exec_lo, exec_lo, s2
	v_mov_b32_e32 v2, v43
	s_mov_b32 s2, exec_lo
	v_cmpx_lt_f32_e32 v1, v43
	s_cbranch_execz .LBB197_71
; %bb.70:
	v_mov_b32_e32 v174, v19
	s_waitcnt vmcnt(2)
	v_dual_mov_b32 v30, v5 :: v_dual_mov_b32 v123, v171
	s_waitcnt vmcnt(0)
	v_dual_mov_b32 v146, v38 :: v_dual_mov_b32 v143, v35
	v_dual_mov_b32 v145, v37 :: v_dual_mov_b32 v142, v34
	s_delay_alu instid0(VALU_DEP_3)
	v_dual_mov_b32 v139, v31 :: v_dual_mov_b32 v138, v30
	v_dual_mov_b32 v135, v27 :: v_dual_mov_b32 v124, v172
	;; [unrolled: 1-line block ×5, first 2 shown]
	v_mov_b32_e32 v127, v18
	v_dual_mov_b32 v134, v182 :: v_dual_mov_b32 v139, v4
	v_dual_mov_b32 v144, v36 :: v_dual_mov_b32 v141, v33
	;; [unrolled: 1-line block ×5, first 2 shown]
	s_delay_alu instid0(VALU_DEP_3)
	v_dual_mov_b32 v111, v135 :: v_dual_mov_b32 v112, v136
	v_dual_mov_b32 v99, v123 :: v_dual_mov_b32 v100, v124
	;; [unrolled: 1-line block ×12, first 2 shown]
	v_mov_b32_e32 v104, v20
	v_dual_mov_b32 v116, v6 :: v_dual_mov_b32 v75, v99
	v_mov_b32_e32 v87, v111
	v_dual_mov_b32 v93, v117 :: v_dual_mov_b32 v78, v102
	s_delay_alu instid0(VALU_DEP_3)
	v_dual_mov_b32 v81, v105 :: v_dual_mov_b32 v92, v116
	v_dual_mov_b32 v80, v104 :: v_dual_mov_b32 v83, v107
	;; [unrolled: 1-line block ×11, first 2 shown]
	v_mov_b32_e32 v63, v75
	s_delay_alu instid0(VALU_DEP_4)
	v_dual_mov_b32 v51, v87 :: v_dual_mov_b32 v52, v88
	v_dual_mov_b32 v71, v83 :: v_dual_mov_b32 v72, v84
	v_dual_mov_b32 v57, v93 :: v_dual_mov_b32 v58, v94
	v_dual_mov_b32 v59, v95 :: v_dual_mov_b32 v60, v96
	v_dual_mov_b32 v61, v97 :: v_dual_mov_b32 v62, v98
	v_dual_mov_b32 v69, v81 :: v_dual_mov_b32 v70, v82
	v_dual_mov_b32 v73, v85 :: v_dual_mov_b32 v74, v86
	v_dual_mov_b32 v72, v24 :: v_dual_mov_b32 v159, v171
	v_dual_mov_b32 v158, v38 :: v_dual_mov_b32 v153, v33
	v_dual_mov_b32 v42, v43 :: v_dual_mov_b32 v43, v1
	v_dual_mov_b32 v53, v89 :: v_dual_mov_b32 v54, v90
	v_dual_mov_b32 v55, v91 :: v_dual_mov_b32 v56, v92
	v_dual_mov_b32 v64, v76 :: v_dual_mov_b32 v65, v77
	v_dual_mov_b32 v66, v78 :: v_dual_mov_b32 v67, v79
	v_mov_b32_e32 v68, v80
	v_dual_mov_b32 v58, v8 :: v_dual_mov_b32 v59, v9
	v_dual_mov_b32 v60, v10 :: v_dual_mov_b32 v71, v23
	;; [unrolled: 1-line block ×16, first 2 shown]
	v_mov_b32_e32 v2, v1
.LBB197_71:
	s_or_b32 exec_lo, exec_lo, s2
	v_mov_b32_e32 v1, v44
	s_mov_b32 s2, exec_lo
	s_delay_alu instid0(VALU_DEP_2)
	v_cmpx_lt_f32_e32 v2, v44
	s_cbranch_execz .LBB197_73
; %bb.72:
	v_mov_b32_e32 v163, v20
	v_mov_b32_e32 v151, v6
	v_dual_mov_b32 v99, v159 :: v_dual_mov_b32 v100, v160
	v_dual_mov_b32 v111, v147 :: v_dual_mov_b32 v112, v148
	;; [unrolled: 1-line block ×10, first 2 shown]
	v_mov_b32_e32 v108, v168
	v_dual_mov_b32 v104, v164 :: v_dual_mov_b32 v107, v167
	v_mov_b32_e32 v116, v5
	v_dual_mov_b32 v109, v169 :: v_dual_mov_b32 v104, v19
	v_dual_mov_b32 v87, v111 :: v_dual_mov_b32 v88, v112
	;; [unrolled: 1-line block ×13, first 2 shown]
	v_mov_b32_e32 v93, v7
	v_dual_mov_b32 v43, v44 :: v_dual_mov_b32 v44, v2
	v_mov_b32_e32 v81, v21
	v_dual_mov_b32 v51, v87 :: v_dual_mov_b32 v56, v92
	v_dual_mov_b32 v52, v88 :: v_dual_mov_b32 v63, v75
	v_dual_mov_b32 v68, v80 :: v_dual_mov_b32 v53, v89
	v_dual_mov_b32 v58, v94 :: v_dual_mov_b32 v55, v91
	v_dual_mov_b32 v60, v96 :: v_dual_mov_b32 v57, v93
	v_dual_mov_b32 v62, v98 :: v_dual_mov_b32 v59, v95
	v_dual_mov_b32 v64, v76 :: v_dual_mov_b32 v61, v97
	v_dual_mov_b32 v66, v78 :: v_dual_mov_b32 v65, v77
	v_dual_mov_b32 v70, v82 :: v_dual_mov_b32 v67, v79
	v_dual_mov_b32 v72, v84 :: v_dual_mov_b32 v69, v81
	v_dual_mov_b32 v74, v86 :: v_dual_mov_b32 v71, v83
	v_dual_mov_b32 v58, v8 :: v_dual_mov_b32 v73, v85
	v_dual_mov_b32 v60, v10 :: v_dual_mov_b32 v123, v159
	v_dual_mov_b32 v124, v160 :: v_dual_mov_b32 v135, v147
	v_mov_b32_e32 v136, v148
	v_dual_mov_b32 v54, v90 :: v_dual_mov_b32 v59, v9
	v_dual_mov_b32 v62, v12 :: v_dual_mov_b32 v61, v14
	v_mov_b32_e32 v72, v24
	v_dual_mov_b32 v70, v22 :: v_dual_mov_b32 v71, v23
	v_dual_mov_b32 v73, v13 :: v_dual_mov_b32 v74, v26
	;; [unrolled: 1-line block ×13, first 2 shown]
	v_mov_b32_e32 v6, v5
.LBB197_73:
	s_or_b32 exec_lo, exec_lo, s2
	v_mov_b32_e32 v2, v45
	s_mov_b32 s2, exec_lo
	v_cmpx_lt_f32_e32 v1, v45
	s_cbranch_execz .LBB197_75
; %bb.74:
	v_mov_b32_e32 v140, v7
	v_dual_mov_b32 v128, v21 :: v_dual_mov_b32 v87, v135
	v_mov_b32_e32 v93, v141
	v_mov_b32_e32 v93, v6
	;; [unrolled: 1-line block ×3, first 2 shown]
	v_dual_mov_b32 v92, v140 :: v_dual_mov_b32 v95, v143
	v_dual_mov_b32 v96, v144 :: v_dual_mov_b32 v97, v145
	;; [unrolled: 1-line block ×42, first 2 shown]
	v_mov_b32_e32 v2, v1
.LBB197_75:
	s_or_b32 exec_lo, exec_lo, s2
	v_mov_b32_e32 v1, v46
	s_mov_b32 s2, exec_lo
	s_delay_alu instid0(VALU_DEP_2)
	v_cmpx_lt_f32_e32 v2, v46
	s_cbranch_execz .LBB197_77
; %bb.76:
	v_mov_b32_e32 v117, v8
	v_mov_b32_e32 v45, v46
	v_mov_b32_e32 v46, v2
	v_mov_b32_e32 v105, v22
	v_dual_mov_b32 v51, v111 :: v_dual_mov_b32 v54, v114
	v_dual_mov_b32 v56, v116 :: v_dual_mov_b32 v63, v99
	v_dual_mov_b32 v66, v102 :: v_dual_mov_b32 v53, v113
	v_dual_mov_b32 v58, v118 :: v_dual_mov_b32 v55, v115
	v_dual_mov_b32 v60, v120 :: v_dual_mov_b32 v57, v117
	v_dual_mov_b32 v62, v122 :: v_dual_mov_b32 v59, v119
	v_dual_mov_b32 v60, v10 :: v_dual_mov_b32 v61, v121
	v_mov_b32_e32 v58, v7
	v_dual_mov_b32 v67, v103 :: v_dual_mov_b32 v70, v106
	v_dual_mov_b32 v69, v105 :: v_dual_mov_b32 v72, v108
	v_dual_mov_b32 v71, v107 :: v_dual_mov_b32 v74, v110
	v_dual_mov_b32 v73, v109 :: v_dual_mov_b32 v72, v24
	v_dual_mov_b32 v75, v99 :: v_dual_mov_b32 v76, v100
	v_dual_mov_b32 v87, v111 :: v_dual_mov_b32 v88, v112
	v_dual_mov_b32 v52, v112 :: v_dual_mov_b32 v59, v9
	v_dual_mov_b32 v62, v12 :: v_dual_mov_b32 v61, v14
	v_dual_mov_b32 v64, v100 :: v_dual_mov_b32 v65, v101
	v_mov_b32_e32 v68, v104
	v_dual_mov_b32 v70, v21 :: v_dual_mov_b32 v71, v23
	v_dual_mov_b32 v73, v13 :: v_dual_mov_b32 v74, v26
	;; [unrolled: 10-line block ×3, first 2 shown]
	v_dual_mov_b32 v95, v119 :: v_dual_mov_b32 v96, v120
	v_dual_mov_b32 v97, v121 :: v_dual_mov_b32 v98, v122
.LBB197_77:
	s_or_b32 exec_lo, exec_lo, s2
	v_mov_b32_e32 v2, v47
	s_mov_b32 s2, exec_lo
	v_cmpx_lt_f32_e32 v1, v47
	s_cbranch_execz .LBB197_79
; %bb.78:
	v_dual_mov_b32 v83, v22 :: v_dual_mov_b32 v84, v24
	v_dual_mov_b32 v94, v9 :: v_dual_mov_b32 v95, v8
	;; [unrolled: 1-line block ×4, first 2 shown]
	v_mov_b32_e32 v86, v26
	v_dual_mov_b32 v46, v47 :: v_dual_mov_b32 v47, v1
	v_dual_mov_b32 v98, v12 :: v_dual_mov_b32 v63, v75
	;; [unrolled: 1-line block ×13, first 2 shown]
	v_mov_b32_e32 v62, v98
	v_mov_b32_e32 v2, v1
.LBB197_79:
	s_or_b32 exec_lo, exec_lo, s2
	s_delay_alu instid0(VALU_DEP_1)
	v_cmp_lt_f32_e32 vcc_lo, v2, v48
	v_dual_mov_b32 v1, v39 :: v_dual_mov_b32 v6, v44
	v_dual_mov_b32 v3, v41 :: v_dual_mov_b32 v8, v46
	s_waitcnt vmcnt(0)
	v_dual_cndmask_b32 v37, v72, v71 :: v_dual_mov_b32 v4, v42
	v_dual_cndmask_b32 v71, v71, v72 :: v_dual_cndmask_b32 v38, v60, v59
	v_dual_cndmask_b32 v59, v59, v60 :: v_dual_cndmask_b32 v10, v48, v2
	v_dual_cndmask_b32 v9, v47, v48 :: v_dual_mov_b32 v2, v40
	v_dual_mov_b32 v5, v43 :: v_dual_mov_b32 v12, v50
	v_mov_b32_e32 v7, v45
	v_mov_b32_e32 v11, v49
	s_mov_b32 s2, exec_lo
	v_cmpx_lt_f32_e32 v39, v40
	s_cbranch_execz .LBB197_81
; %bb.80:
	v_dual_mov_b32 v13, v2 :: v_dual_mov_b32 v14, v1
	v_dual_mov_b32 v15, v3 :: v_dual_mov_b32 v16, v4
	;; [unrolled: 1-line block ×6, first 2 shown]
	v_mov_b32_e32 v25, v63
	v_dual_mov_b32 v26, v51 :: v_dual_mov_b32 v1, v13
	v_swap_b32 v63, v64
	v_swap_b32 v51, v52
	v_dual_mov_b32 v2, v14 :: v_dual_mov_b32 v3, v15
	v_dual_mov_b32 v4, v16 :: v_dual_mov_b32 v5, v17
	;; [unrolled: 1-line block ×5, first 2 shown]
	v_mov_b32_e32 v12, v24
	v_mov_b32_e32 v40, v39
.LBB197_81:
	s_or_b32 exec_lo, exec_lo, s2
	v_mov_b32_e32 v60, v38
	v_dual_mov_b32 v72, v37 :: v_dual_mov_b32 v13, v51
	v_dual_mov_b32 v25, v63 :: v_dual_mov_b32 v98, v74
	;; [unrolled: 1-line block ×60, first 2 shown]
	s_mov_b32 s2, exec_lo
	v_dual_mov_b32 v96, v72 :: v_dual_mov_b32 v93, v69
	v_cmpx_lt_f32_e32 v40, v3
	s_cbranch_execz .LBB197_83
; %bb.82:
	v_dual_mov_b32 v134, v62 :: v_dual_mov_b32 v133, v61
	v_dual_mov_b32 v124, v52 :: v_dual_mov_b32 v123, v51
	v_mov_b32_e32 v124, v53
	v_dual_mov_b32 v128, v56 :: v_dual_mov_b32 v127, v55
	v_dual_mov_b32 v132, v60 :: v_dual_mov_b32 v131, v59
	;; [unrolled: 1-line block ×11, first 2 shown]
	v_mov_b32_e32 v141, v69
	v_dual_mov_b32 v136, v65 :: v_dual_mov_b32 v137, v64
	v_dual_mov_b32 v160, v124 :: v_dual_mov_b32 v159, v123
	;; [unrolled: 1-line block ×40, first 2 shown]
	v_mov_b32_e32 v22, v84
	v_dual_mov_b32 v22, v38 :: v_dual_mov_b32 v25, v87
	v_dual_mov_b32 v16, v78 :: v_dual_mov_b32 v19, v81
	;; [unrolled: 1-line block ×16, first 2 shown]
	v_mov_b32_e32 v35, v73
	v_dual_mov_b32 v34, v37 :: v_dual_mov_b32 v39, v40
	v_dual_mov_b32 v36, v74 :: v_dual_mov_b32 v65, v64
	v_mov_b32_e32 v53, v52
.LBB197_83:
	s_or_b32 exec_lo, exec_lo, s2
	v_mov_b32_e32 v40, v4
	s_mov_b32 s2, exec_lo
	v_cmpx_lt_f32_e32 v39, v4
	s_cbranch_execz .LBB197_85
; %bb.84:
	v_mov_b32_e32 v137, v66
	v_mov_b32_e32 v125, v54
	;; [unrolled: 1-line block ×4, first 2 shown]
	v_dual_mov_b32 v170, v134 :: v_dual_mov_b32 v169, v133
	v_dual_mov_b32 v168, v132 :: v_dual_mov_b32 v159, v123
	;; [unrolled: 1-line block ×9, first 2 shown]
	v_mov_b32_e32 v157, v145
	v_dual_mov_b32 v155, v143 :: v_dual_mov_b32 v152, v140
	v_mov_b32_e32 v162, v53
	v_mov_b32_e32 v149, v137
	v_dual_mov_b32 v150, v65 :: v_dual_mov_b32 v111, v159
	v_dual_mov_b32 v112, v160 :: v_dual_mov_b32 v99, v147
	;; [unrolled: 1-line block ×13, first 2 shown]
	v_mov_b32_e32 v115, v55
	v_dual_mov_b32 v87, v99 :: v_dual_mov_b32 v88, v100
	v_dual_mov_b32 v75, v111 :: v_dual_mov_b32 v78, v114
	;; [unrolled: 1-line block ×3, first 2 shown]
	s_delay_alu instid0(VALU_DEP_4)
	v_dual_mov_b32 v80, v116 :: v_dual_mov_b32 v79, v115
	v_dual_mov_b32 v82, v118 :: v_dual_mov_b32 v81, v117
	;; [unrolled: 1-line block ×6, first 2 shown]
	v_mov_b32_e32 v96, v108
	v_dual_mov_b32 v92, v104 :: v_dual_mov_b32 v93, v105
	v_dual_mov_b32 v98, v110 :: v_dual_mov_b32 v95, v107
	;; [unrolled: 1-line block ×21, first 2 shown]
	v_mov_b32_e32 v34, v37
	v_dual_mov_b32 v35, v73 :: v_dual_mov_b32 v36, v74
	v_mov_b32_e32 v40, v39
	v_mov_b32_e32 v66, v65
	;; [unrolled: 1-line block ×3, first 2 shown]
.LBB197_85:
	s_or_b32 exec_lo, exec_lo, s2
	v_mov_b32_e32 v39, v5
	s_mov_b32 s2, exec_lo
	v_cmpx_lt_f32_e32 v40, v5
	s_cbranch_execz .LBB197_87
; %bb.86:
	v_mov_b32_e32 v126, v55
	v_mov_b32_e32 v111, v123
	v_mov_b32_e32 v115, v127
	v_dual_mov_b32 v115, v54 :: v_dual_mov_b32 v116, v128
	v_dual_mov_b32 v138, v67 :: v_dual_mov_b32 v113, v125
	v_mov_b32_e32 v112, v124
	v_dual_mov_b32 v118, v130 :: v_dual_mov_b32 v119, v131
	v_dual_mov_b32 v120, v132 :: v_dual_mov_b32 v121, v133
	;; [unrolled: 1-line block ×24, first 2 shown]
	v_mov_b32_e32 v22, v84
	v_dual_mov_b32 v22, v38 :: v_dual_mov_b32 v25, v87
	v_dual_mov_b32 v16, v78 :: v_dual_mov_b32 v19, v81
	;; [unrolled: 1-line block ×18, first 2 shown]
	v_mov_b32_e32 v35, v73
	v_dual_mov_b32 v34, v37 :: v_dual_mov_b32 v155, v143
	v_dual_mov_b32 v36, v74 :: v_dual_mov_b32 v157, v145
	;; [unrolled: 1-line block ×12, first 2 shown]
	v_mov_b32_e32 v55, v54
.LBB197_87:
	s_or_b32 exec_lo, exec_lo, s2
	v_mov_b32_e32 v40, v6
	s_mov_b32 s2, exec_lo
	v_cmpx_lt_f32_e32 v39, v6
	s_cbranch_execz .LBB197_89
; %bb.88:
	v_mov_b32_e32 v163, v56
	v_dual_mov_b32 v75, v159 :: v_dual_mov_b32 v80, v164
	v_dual_mov_b32 v80, v55 :: v_dual_mov_b32 v81, v165
	;; [unrolled: 1-line block ×7, first 2 shown]
	v_mov_b32_e32 v85, v169
	v_dual_mov_b32 v89, v149 :: v_dual_mov_b32 v92, v152
	v_dual_mov_b32 v91, v151 :: v_dual_mov_b32 v94, v154
	;; [unrolled: 1-line block ×6, first 2 shown]
	v_mov_b32_e32 v88, v148
	v_mov_b32_e32 v6, v39
	s_delay_alu instid0(VALU_DEP_3) | instskip(NEXT) | instid1(VALU_DEP_3)
	v_dual_mov_b32 v13, v75 :: v_dual_mov_b32 v14, v76
	v_dual_mov_b32 v25, v87 :: v_dual_mov_b32 v26, v88
	;; [unrolled: 1-line block ×30, first 2 shown]
	v_mov_b32_e32 v40, v39
	v_mov_b32_e32 v68, v67
	v_mov_b32_e32 v56, v55
.LBB197_89:
	s_or_b32 exec_lo, exec_lo, s2
	v_mov_b32_e32 v39, v7
	s_mov_b32 s2, exec_lo
	v_cmpx_lt_f32_e32 v40, v7
	s_cbranch_execz .LBB197_91
; %bb.90:
	v_mov_b32_e32 v116, v57
	v_dual_mov_b32 v6, v7 :: v_dual_mov_b32 v7, v40
	v_dual_mov_b32 v104, v69 :: v_dual_mov_b32 v13, v111
	v_mov_b32_e32 v22, v120
	v_dual_mov_b32 v22, v38 :: v_dual_mov_b32 v25, v99
	v_mov_b32_e32 v34, v108
	v_dual_mov_b32 v34, v37 :: v_dual_mov_b32 v87, v99
	v_dual_mov_b32 v16, v114 :: v_dual_mov_b32 v19, v117
	;; [unrolled: 1-line block ×12, first 2 shown]
	v_mov_b32_e32 v23, v61
	v_dual_mov_b32 v21, v59 :: v_dual_mov_b32 v24, v62
	v_dual_mov_b32 v27, v101 :: v_dual_mov_b32 v26, v100
	;; [unrolled: 1-line block ×3, first 2 shown]
	v_mov_b32_e32 v35, v73
	v_dual_mov_b32 v33, v71 :: v_dual_mov_b32 v36, v74
	v_dual_mov_b32 v89, v101 :: v_dual_mov_b32 v88, v100
	;; [unrolled: 1-line block ×9, first 2 shown]
	v_mov_b32_e32 v39, v40
	v_mov_b32_e32 v69, v68
	v_dual_mov_b32 v57, v56 :: v_dual_mov_b32 v94, v106
	v_dual_mov_b32 v97, v109 :: v_dual_mov_b32 v82, v118
	;; [unrolled: 1-line block ×3, first 2 shown]
.LBB197_91:
	s_or_b32 exec_lo, exec_lo, s2
	v_mov_b32_e32 v40, v8
	s_mov_b32 s2, exec_lo
	v_cmpx_lt_f32_e32 v39, v8
	s_cbranch_execz .LBB197_93
; %bb.92:
	v_dual_mov_b32 v81, v58 :: v_dual_mov_b32 v82, v57
	v_dual_mov_b32 v83, v59 :: v_dual_mov_b32 v84, v38
	;; [unrolled: 1-line block ×19, first 2 shown]
	v_mov_b32_e32 v40, v39
.LBB197_93:
	s_or_b32 exec_lo, exec_lo, s2
	s_delay_alu instid0(VALU_DEP_1)
	v_cmp_lt_f32_e32 vcc_lo, v40, v9
	v_dual_mov_b32 v38, v2 :: v_dual_mov_b32 v41, v5
	v_dual_mov_b32 v42, v6 :: v_dual_mov_b32 v47, v11
	v_dual_cndmask_b32 v145, v33, v32 :: v_dual_cndmask_b32 v32, v32, v33
	v_dual_cndmask_b32 v146, v21, v20 :: v_dual_mov_b32 v39, v3
	v_dual_cndmask_b32 v20, v20, v21 :: v_dual_cndmask_b32 v45, v9, v40
	v_dual_cndmask_b32 v44, v8, v9 :: v_dual_mov_b32 v37, v1
	v_dual_mov_b32 v40, v4 :: v_dual_mov_b32 v43, v7
	v_mov_b32_e32 v46, v10
	v_mov_b32_e32 v48, v12
	s_mov_b32 s2, exec_lo
	v_cmpx_lt_f32_e32 v1, v2
	s_cbranch_execz .LBB197_95
; %bb.94:
	v_dual_mov_b32 v49, v38 :: v_dual_mov_b32 v50, v37
	v_dual_mov_b32 v51, v39 :: v_dual_mov_b32 v52, v40
	;; [unrolled: 1-line block ×6, first 2 shown]
	v_mov_b32_e32 v3, v25
	v_mov_b32_e32 v4, v13
	v_dual_mov_b32 v37, v49 :: v_dual_mov_b32 v40, v52
	v_swap_b32 v25, v26
	v_swap_b32 v13, v14
	v_dual_mov_b32 v38, v50 :: v_dual_mov_b32 v39, v51
	v_dual_mov_b32 v41, v53 :: v_dual_mov_b32 v42, v54
	;; [unrolled: 1-line block ×5, first 2 shown]
	v_mov_b32_e32 v2, v1
.LBB197_95:
	s_or_b32 exec_lo, exec_lo, s2
	v_mov_b32_e32 v21, v146
	v_dual_mov_b32 v33, v145 :: v_dual_mov_b32 v60, v24
	v_dual_mov_b32 v72, v36 :: v_dual_mov_b32 v61, v25
	;; [unrolled: 1-line block ×43, first 2 shown]
	v_mov_b32_e32 v97, v13
	v_mov_b32_e32 v1, v39
	s_mov_b32 s2, exec_lo
	v_dual_mov_b32 v95, v35 :: v_dual_mov_b32 v94, v34
	v_dual_mov_b32 v93, v33 :: v_dual_mov_b32 v92, v32
	;; [unrolled: 1-line block ×5, first 2 shown]
	v_cmpx_lt_f32_e32 v2, v39
	s_cbranch_execz .LBB197_97
; %bb.96:
	v_dual_mov_b32 v108, v24 :: v_dual_mov_b32 v107, v23
	v_dual_mov_b32 v98, v14 :: v_dual_mov_b32 v97, v13
	v_mov_b32_e32 v98, v15
	v_dual_mov_b32 v104, v20 :: v_dual_mov_b32 v103, v19
	v_dual_mov_b32 v100, v16 :: v_dual_mov_b32 v99, v15
	;; [unrolled: 1-line block ×26, first 2 shown]
	v_mov_b32_e32 v84, v144
	v_dual_mov_b32 v74, v134 :: v_dual_mov_b32 v77, v137
	v_mov_b32_e32 v75, v135
	v_dual_mov_b32 v38, v39 :: v_dual_mov_b32 v85, v121
	v_dual_mov_b32 v76, v136 :: v_dual_mov_b32 v79, v139
	;; [unrolled: 1-line block ×10, first 2 shown]
	v_mov_b32_e32 v39, v2
	v_dual_mov_b32 v49, v73 :: v_dual_mov_b32 v50, v74
	v_dual_mov_b32 v59, v83 :: v_dual_mov_b32 v60, v84
	;; [unrolled: 1-line block ×18, first 2 shown]
	v_mov_b32_e32 v70, v34
	v_dual_mov_b32 v72, v36 :: v_dual_mov_b32 v1, v2
	v_mov_b32_e32 v27, v26
	v_mov_b32_e32 v15, v14
.LBB197_97:
	s_or_b32 exec_lo, exec_lo, s2
	v_mov_b32_e32 v2, v40
	s_mov_b32 s2, exec_lo
	v_cmpx_lt_f32_e32 v1, v40
	s_cbranch_execz .LBB197_99
; %bb.98:
	v_mov_b32_e32 v99, v16
	v_mov_b32_e32 v144, v108
	;; [unrolled: 1-line block ×3, first 2 shown]
	v_dual_mov_b32 v136, v15 :: v_dual_mov_b32 v111, v28
	v_dual_mov_b32 v142, v106 :: v_dual_mov_b32 v133, v97
	;; [unrolled: 1-line block ×4, first 2 shown]
	v_mov_b32_e32 v135, v99
	v_dual_mov_b32 v125, v113 :: v_dual_mov_b32 v124, v112
	v_mov_b32_e32 v143, v107
	v_dual_mov_b32 v141, v105 :: v_dual_mov_b32 v140, v104
	v_dual_mov_b32 v139, v103 :: v_dual_mov_b32 v138, v102
	v_dual_mov_b32 v131, v119 :: v_dual_mov_b32 v130, v118
	v_dual_mov_b32 v129, v117 :: v_dual_mov_b32 v128, v116
	v_dual_mov_b32 v127, v115 :: v_dual_mov_b32 v126, v114
	v_dual_mov_b32 v123, v111 :: v_dual_mov_b32 v122, v110
	v_dual_mov_b32 v124, v27 :: v_dual_mov_b32 v73, v133
	v_dual_mov_b32 v74, v134 :: v_dual_mov_b32 v85, v121
	v_dual_mov_b32 v75, v135 :: v_dual_mov_b32 v76, v136
	v_dual_mov_b32 v77, v137 :: v_dual_mov_b32 v78, v138
	v_dual_mov_b32 v89, v125 :: v_dual_mov_b32 v92, v128
	v_dual_mov_b32 v79, v139 :: v_dual_mov_b32 v80, v140
	v_dual_mov_b32 v81, v141 :: v_dual_mov_b32 v82, v142
	v_dual_mov_b32 v83, v143 :: v_dual_mov_b32 v84, v144
	v_dual_mov_b32 v77, v17 :: v_dual_mov_b32 v86, v122
	v_dual_mov_b32 v87, v123 :: v_dual_mov_b32 v90, v126
	v_dual_mov_b32 v91, v127 :: v_dual_mov_b32 v94, v130
	v_dual_mov_b32 v93, v129 :: v_dual_mov_b32 v96, v132
	v_mov_b32_e32 v95, v131
	v_dual_mov_b32 v89, v29 :: v_dual_mov_b32 v88, v124
	v_dual_mov_b32 v49, v73 :: v_dual_mov_b32 v54, v78
	v_mov_b32_e32 v50, v74
	v_dual_mov_b32 v52, v76 :: v_dual_mov_b32 v61, v85
	s_delay_alu instid0(VALU_DEP_4)
	v_dual_mov_b32 v64, v88 :: v_dual_mov_b32 v51, v75
	v_dual_mov_b32 v56, v80 :: v_dual_mov_b32 v53, v77
	;; [unrolled: 1-line block ×12, first 2 shown]
	v_mov_b32_e32 v58, v22
	v_dual_mov_b32 v57, v146 :: v_dual_mov_b32 v60, v24
	v_dual_mov_b32 v59, v23 :: v_dual_mov_b32 v62, v86
	;; [unrolled: 1-line block ×5, first 2 shown]
	v_mov_b32_e32 v2, v1
	v_mov_b32_e32 v28, v27
	v_mov_b32_e32 v16, v15
.LBB197_99:
	s_or_b32 exec_lo, exec_lo, s2
	v_mov_b32_e32 v1, v41
	s_mov_b32 s2, exec_lo
	v_cmpx_lt_f32_e32 v2, v41
	s_cbranch_execz .LBB197_101
; %bb.100:
	v_mov_b32_e32 v100, v17
	v_mov_b32_e32 v73, v97
	;; [unrolled: 1-line block ×3, first 2 shown]
	v_dual_mov_b32 v77, v16 :: v_dual_mov_b32 v78, v102
	v_dual_mov_b32 v112, v29 :: v_dual_mov_b32 v75, v99
	;; [unrolled: 1-line block ×3, first 2 shown]
	v_mov_b32_e32 v84, v108
	v_dual_mov_b32 v74, v98 :: v_dual_mov_b32 v85, v109
	v_mov_b32_e32 v86, v110
	v_dual_mov_b32 v76, v100 :: v_dual_mov_b32 v79, v103
	v_dual_mov_b32 v80, v104 :: v_dual_mov_b32 v81, v105
	;; [unrolled: 1-line block ×8, first 2 shown]
	v_mov_b32_e32 v49, v73
	v_dual_mov_b32 v89, v28 :: v_dual_mov_b32 v50, v74
	v_dual_mov_b32 v59, v83 :: v_dual_mov_b32 v60, v84
	;; [unrolled: 1-line block ×32, first 2 shown]
	v_mov_b32_e32 v17, v16
.LBB197_101:
	s_or_b32 exec_lo, exec_lo, s2
	v_mov_b32_e32 v2, v42
	s_mov_b32 s2, exec_lo
	v_cmpx_lt_f32_e32 v1, v42
	s_cbranch_execz .LBB197_103
; %bb.102:
	v_mov_b32_e32 v137, v18
	v_mov_b32_e32 v125, v30
	v_dual_mov_b32 v41, v42 :: v_dual_mov_b32 v42, v1
	v_dual_mov_b32 v49, v133 :: v_dual_mov_b32 v50, v134
	;; [unrolled: 1-line block ×13, first 2 shown]
	v_mov_b32_e32 v66, v29
	v_dual_mov_b32 v85, v121 :: v_dual_mov_b32 v86, v122
	v_dual_mov_b32 v73, v133 :: v_dual_mov_b32 v74, v134
	;; [unrolled: 1-line block ×4, first 2 shown]
	v_mov_b32_e32 v64, v124
	v_dual_mov_b32 v58, v22 :: v_dual_mov_b32 v59, v23
	v_dual_mov_b32 v67, v31 :: v_dual_mov_b32 v68, v32
	;; [unrolled: 1-line block ×8, first 2 shown]
	v_mov_b32_e32 v2, v1
	v_mov_b32_e32 v30, v29
	v_dual_mov_b32 v18, v17 :: v_dual_mov_b32 v91, v127
	v_dual_mov_b32 v92, v128 :: v_dual_mov_b32 v93, v129
	;; [unrolled: 1-line block ×6, first 2 shown]
	v_mov_b32_e32 v84, v144
.LBB197_103:
	s_or_b32 exec_lo, exec_lo, s2
	v_mov_b32_e32 v1, v43
	s_mov_b32 s2, exec_lo
	v_cmpx_lt_f32_e32 v2, v43
	s_cbranch_execz .LBB197_105
; %bb.104:
	v_dual_mov_b32 v94, v34 :: v_dual_mov_b32 v95, v35
	v_dual_mov_b32 v78, v19 :: v_dual_mov_b32 v79, v18
	;; [unrolled: 1-line block ×6, first 2 shown]
	v_mov_b32_e32 v96, v36
	v_dual_mov_b32 v42, v43 :: v_dual_mov_b32 v43, v2
	v_dual_mov_b32 v84, v24 :: v_dual_mov_b32 v61, v85
	;; [unrolled: 1-line block ×14, first 2 shown]
.LBB197_105:
	s_or_b32 exec_lo, exec_lo, s2
	s_delay_alu instid0(VALU_DEP_1)
	v_cmp_lt_f32_e32 vcc_lo, v1, v44
	v_dual_mov_b32 v3, v39 :: v_dual_mov_b32 v10, v46
	v_dual_mov_b32 v5, v41 :: v_dual_mov_b32 v12, v48
	v_dual_cndmask_b32 v121, v68, v67 :: v_dual_mov_b32 v2, v38
	v_dual_cndmask_b32 v67, v67, v68 :: v_dual_cndmask_b32 v122, v56, v55
	v_dual_cndmask_b32 v55, v55, v56 :: v_dual_cndmask_b32 v8, v44, v1
	v_dual_cndmask_b32 v7, v43, v44 :: v_dual_mov_b32 v4, v40
	v_dual_mov_b32 v1, v37 :: v_dual_mov_b32 v6, v42
	v_mov_b32_e32 v9, v45
	v_mov_b32_e32 v11, v47
	s_mov_b32 s2, exec_lo
	v_cmpx_lt_f32_e32 v37, v38
	s_cbranch_execz .LBB197_107
; %bb.106:
	v_dual_mov_b32 v13, v2 :: v_dual_mov_b32 v14, v1
	v_dual_mov_b32 v15, v3 :: v_dual_mov_b32 v16, v4
	;; [unrolled: 1-line block ×6, first 2 shown]
	v_mov_b32_e32 v25, v61
	v_mov_b32_e32 v26, v49
	v_dual_mov_b32 v1, v13 :: v_dual_mov_b32 v4, v16
	v_swap_b32 v61, v62
	v_swap_b32 v49, v50
	v_dual_mov_b32 v2, v14 :: v_dual_mov_b32 v3, v15
	v_dual_mov_b32 v5, v17 :: v_dual_mov_b32 v6, v18
	;; [unrolled: 1-line block ×5, first 2 shown]
	v_mov_b32_e32 v38, v37
.LBB197_107:
	s_or_b32 exec_lo, exec_lo, s2
	v_mov_b32_e32 v56, v122
	v_mov_b32_e32 v68, v121
	;; [unrolled: 1-line block ×3, first 2 shown]
	v_dual_mov_b32 v27, v51 :: v_dual_mov_b32 v84, v72
	v_mov_b32_e32 v81, v69
	v_dual_mov_b32 v83, v71 :: v_dual_mov_b32 v96, v60
	v_dual_mov_b32 v91, v55 :: v_dual_mov_b32 v120, v72
	;; [unrolled: 1-line block ×31, first 2 shown]
	v_mov_b32_e32 v24, v60
	s_mov_b32 s2, exec_lo
	v_dual_mov_b32 v118, v70 :: v_dual_mov_b32 v115, v67
	v_dual_mov_b32 v116, v68 :: v_dual_mov_b32 v113, v65
	;; [unrolled: 1-line block ×3, first 2 shown]
	v_cmpx_lt_f32_e32 v38, v3
	s_cbranch_execz .LBB197_109
; %bb.108:
	v_dual_mov_b32 v13, v49 :: v_dual_mov_b32 v14, v50
	v_dual_mov_b32 v23, v59 :: v_dual_mov_b32 v24, v60
	;; [unrolled: 1-line block ×30, first 2 shown]
	v_mov_b32_e32 v112, v64
	v_dual_mov_b32 v34, v94 :: v_dual_mov_b32 v35, v95
	v_dual_mov_b32 v35, v59 :: v_dual_mov_b32 v34, v58
	;; [unrolled: 1-line block ×15, first 2 shown]
	v_mov_b32_e32 v81, v69
	v_dual_mov_b32 v80, v121 :: v_dual_mov_b32 v83, v71
	v_mov_b32_e32 v82, v70
	v_dual_mov_b32 v84, v72 :: v_dual_mov_b32 v37, v38
	v_mov_b32_e32 v63, v62
	v_mov_b32_e32 v51, v50
.LBB197_109:
	s_or_b32 exec_lo, exec_lo, s2
	v_mov_b32_e32 v38, v4
	s_mov_b32 s2, exec_lo
	v_cmpx_lt_f32_e32 v37, v4
	s_cbranch_execz .LBB197_111
; %bb.110:
	v_mov_b32_e32 v15, v52
	v_mov_b32_e32 v96, v24
	v_mov_b32_e32 v88, v16
	v_dual_mov_b32 v88, v51 :: v_dual_mov_b32 v99, v64
	v_dual_mov_b32 v94, v22 :: v_dual_mov_b32 v85, v13
	;; [unrolled: 1-line block ×3, first 2 shown]
	v_mov_b32_e32 v95, v23
	v_dual_mov_b32 v93, v21 :: v_dual_mov_b32 v92, v20
	v_dual_mov_b32 v91, v19 :: v_dual_mov_b32 v90, v18
	v_dual_mov_b32 v89, v17 :: v_dual_mov_b32 v86, v14
	v_dual_mov_b32 v119, v107 :: v_dual_mov_b32 v118, v106
	v_dual_mov_b32 v117, v105 :: v_dual_mov_b32 v116, v104
	v_dual_mov_b32 v115, v103 :: v_dual_mov_b32 v114, v102
	v_dual_mov_b32 v113, v101 :: v_dual_mov_b32 v112, v100
	v_mov_b32_e32 v87, v15
	v_dual_mov_b32 v111, v99 :: v_dual_mov_b32 v110, v98
	v_dual_mov_b32 v112, v63 :: v_dual_mov_b32 v25, v85
	;; [unrolled: 1-line block ×3, first 2 shown]
	s_delay_alu instid0(VALU_DEP_3)
	v_dual_mov_b32 v74, v110 :: v_dual_mov_b32 v29, v89
	v_dual_mov_b32 v30, v90 :: v_dual_mov_b32 v31, v91
	;; [unrolled: 1-line block ×8, first 2 shown]
	v_mov_b32_e32 v84, v120
	v_dual_mov_b32 v3, v4 :: v_dual_mov_b32 v4, v37
	v_dual_mov_b32 v27, v87 :: v_dual_mov_b32 v28, v88
	;; [unrolled: 1-line block ×11, first 2 shown]
	v_mov_b32_e32 v38, v37
	v_mov_b32_e32 v64, v63
	;; [unrolled: 1-line block ×3, first 2 shown]
.LBB197_111:
	s_or_b32 exec_lo, exec_lo, s2
	v_mov_b32_e32 v16, v5
	s_mov_b32 s2, exec_lo
	v_cmpx_lt_f32_e32 v38, v5
	s_cbranch_execz .LBB197_113
; %bb.112:
	v_mov_b32_e32 v100, v65
	v_mov_b32_e32 v16, v53
	v_dual_mov_b32 v4, v5 :: v_dual_mov_b32 v5, v38
	v_dual_mov_b32 v36, v24 :: v_dual_mov_b32 v33, v21
	;; [unrolled: 1-line block ×3, first 2 shown]
	v_mov_b32_e32 v31, v19
	v_dual_mov_b32 v35, v59 :: v_dual_mov_b32 v34, v58
	v_dual_mov_b32 v73, v97 :: v_dual_mov_b32 v32, v20
	;; [unrolled: 1-line block ×8, first 2 shown]
	v_mov_b32_e32 v77, v64
	v_dual_mov_b32 v84, v108 :: v_dual_mov_b32 v79, v67
	v_dual_mov_b32 v120, v108 :: v_dual_mov_b32 v115, v103
	;; [unrolled: 1-line block ×19, first 2 shown]
	v_mov_b32_e32 v88, v16
	v_dual_mov_b32 v86, v14 :: v_dual_mov_b32 v65, v64
	v_dual_mov_b32 v16, v38 :: v_dual_mov_b32 v53, v52
	;; [unrolled: 1-line block ×3, first 2 shown]
.LBB197_113:
	s_or_b32 exec_lo, exec_lo, s2
	v_mov_b32_e32 v13, v6
	s_mov_b32 s2, exec_lo
	v_cmpx_lt_f32_e32 v16, v6
	s_cbranch_execz .LBB197_115
; %bb.114:
	v_dual_mov_b32 v89, v54 :: v_dual_mov_b32 v90, v53
	v_dual_mov_b32 v91, v55 :: v_dual_mov_b32 v92, v122
	;; [unrolled: 1-line block ×21, first 2 shown]
	v_mov_b32_e32 v13, v16
.LBB197_115:
	s_or_b32 exec_lo, exec_lo, s2
	s_delay_alu instid0(VALU_DEP_1)
	v_cmp_lt_f32_e32 vcc_lo, v13, v7
	v_dual_mov_b32 v14, v2 :: v_dual_mov_b32 v17, v5
	v_dual_mov_b32 v16, v4 :: v_dual_mov_b32 v21, v9
	v_dual_cndmask_b32 v37, v79, v78 :: v_dual_cndmask_b32 v78, v78, v79
	v_cndmask_b32_e32 v38, v31, v30, vcc_lo
	v_dual_cndmask_b32 v30, v30, v31 :: v_dual_cndmask_b32 v19, v7, v13
	v_dual_cndmask_b32 v18, v6, v7 :: v_dual_mov_b32 v15, v3
	v_dual_mov_b32 v13, v1 :: v_dual_mov_b32 v20, v8
	v_dual_mov_b32 v23, v11 :: v_dual_mov_b32 v22, v10
	v_mov_b32_e32 v24, v12
	s_mov_b32 s2, exec_lo
	v_cmpx_lt_f32_e32 v1, v2
	s_cbranch_execz .LBB197_117
; %bb.116:
	v_dual_mov_b32 v2, v14 :: v_dual_mov_b32 v3, v13
	v_dual_mov_b32 v12, v23 :: v_dual_mov_b32 v13, v24
	;; [unrolled: 1-line block ×6, first 2 shown]
	v_mov_b32_e32 v24, v13
	v_mov_b32_e32 v31, v73
	v_dual_mov_b32 v39, v25 :: v_dual_mov_b32 v18, v7
	v_swap_b32 v73, v74
	v_swap_b32 v25, v26
	v_dual_mov_b32 v23, v12 :: v_dual_mov_b32 v20, v9
	v_dual_mov_b32 v22, v11 :: v_dual_mov_b32 v21, v10
	;; [unrolled: 1-line block ×4, first 2 shown]
	v_mov_b32_e32 v15, v4
	v_dual_mov_b32 v13, v2 :: v_dual_mov_b32 v2, v1
.LBB197_117:
	s_or_b32 exec_lo, exec_lo, s2
	v_mov_b32_e32 v31, v38
	v_dual_mov_b32 v79, v37 :: v_dual_mov_b32 v50, v36
	v_dual_mov_b32 v51, v73 :: v_dual_mov_b32 v52, v74
	;; [unrolled: 1-line block ×24, first 2 shown]
	v_mov_b32_e32 v85, v25
	v_mov_b32_e32 v1, v15
	s_mov_b32 s2, exec_lo
	v_cmpx_lt_f32_e32 v2, v15
	s_cbranch_execz .LBB197_119
; %bb.118:
	v_dual_mov_b32 v96, v36 :: v_dual_mov_b32 v95, v35
	v_dual_mov_b32 v86, v26 :: v_dual_mov_b32 v85, v25
	;; [unrolled: 1-line block ×8, first 2 shown]
	v_mov_b32_e32 v105, v81
	v_dual_mov_b32 v43, v89 :: v_dual_mov_b32 v44, v90
	v_dual_mov_b32 v100, v76 :: v_dual_mov_b32 v97, v73
	;; [unrolled: 1-line block ×6, first 2 shown]
	v_mov_b32_e32 v98, v74
	v_dual_mov_b32 v98, v75 :: v_dual_mov_b32 v99, v74
	v_dual_mov_b32 v49, v95 :: v_dual_mov_b32 v50, v96
	;; [unrolled: 1-line block ×12, first 2 shown]
	v_mov_b32_e32 v40, v86
	v_dual_mov_b32 v42, v28 :: v_dual_mov_b32 v43, v29
	v_dual_mov_b32 v45, v38 :: v_dual_mov_b32 v46, v32
	;; [unrolled: 1-line block ×9, first 2 shown]
	v_mov_b32_e32 v75, v74
	v_mov_b32_e32 v27, v26
.LBB197_119:
	s_or_b32 exec_lo, exec_lo, s2
	v_mov_b32_e32 v2, v16
	s_mov_b32 s2, exec_lo
	v_cmpx_lt_f32_e32 v1, v16
	s_cbranch_execz .LBB197_121
; %bb.120:
	v_mov_b32_e32 v87, v28
	v_mov_b32_e32 v99, v76
	v_dual_mov_b32 v15, v16 :: v_dual_mov_b32 v16, v1
	v_dual_mov_b32 v39, v85 :: v_dual_mov_b32 v42, v88
	;; [unrolled: 1-line block ×13, first 2 shown]
	v_mov_b32_e32 v56, v78
	v_mov_b32_e32 v40, v86
	v_dual_mov_b32 v42, v27 :: v_dual_mov_b32 v43, v29
	v_dual_mov_b32 v45, v38 :: v_dual_mov_b32 v46, v32
	;; [unrolled: 1-line block ×8, first 2 shown]
	v_mov_b32_e32 v2, v1
	v_mov_b32_e32 v76, v75
	;; [unrolled: 1-line block ×3, first 2 shown]
.LBB197_121:
	s_or_b32 exec_lo, exec_lo, s2
	v_mov_b32_e32 v1, v17
	s_mov_b32 s2, exec_lo
	v_cmpx_lt_f32_e32 v2, v17
	s_cbranch_execz .LBB197_123
; %bb.122:
	v_dual_mov_b32 v106, v82 :: v_dual_mov_b32 v107, v83
	v_dual_mov_b32 v88, v29 :: v_dual_mov_b32 v89, v28
	;; [unrolled: 1-line block ×8, first 2 shown]
	v_mov_b32_e32 v108, v84
	v_dual_mov_b32 v16, v17 :: v_dual_mov_b32 v17, v2
	v_dual_mov_b32 v96, v36 :: v_dual_mov_b32 v51, v97
	;; [unrolled: 1-line block ×14, first 2 shown]
.LBB197_123:
	s_or_b32 exec_lo, exec_lo, s2
	s_delay_alu instid0(VALU_DEP_1)
	v_cmp_lt_f32_e32 vcc_lo, v1, v18
	v_dual_mov_b32 v27, v13 :: v_dual_mov_b32 v34, v20
	v_dual_mov_b32 v29, v15 :: v_dual_mov_b32 v36, v22
	v_dual_cndmask_b32 v63, v56, v55 :: v_dual_cndmask_b32 v32, v18, v1
	v_dual_cndmask_b32 v55, v55, v56 :: v_dual_cndmask_b32 v64, v44, v43
	v_dual_cndmask_b32 v43, v43, v44 :: v_dual_mov_b32 v28, v14
	v_dual_cndmask_b32 v31, v17, v18 :: v_dual_mov_b32 v30, v16
	v_dual_mov_b32 v33, v19 :: v_dual_mov_b32 v38, v24
	v_mov_b32_e32 v35, v21
	v_mov_b32_e32 v37, v23
	s_mov_b32 s2, exec_lo
	v_cmpx_lt_f32_e32 v13, v14
	s_cbranch_execz .LBB197_125
; %bb.124:
	s_delay_alu instid0(VALU_DEP_2)
	v_dual_mov_b32 v11, v37 :: v_dual_mov_b32 v12, v38
	v_dual_mov_b32 v1, v28 :: v_dual_mov_b32 v2, v27
	;; [unrolled: 1-line block ×7, first 2 shown]
	s_delay_alu instid0(VALU_DEP_2)
	v_dual_mov_b32 v16, v39 :: v_dual_mov_b32 v35, v9
	v_swap_b32 v51, v52
	v_swap_b32 v39, v40
	v_dual_mov_b32 v37, v11 :: v_dual_mov_b32 v36, v10
	v_dual_mov_b32 v34, v8 :: v_dual_mov_b32 v33, v7
	;; [unrolled: 1-line block ×5, first 2 shown]
	v_mov_b32_e32 v14, v13
.LBB197_125:
	s_or_b32 exec_lo, exec_lo, s2
	v_mov_b32_e32 v44, v64
	v_mov_b32_e32 v56, v63
	;; [unrolled: 1-line block ×4, first 2 shown]
	v_dual_mov_b32 v15, v51 :: v_dual_mov_b32 v2, v40
	v_dual_mov_b32 v16, v52 :: v_dual_mov_b32 v17, v53
	;; [unrolled: 1-line block ×11, first 2 shown]
	v_mov_b32_e32 v12, v50
	s_mov_b32 s2, exec_lo
	v_cmpx_lt_f32_e32 v14, v29
	s_cbranch_execz .LBB197_127
; %bb.126:
	v_dual_mov_b32 v1, v39 :: v_dual_mov_b32 v2, v40
	v_dual_mov_b32 v11, v49 :: v_dual_mov_b32 v12, v50
	;; [unrolled: 1-line block ×25, first 2 shown]
	v_mov_b32_e32 v41, v40
.LBB197_127:
	s_or_b32 exec_lo, exec_lo, s2
	v_mov_b32_e32 v39, v30
	s_mov_b32 s2, exec_lo
	v_cmpx_lt_f32_e32 v13, v30
	s_cbranch_execz .LBB197_129
; %bb.128:
	v_dual_mov_b32 v29, v30 :: v_dual_mov_b32 v30, v13
	v_dual_mov_b32 v3, v42 :: v_dual_mov_b32 v4, v41
	;; [unrolled: 1-line block ×11, first 2 shown]
	v_mov_b32_e32 v39, v13
.LBB197_129:
	s_or_b32 exec_lo, exec_lo, s2
	s_delay_alu instid0(VALU_DEP_1)
	v_cmp_lt_f32_e32 vcc_lo, v39, v31
	v_dual_mov_b32 v40, v28 :: v_dual_mov_b32 v45, v33
	v_dual_mov_b32 v44, v32 :: v_dual_mov_b32 v47, v35
	v_dual_cndmask_b32 v13, v19, v18 :: v_dual_cndmask_b32 v18, v18, v19
	v_dual_cndmask_b32 v14, v5, v4 :: v_dual_cndmask_b32 v43, v31, v39
	v_dual_cndmask_b32 v4, v4, v5 :: v_dual_mov_b32 v39, v27
	v_dual_cndmask_b32 v42, v30, v31 :: v_dual_mov_b32 v41, v29
	v_dual_mov_b32 v46, v34 :: v_dual_mov_b32 v49, v37
	v_mov_b32_e32 v48, v36
	v_mov_b32_e32 v50, v38
	s_mov_b32 s2, exec_lo
	v_cmpx_lt_f32_e32 v27, v28
	s_cbranch_execz .LBB197_131
; %bb.130:
	v_dual_mov_b32 v28, v40 :: v_dual_mov_b32 v29, v39
	v_dual_mov_b32 v38, v49 :: v_dual_mov_b32 v39, v50
	;; [unrolled: 1-line block ×7, first 2 shown]
	v_mov_b32_e32 v5, v15
	v_swap_b32 v15, v16
	s_delay_alu instid0(VALU_DEP_4)
	v_mov_b32_e32 v48, v37
	v_swap_b32 v1, v2
	v_dual_mov_b32 v49, v38 :: v_dual_mov_b32 v46, v35
	v_dual_mov_b32 v47, v36 :: v_dual_mov_b32 v44, v33
	;; [unrolled: 1-line block ×4, first 2 shown]
	v_mov_b32_e32 v41, v30
	v_dual_mov_b32 v39, v28 :: v_dual_mov_b32 v28, v27
.LBB197_131:
	s_or_b32 exec_lo, exec_lo, s2
	v_mov_b32_e32 v5, v14
	v_mov_b32_e32 v19, v13
	;; [unrolled: 1-line block ×3, first 2 shown]
	s_mov_b32 s2, exec_lo
	v_cmpx_lt_f32_e32 v28, v41
	s_cbranch_execz .LBB197_133
; %bb.132:
	v_dual_mov_b32 v74, v26 :: v_dual_mov_b32 v73, v25
	v_dual_mov_b32 v62, v12 :: v_dual_mov_b32 v61, v11
	;; [unrolled: 1-line block ×22, first 2 shown]
	v_mov_b32_e32 v74, v26
	v_dual_mov_b32 v40, v41 :: v_dual_mov_b32 v41, v28
	v_dual_mov_b32 v62, v12 :: v_dual_mov_b32 v15, v63
	;; [unrolled: 1-line block ×14, first 2 shown]
.LBB197_133:
	s_or_b32 exec_lo, exec_lo, s2
	s_delay_alu instid0(VALU_DEP_1)
	v_cmp_lt_f32_e32 vcc_lo, v27, v42
	v_dual_mov_b32 v29, v24 :: v_dual_mov_b32 v32, v5
	v_dual_mov_b32 v31, v26 :: v_dual_mov_b32 v34, v7
	v_dual_cndmask_b32 v13, v18, v17 :: v_dual_cndmask_b32 v14, v4, v3
	v_cndmask_b32_e32 v51, v17, v18, vcc_lo
	v_dual_cndmask_b32 v59, v3, v4 :: v_dual_cndmask_b32 v60, v41, v42
	v_dual_cndmask_b32 v3, v42, v27 :: v_dual_mov_b32 v18, v21
	v_cmp_lt_f32_e32 vcc_lo, v39, v40
	v_dual_mov_b32 v4, v19 :: v_dual_mov_b32 v17, v20
	v_dual_mov_b32 v28, v23 :: v_dual_mov_b32 v27, v22
	v_dual_mov_b32 v30, v25 :: v_dual_mov_b32 v33, v6
	v_dual_mov_b32 v36, v9 :: v_dual_mov_b32 v35, v8
	v_dual_mov_b32 v38, v11 :: v_dual_mov_b32 v37, v10
	v_dual_mov_b32 v42, v43 :: v_dual_mov_b32 v41, v12
	v_dual_mov_b32 v54, v46 :: v_dual_mov_b32 v61, v40
	v_mov_b32_e32 v58, v50
	v_dual_mov_b32 v52, v44 :: v_dual_mov_b32 v53, v45
	v_dual_mov_b32 v55, v47 :: v_dual_mov_b32 v56, v48
	v_mov_b32_e32 v57, v49
	s_and_saveexec_b32 s2, vcc_lo
	s_cbranch_execz .LBB197_135
; %bb.134:
	v_dual_mov_b32 v42, v40 :: v_dual_mov_b32 v27, v22
	v_dual_mov_b32 v4, v15 :: v_dual_mov_b32 v17, v20
	;; [unrolled: 1-line block ×3, first 2 shown]
	v_swap_b32 v15, v16
	v_swap_b32 v1, v2
	v_dual_mov_b32 v40, v39 :: v_dual_mov_b32 v29, v24
	v_dual_mov_b32 v4, v19 :: v_dual_mov_b32 v31, v26
	;; [unrolled: 1-line block ×10, first 2 shown]
	v_mov_b32_e32 v52, v44
	v_mov_b32_e32 v54, v46
	;; [unrolled: 1-line block ×4, first 2 shown]
.LBB197_135:
	s_or_b32 exec_lo, exec_lo, s2
	s_clause 0x1
	s_load_b32 s8, s[0:1], 0x28
	s_load_b128 s[4:7], s[0:1], 0x10
	v_mov_b32_e32 v6, 0
	s_waitcnt lgkmcnt(0)
	s_cmp_lt_i32 s8, 1
	s_cbranch_scc1 .LBB197_141
; %bb.136:
	v_cmp_lt_f32_e32 vcc_lo, v40, v60
	v_mov_b32_e32 v7, 0
	s_mov_b32 s9, 0x76543210
	s_mov_b32 s10, s8
	v_mov_b32_e32 v6, 0
	v_cndmask_b32_e32 v8, v60, v40, vcc_lo
	v_cndmask_b32_e32 v19, v61, v60, vcc_lo
	v_dual_cndmask_b32 v5, v59, v2 :: v_dual_cndmask_b32 v2, v2, v59
	v_dual_cndmask_b32 v9, v51, v16 :: v_dual_cndmask_b32 v20, v16, v51
	s_delay_alu instid0(VALU_DEP_3) | instskip(NEXT) | instid1(VALU_DEP_1)
	v_cmp_lt_f32_e64 s2, v39, v19
	v_cndmask_b32_e64 v10, v2, v1, s2
	v_cndmask_b32_e64 v11, v1, v2, s2
	v_cndmask_b32_e64 v12, v19, v39, s2
	v_cndmask_b32_e64 v16, v39, v19, s2
	v_cndmask_b32_e64 v19, v20, v15, s2
	v_cndmask_b32_e64 v15, v15, v20, s2
	v_dual_mov_b32 v20, v0 :: v_dual_mov_b32 v1, 0
	v_mov_b32_e32 v2, 0
.LBB197_137:                            ; =>This Inner Loop Header: Depth=1
	v_cmp_eq_u32_e32 vcc_lo, 1, v7
	v_cmp_eq_u32_e64 s2, 2, v7
	v_dual_cndmask_b32 v21, v16, v12 :: v_dual_cndmask_b32 v22, v11, v10
	s_delay_alu instid0(VALU_DEP_1) | instskip(NEXT) | instid1(VALU_DEP_2)
	v_cndmask_b32_e64 v21, v21, v8, s2
	v_cndmask_b32_e64 v22, v22, v5, s2
	v_cndmask_b32_e32 v23, v15, v19, vcc_lo
	v_cmp_eq_u32_e32 vcc_lo, 3, v7
	s_delay_alu instid0(VALU_DEP_3) | instskip(NEXT) | instid1(VALU_DEP_3)
	v_cndmask_b32_e32 v22, v22, v14, vcc_lo
	v_cndmask_b32_e64 v23, v23, v9, s2
	v_cmp_eq_u32_e64 s2, 4, v7
	s_delay_alu instid0(VALU_DEP_2) | instskip(NEXT) | instid1(VALU_DEP_2)
	v_cndmask_b32_e32 v23, v23, v13, vcc_lo
	v_cndmask_b32_e64 v22, v22, v32, s2
	v_cndmask_b32_e32 v21, v21, v3, vcc_lo
	v_cmp_eq_u32_e32 vcc_lo, 5, v7
	s_delay_alu instid0(VALU_DEP_4) | instskip(NEXT) | instid1(VALU_DEP_4)
	v_cndmask_b32_e64 v23, v23, v4, s2
	v_cndmask_b32_e32 v22, v22, v33, vcc_lo
	s_delay_alu instid0(VALU_DEP_4) | instskip(SKIP_1) | instid1(VALU_DEP_4)
	v_cndmask_b32_e64 v21, v21, v42, s2
	v_cmp_eq_u32_e64 s2, 6, v7
	v_cndmask_b32_e32 v23, v23, v17, vcc_lo
	s_delay_alu instid0(VALU_DEP_3) | instskip(SKIP_1) | instid1(VALU_DEP_4)
	v_cndmask_b32_e32 v21, v21, v52, vcc_lo
	v_cmp_eq_u32_e32 vcc_lo, 7, v7
	v_cndmask_b32_e64 v22, v22, v34, s2
	s_delay_alu instid0(VALU_DEP_4) | instskip(NEXT) | instid1(VALU_DEP_4)
	v_cndmask_b32_e64 v23, v23, v18, s2
	v_cndmask_b32_e64 v21, v21, v53, s2
	v_cmp_eq_u32_e64 s2, 8, v7
	s_delay_alu instid0(VALU_DEP_4) | instskip(NEXT) | instid1(VALU_DEP_4)
	v_cndmask_b32_e32 v22, v22, v35, vcc_lo
	v_cndmask_b32_e32 v23, v23, v27, vcc_lo
	s_delay_alu instid0(VALU_DEP_4) | instskip(SKIP_1) | instid1(VALU_DEP_4)
	v_cndmask_b32_e32 v21, v21, v54, vcc_lo
	v_cmp_eq_u32_e32 vcc_lo, 9, v7
	v_cndmask_b32_e64 v22, v22, v36, s2
	s_delay_alu instid0(VALU_DEP_4) | instskip(NEXT) | instid1(VALU_DEP_4)
	v_cndmask_b32_e64 v23, v23, v28, s2
	v_cndmask_b32_e64 v21, v21, v55, s2
	v_cmp_eq_u32_e64 s2, 10, v7
	s_delay_alu instid0(VALU_DEP_4) | instskip(NEXT) | instid1(VALU_DEP_4)
	v_cndmask_b32_e32 v22, v22, v37, vcc_lo
	v_cndmask_b32_e32 v23, v23, v29, vcc_lo
	s_delay_alu instid0(VALU_DEP_4) | instskip(SKIP_1) | instid1(VALU_DEP_4)
	v_cndmask_b32_e32 v21, v21, v56, vcc_lo
	v_cmp_eq_u32_e32 vcc_lo, 11, v7
	v_cndmask_b32_e64 v22, v22, v38, s2
	s_delay_alu instid0(VALU_DEP_4) | instskip(NEXT) | instid1(VALU_DEP_4)
	v_cndmask_b32_e64 v23, v23, v30, s2
	v_cndmask_b32_e64 v21, v21, v57, s2
	v_cmp_gt_u32_e64 s2, 12, v7
	s_delay_alu instid0(VALU_DEP_2) | instskip(NEXT) | instid1(VALU_DEP_1)
	v_dual_cndmask_b32 v22, v22, v41 :: v_dual_cndmask_b32 v21, v21, v58
	v_cndmask_b32_e64 v24, 0, v22, s2
	s_delay_alu instid0(VALU_DEP_2)
	v_cndmask_b32_e64 v21, 0xff800000, v21, s2
	;;#ASMSTART
	v_max_f32 v25, v21, v21 quad_perm:[1,0,3,2] row_mask:0xf bank_mask:0xf bound_ctrl:1
	;;#ASMEND
	;;#ASMSTART
	v_max_f32 v26, v25, v25 quad_perm:[2,3,0,1] row_mask:0xf bank_mask:0xf bound_ctrl:1
	;;#ASMEND
	;;#ASMSTART
	v_max_f32 v25, v26, v26 row_half_mirror row_mask:0xf bank_mask:0xf bound_ctrl:1
	;;#ASMEND
	;;#ASMSTART
	v_max_f32 v26, v25, v25 row_mirror row_mask:0xf bank_mask:0xf bound_ctrl:1
	;;#ASMEND
	v_permlanex16_b32 v25, v26, s9, 0xfedcba98 op_sel:[1,1]
	s_delay_alu instid0(VALU_DEP_1) | instskip(NEXT) | instid1(VALU_DEP_1)
	v_dual_max_f32 v26, v26, v26 :: v_dual_max_f32 v25, v25, v25
	v_max_f32_e32 v25, v26, v25
	s_delay_alu instid0(VALU_DEP_1) | instskip(SKIP_1) | instid1(VALU_DEP_2)
	v_cmp_eq_f32_e64 s3, v21, v25
	v_cndmask_b32_e32 v21, v23, v31, vcc_lo
	s_ctz_i32_b32 s11, s3
	s_cmp_lg_u32 s3, 0
	s_cselect_b32 s3, s11, 0
	s_add_i32 s10, s10, -1
	v_readlane_b32 s3, v24, s3
	s_delay_alu instid0(VALU_DEP_1)
	v_cmp_eq_u32_e32 vcc_lo, s3, v22
	s_and_b32 vcc_lo, s2, vcc_lo
	s_and_b32 s2, s3, 31
	v_cndmask_b32_e32 v21, 0, v21, vcc_lo
	v_add_co_ci_u32_e32 v7, vcc_lo, 0, v7, vcc_lo
	s_cmp_eq_u32 s10, 0
	s_delay_alu instid0(VALU_DEP_2) | instskip(SKIP_2) | instid1(VALU_DEP_3)
	v_readlane_b32 s11, v21, s2
	v_cmp_eq_u32_e64 s2, 0, v20
	v_add_nc_u32_e32 v20, -1, v20
	v_add_f32_e32 v6, s11, v6
	s_delay_alu instid0(VALU_DEP_3)
	v_cndmask_b32_e64 v2, v2, s11, s2
	v_cndmask_b32_e64 v1, v1, s3, s2
	s_cbranch_scc0 .LBB197_137
; %bb.138:
	s_mov_b32 s2, exec_lo
	v_cmpx_gt_i32_e64 s8, v0
	s_cbranch_execz .LBB197_140
.LBB197_139:
	s_load_b32 s2, s[0:1], 0x30
	v_max_f32_e32 v3, v6, v6
	s_load_b64 s[0:1], s[0:1], 0x20
	s_ashr_i32 s3, s15, 31
	s_delay_alu instid0(VALU_DEP_1) | instskip(SKIP_1) | instid1(VALU_DEP_1)
	v_dual_max_f32 v3, 0x1e3ce508, v3 :: v_dual_lshlrev_b32 v0, 2, v0
	s_waitcnt lgkmcnt(0)
	v_div_scale_f32 v4, null, v3, v3, s2
	v_div_scale_f32 v7, vcc_lo, s2, v3, s2
	s_mul_i32 s1, s15, s1
	s_delay_alu instid0(VALU_DEP_2)
	v_rcp_f32_e32 v5, v4
	s_mul_hi_u32 s8, s15, s0
	s_mul_i32 s3, s3, s0
	s_add_i32 s1, s8, s1
	s_mul_i32 s0, s15, s0
	s_add_i32 s1, s1, s3
	s_delay_alu instid0(SALU_CYCLE_1) | instskip(SKIP_2) | instid1(VALU_DEP_1)
	s_lshl_b64 s[0:1], s[0:1], 2
	s_waitcnt_depctr 0xfff
	v_fma_f32 v6, -v4, v5, 1.0
	v_fmac_f32_e32 v5, v6, v5
	s_delay_alu instid0(VALU_DEP_1) | instskip(NEXT) | instid1(VALU_DEP_1)
	v_mul_f32_e32 v6, v7, v5
	v_fma_f32 v8, -v4, v6, v7
	s_delay_alu instid0(VALU_DEP_1) | instskip(NEXT) | instid1(VALU_DEP_1)
	v_fmac_f32_e32 v6, v8, v5
	v_fma_f32 v4, -v4, v6, v7
	s_delay_alu instid0(VALU_DEP_1) | instskip(NEXT) | instid1(VALU_DEP_1)
	v_div_fmas_f32 v4, v4, v5, v6
	v_div_fixup_f32 v3, v4, v3, s2
	s_add_u32 s2, s4, s0
	s_addc_u32 s3, s5, s1
	s_add_u32 s0, s6, s0
	s_addc_u32 s1, s7, s1
	v_mul_f32_e32 v2, v2, v3
	s_clause 0x1
	global_store_b32 v0, v2, s[2:3]
	global_store_b32 v0, v1, s[0:1]
.LBB197_140:
	s_endpgm
.LBB197_141:
	v_dual_mov_b32 v1, 0 :: v_dual_mov_b32 v2, 0
	s_mov_b32 s2, exec_lo
	v_cmpx_gt_i32_e64 s8, v0
	s_cbranch_execnz .LBB197_139
	s_branch .LBB197_140
	.section	.rodata,"a",@progbits
	.p2align	6, 0x0
	.amdhsa_kernel _ZN5aiter24topk_softplus_kernel_optI6__half12hip_bfloat16Li384ELb1ELi0EEEvPKT_PKT0_PfPimiif
		.amdhsa_group_segment_fixed_size 0
		.amdhsa_private_segment_fixed_size 196
		.amdhsa_kernarg_size 52
		.amdhsa_user_sgpr_count 15
		.amdhsa_user_sgpr_dispatch_ptr 0
		.amdhsa_user_sgpr_queue_ptr 0
		.amdhsa_user_sgpr_kernarg_segment_ptr 1
		.amdhsa_user_sgpr_dispatch_id 0
		.amdhsa_user_sgpr_private_segment_size 0
		.amdhsa_wavefront_size32 1
		.amdhsa_uses_dynamic_stack 0
		.amdhsa_enable_private_segment 1
		.amdhsa_system_sgpr_workgroup_id_x 1
		.amdhsa_system_sgpr_workgroup_id_y 0
		.amdhsa_system_sgpr_workgroup_id_z 0
		.amdhsa_system_sgpr_workgroup_info 0
		.amdhsa_system_vgpr_workitem_id 0
		.amdhsa_next_free_vgpr 183
		.amdhsa_next_free_sgpr 16
		.amdhsa_reserve_vcc 1
		.amdhsa_float_round_mode_32 0
		.amdhsa_float_round_mode_16_64 0
		.amdhsa_float_denorm_mode_32 3
		.amdhsa_float_denorm_mode_16_64 3
		.amdhsa_dx10_clamp 1
		.amdhsa_ieee_mode 1
		.amdhsa_fp16_overflow 0
		.amdhsa_workgroup_processor_mode 1
		.amdhsa_memory_ordered 1
		.amdhsa_forward_progress 0
		.amdhsa_shared_vgpr_count 0
		.amdhsa_exception_fp_ieee_invalid_op 0
		.amdhsa_exception_fp_denorm_src 0
		.amdhsa_exception_fp_ieee_div_zero 0
		.amdhsa_exception_fp_ieee_overflow 0
		.amdhsa_exception_fp_ieee_underflow 0
		.amdhsa_exception_fp_ieee_inexact 0
		.amdhsa_exception_int_div_zero 0
	.end_amdhsa_kernel
	.section	.text._ZN5aiter24topk_softplus_kernel_optI6__half12hip_bfloat16Li384ELb1ELi0EEEvPKT_PKT0_PfPimiif,"axG",@progbits,_ZN5aiter24topk_softplus_kernel_optI6__half12hip_bfloat16Li384ELb1ELi0EEEvPKT_PKT0_PfPimiif,comdat
.Lfunc_end197:
	.size	_ZN5aiter24topk_softplus_kernel_optI6__half12hip_bfloat16Li384ELb1ELi0EEEvPKT_PKT0_PfPimiif, .Lfunc_end197-_ZN5aiter24topk_softplus_kernel_optI6__half12hip_bfloat16Li384ELb1ELi0EEEvPKT_PKT0_PfPimiif
                                        ; -- End function
	.section	.AMDGPU.csdata,"",@progbits
; Kernel info:
; codeLenInByte = 30580
; NumSgprs: 18
; NumVgprs: 183
; ScratchSize: 196
; MemoryBound: 0
; FloatMode: 240
; IeeeMode: 1
; LDSByteSize: 0 bytes/workgroup (compile time only)
; SGPRBlocks: 2
; VGPRBlocks: 22
; NumSGPRsForWavesPerEU: 18
; NumVGPRsForWavesPerEU: 183
; Occupancy: 8
; WaveLimiterHint : 0
; COMPUTE_PGM_RSRC2:SCRATCH_EN: 1
; COMPUTE_PGM_RSRC2:USER_SGPR: 15
; COMPUTE_PGM_RSRC2:TRAP_HANDLER: 0
; COMPUTE_PGM_RSRC2:TGID_X_EN: 1
; COMPUTE_PGM_RSRC2:TGID_Y_EN: 0
; COMPUTE_PGM_RSRC2:TGID_Z_EN: 0
; COMPUTE_PGM_RSRC2:TIDIG_COMP_CNT: 0
	.section	.text._ZN5aiter24topk_softplus_kernel_optI6__half12hip_bfloat16Li384ELb0ELi0EEEvPKT_PKT0_PfPimiif,"axG",@progbits,_ZN5aiter24topk_softplus_kernel_optI6__half12hip_bfloat16Li384ELb0ELi0EEEvPKT_PKT0_PfPimiif,comdat
	.protected	_ZN5aiter24topk_softplus_kernel_optI6__half12hip_bfloat16Li384ELb0ELi0EEEvPKT_PKT0_PfPimiif ; -- Begin function _ZN5aiter24topk_softplus_kernel_optI6__half12hip_bfloat16Li384ELb0ELi0EEEvPKT_PKT0_PfPimiif
	.globl	_ZN5aiter24topk_softplus_kernel_optI6__half12hip_bfloat16Li384ELb0ELi0EEEvPKT_PKT0_PfPimiif
	.p2align	8
	.type	_ZN5aiter24topk_softplus_kernel_optI6__half12hip_bfloat16Li384ELb0ELi0EEEvPKT_PKT0_PfPimiif,@function
_ZN5aiter24topk_softplus_kernel_optI6__half12hip_bfloat16Li384ELb0ELi0EEEvPKT_PKT0_PfPimiif: ; @_ZN5aiter24topk_softplus_kernel_optI6__half12hip_bfloat16Li384ELb0ELi0EEEvPKT_PKT0_PfPimiif
; %bb.0:
	s_load_b128 s[4:7], s[0:1], 0x0
	s_mul_i32 s2, s15, 0x180
	v_lshlrev_b32_e32 v1, 1, v0
	s_ashr_i32 s3, s2, 31
	s_delay_alu instid0(SALU_CYCLE_1)
	s_lshl_b64 s[2:3], s[2:3], 1
	s_waitcnt lgkmcnt(0)
	s_add_u32 s8, s4, s2
	s_addc_u32 s9, s5, s3
	s_mov_b32 s4, 0x3fb8aa3b
	global_load_u16 v2, v1, s[8:9]
	s_cmp_lg_u64 s[6:7], 0
	s_cselect_b32 s3, -1, 0
	s_waitcnt vmcnt(0)
	v_cvt_f32_f16_e32 v3, v2
	s_delay_alu instid0(VALU_DEP_1) | instskip(NEXT) | instid1(VALU_DEP_1)
	v_mul_f32_e32 v4, 0x3fb8aa3b, v3
	v_cmp_gt_f32_e32 vcc_lo, 0xc2fc0000, v4
	v_cndmask_b32_e64 v4, 0, 0x42800000, vcc_lo
	v_cndmask_b32_e64 v5, 1.0, 0x1f800000, vcc_lo
	s_delay_alu instid0(VALU_DEP_2) | instskip(NEXT) | instid1(VALU_DEP_1)
	v_fma_mix_f32 v4, v2, s4, v4 op_sel_hi:[1,0,0]
	v_exp_f32_e32 v4, v4
	s_waitcnt_depctr 0xfff
	v_fma_f32 v4, v4, v5, 1.0
	s_delay_alu instid0(VALU_DEP_1) | instskip(SKIP_1) | instid1(VALU_DEP_1)
	v_cmp_gt_f32_e32 vcc_lo, 0x800000, v4
	v_cndmask_b32_e64 v5, 1.0, 0x4f800000, vcc_lo
	v_mul_f32_e32 v4, v4, v5
	v_cndmask_b32_e64 v5, 0, 0x42000000, vcc_lo
	v_cmp_lt_f16_e32 vcc_lo, 0x4d00, v2
	s_delay_alu instid0(VALU_DEP_3) | instskip(SKIP_2) | instid1(VALU_DEP_1)
	v_log_f32_e32 v4, v4
	s_waitcnt_depctr 0xfff
	v_sub_f32_e32 v4, v4, v5
	v_mul_f32_e32 v4, 0x3f317218, v4
	s_delay_alu instid0(VALU_DEP_1) | instskip(NEXT) | instid1(VALU_DEP_1)
	v_cndmask_b32_e32 v2, v4, v3, vcc_lo
	v_mul_f32_e32 v3, 0x4f800000, v2
	v_cmp_gt_f32_e32 vcc_lo, 0xf800000, v2
	s_delay_alu instid0(VALU_DEP_2) | instskip(NEXT) | instid1(VALU_DEP_1)
	v_cndmask_b32_e32 v2, v2, v3, vcc_lo
	v_sqrt_f32_e32 v3, v2
	s_waitcnt_depctr 0xfff
	v_add_nc_u32_e32 v4, -1, v3
	v_add_nc_u32_e32 v5, 1, v3
	s_delay_alu instid0(VALU_DEP_2) | instskip(NEXT) | instid1(VALU_DEP_2)
	v_fma_f32 v6, -v4, v3, v2
	v_fma_f32 v7, -v5, v3, v2
	s_delay_alu instid0(VALU_DEP_2) | instskip(NEXT) | instid1(VALU_DEP_1)
	v_cmp_ge_f32_e64 s2, 0, v6
	v_cndmask_b32_e64 v3, v3, v4, s2
	s_delay_alu instid0(VALU_DEP_3) | instskip(NEXT) | instid1(VALU_DEP_1)
	v_cmp_lt_f32_e64 s2, 0, v7
	v_cndmask_b32_e64 v3, v3, v5, s2
	v_add_co_u32 v12, s2, s8, v1
	s_delay_alu instid0(VALU_DEP_1) | instskip(NEXT) | instid1(VALU_DEP_3)
	v_add_co_ci_u32_e64 v13, null, s9, 0, s2
	v_mul_f32_e32 v4, 0x37800000, v3
	s_delay_alu instid0(VALU_DEP_1) | instskip(SKIP_1) | instid1(VALU_DEP_2)
	v_cndmask_b32_e32 v3, v3, v4, vcc_lo
	v_cmp_class_f32_e64 vcc_lo, v2, 0x260
	v_cndmask_b32_e32 v49, v3, v2, vcc_lo
	s_and_b32 vcc_lo, exec_lo, s3
	s_delay_alu instid0(VALU_DEP_1)
	v_mov_b32_e32 v37, v49
	s_cbranch_vccz .LBB198_2
; %bb.1:
	global_load_u16 v2, v1, s[6:7]
	s_waitcnt vmcnt(0)
	v_lshlrev_b32_e32 v2, 16, v2
	s_delay_alu instid0(VALU_DEP_1)
	v_add_f32_e32 v37, v49, v2
.LBB198_2:
	global_load_u16 v2, v[12:13], off offset:64
	v_cndmask_b32_e64 v14, 0, 1, s3
	s_waitcnt vmcnt(0)
	v_cvt_f32_f16_e32 v3, v2
	s_delay_alu instid0(VALU_DEP_1) | instskip(NEXT) | instid1(VALU_DEP_1)
	v_mul_f32_e32 v4, 0x3fb8aa3b, v3
	v_cmp_gt_f32_e32 vcc_lo, 0xc2fc0000, v4
	v_cndmask_b32_e64 v5, 0, 0x42800000, vcc_lo
	v_cndmask_b32_e64 v4, 1.0, 0x1f800000, vcc_lo
	s_delay_alu instid0(VALU_DEP_2) | instskip(NEXT) | instid1(VALU_DEP_1)
	v_fma_mix_f32 v5, v2, s4, v5 op_sel_hi:[1,0,0]
	v_exp_f32_e32 v5, v5
	s_waitcnt_depctr 0xfff
	v_fma_f32 v4, v5, v4, 1.0
	s_delay_alu instid0(VALU_DEP_1) | instskip(SKIP_1) | instid1(VALU_DEP_1)
	v_cmp_gt_f32_e32 vcc_lo, 0x800000, v4
	v_cndmask_b32_e64 v5, 1.0, 0x4f800000, vcc_lo
	v_mul_f32_e32 v4, v4, v5
	v_cndmask_b32_e64 v5, 0, 0x42000000, vcc_lo
	v_cmp_lt_f16_e32 vcc_lo, 0x4d00, v2
	s_delay_alu instid0(VALU_DEP_3) | instskip(SKIP_2) | instid1(VALU_DEP_1)
	v_log_f32_e32 v4, v4
	s_waitcnt_depctr 0xfff
	v_sub_f32_e32 v4, v4, v5
	v_mul_f32_e32 v4, 0x3f317218, v4
	s_delay_alu instid0(VALU_DEP_1) | instskip(NEXT) | instid1(VALU_DEP_1)
	v_cndmask_b32_e32 v2, v4, v3, vcc_lo
	v_mul_f32_e32 v3, 0x4f800000, v2
	v_cmp_gt_f32_e32 vcc_lo, 0xf800000, v2
	s_delay_alu instid0(VALU_DEP_2) | instskip(NEXT) | instid1(VALU_DEP_1)
	v_cndmask_b32_e32 v2, v2, v3, vcc_lo
	v_sqrt_f32_e32 v3, v2
	s_waitcnt_depctr 0xfff
	v_add_nc_u32_e32 v4, -1, v3
	v_add_nc_u32_e32 v5, 1, v3
	s_delay_alu instid0(VALU_DEP_2) | instskip(NEXT) | instid1(VALU_DEP_2)
	v_fma_f32 v6, -v4, v3, v2
	v_fma_f32 v7, -v5, v3, v2
	s_delay_alu instid0(VALU_DEP_2) | instskip(NEXT) | instid1(VALU_DEP_1)
	v_cmp_ge_f32_e64 s2, 0, v6
	v_cndmask_b32_e64 v3, v3, v4, s2
	s_delay_alu instid0(VALU_DEP_3) | instskip(NEXT) | instid1(VALU_DEP_1)
	v_cmp_lt_f32_e64 s2, 0, v7
	v_cndmask_b32_e64 v3, v3, v5, s2
	s_delay_alu instid0(VALU_DEP_1) | instskip(NEXT) | instid1(VALU_DEP_1)
	v_mul_f32_e32 v4, 0x37800000, v3
	v_cndmask_b32_e32 v3, v3, v4, vcc_lo
	v_cmp_class_f32_e64 vcc_lo, v2, 0x260
	s_delay_alu instid0(VALU_DEP_2) | instskip(SKIP_1) | instid1(VALU_DEP_1)
	v_cndmask_b32_e32 v2, v3, v2, vcc_lo
	s_and_not1_b32 vcc_lo, exec_lo, s3
	v_mov_b32_e32 v38, v2
	s_cbranch_vccnz .LBB198_4
; %bb.3:
	global_load_u16 v3, v1, s[6:7] offset:64
	s_waitcnt vmcnt(0)
	v_lshlrev_b32_e32 v3, 16, v3
	s_delay_alu instid0(VALU_DEP_1)
	v_add_f32_e32 v38, v2, v3
.LBB198_4:
	global_load_u16 v3, v[12:13], off offset:128
	s_mov_b32 s3, 0x3fb8aa3b
	s_waitcnt vmcnt(0)
	v_cvt_f32_f16_e32 v4, v3
	s_delay_alu instid0(VALU_DEP_1) | instskip(NEXT) | instid1(VALU_DEP_1)
	v_mul_f32_e32 v5, 0x3fb8aa3b, v4
	v_cmp_gt_f32_e32 vcc_lo, 0xc2fc0000, v5
	v_cndmask_b32_e64 v6, 0, 0x42800000, vcc_lo
	v_cndmask_b32_e64 v5, 1.0, 0x1f800000, vcc_lo
	s_delay_alu instid0(VALU_DEP_2) | instskip(NEXT) | instid1(VALU_DEP_1)
	v_fma_mix_f32 v6, v3, s3, v6 op_sel_hi:[1,0,0]
	v_exp_f32_e32 v6, v6
	s_waitcnt_depctr 0xfff
	v_fma_f32 v5, v6, v5, 1.0
	s_delay_alu instid0(VALU_DEP_1) | instskip(SKIP_1) | instid1(VALU_DEP_1)
	v_cmp_gt_f32_e32 vcc_lo, 0x800000, v5
	v_cndmask_b32_e64 v6, 1.0, 0x4f800000, vcc_lo
	v_mul_f32_e32 v5, v5, v6
	v_cndmask_b32_e64 v6, 0, 0x42000000, vcc_lo
	v_cmp_lt_f16_e32 vcc_lo, 0x4d00, v3
	s_delay_alu instid0(VALU_DEP_3) | instskip(SKIP_2) | instid1(VALU_DEP_1)
	v_log_f32_e32 v5, v5
	s_waitcnt_depctr 0xfff
	v_sub_f32_e32 v5, v5, v6
	v_mul_f32_e32 v5, 0x3f317218, v5
	s_delay_alu instid0(VALU_DEP_1) | instskip(NEXT) | instid1(VALU_DEP_1)
	v_cndmask_b32_e32 v3, v5, v4, vcc_lo
	v_mul_f32_e32 v4, 0x4f800000, v3
	v_cmp_gt_f32_e32 vcc_lo, 0xf800000, v3
	s_delay_alu instid0(VALU_DEP_2) | instskip(NEXT) | instid1(VALU_DEP_1)
	v_cndmask_b32_e32 v3, v3, v4, vcc_lo
	v_sqrt_f32_e32 v4, v3
	s_waitcnt_depctr 0xfff
	v_add_nc_u32_e32 v5, -1, v4
	v_add_nc_u32_e32 v6, 1, v4
	s_delay_alu instid0(VALU_DEP_2) | instskip(NEXT) | instid1(VALU_DEP_2)
	v_fma_f32 v7, -v5, v4, v3
	v_fma_f32 v8, -v6, v4, v3
	s_delay_alu instid0(VALU_DEP_2) | instskip(NEXT) | instid1(VALU_DEP_1)
	v_cmp_ge_f32_e64 s2, 0, v7
	v_cndmask_b32_e64 v4, v4, v5, s2
	s_delay_alu instid0(VALU_DEP_3) | instskip(NEXT) | instid1(VALU_DEP_1)
	v_cmp_lt_f32_e64 s2, 0, v8
	v_cndmask_b32_e64 v4, v4, v6, s2
	s_delay_alu instid0(VALU_DEP_1) | instskip(NEXT) | instid1(VALU_DEP_1)
	v_mul_f32_e32 v5, 0x37800000, v4
	v_cndmask_b32_e32 v4, v4, v5, vcc_lo
	v_cmp_class_f32_e64 vcc_lo, v3, 0x260
	s_delay_alu instid0(VALU_DEP_2) | instskip(SKIP_1) | instid1(VALU_DEP_2)
	v_cndmask_b32_e32 v3, v4, v3, vcc_lo
	v_cmp_ne_u32_e32 vcc_lo, 1, v14
	v_mov_b32_e32 v39, v3
	s_cbranch_vccnz .LBB198_6
; %bb.5:
	global_load_u16 v4, v1, s[6:7] offset:128
	s_waitcnt vmcnt(0)
	v_lshlrev_b32_e32 v4, 16, v4
	s_delay_alu instid0(VALU_DEP_1)
	v_add_f32_e32 v39, v3, v4
.LBB198_6:
	global_load_u16 v4, v[12:13], off offset:192
	s_waitcnt vmcnt(0)
	v_cvt_f32_f16_e32 v5, v4
	s_delay_alu instid0(VALU_DEP_1) | instskip(NEXT) | instid1(VALU_DEP_1)
	v_mul_f32_e32 v6, 0x3fb8aa3b, v5
	v_cmp_gt_f32_e32 vcc_lo, 0xc2fc0000, v6
	v_cndmask_b32_e64 v7, 0, 0x42800000, vcc_lo
	v_cndmask_b32_e64 v6, 1.0, 0x1f800000, vcc_lo
	s_delay_alu instid0(VALU_DEP_2) | instskip(NEXT) | instid1(VALU_DEP_1)
	v_fma_mix_f32 v7, v4, s3, v7 op_sel_hi:[1,0,0]
	v_exp_f32_e32 v7, v7
	s_waitcnt_depctr 0xfff
	v_fma_f32 v6, v7, v6, 1.0
	s_delay_alu instid0(VALU_DEP_1) | instskip(SKIP_1) | instid1(VALU_DEP_1)
	v_cmp_gt_f32_e32 vcc_lo, 0x800000, v6
	v_cndmask_b32_e64 v7, 1.0, 0x4f800000, vcc_lo
	v_mul_f32_e32 v6, v6, v7
	v_cndmask_b32_e64 v7, 0, 0x42000000, vcc_lo
	v_cmp_lt_f16_e32 vcc_lo, 0x4d00, v4
	s_delay_alu instid0(VALU_DEP_3) | instskip(SKIP_2) | instid1(VALU_DEP_1)
	v_log_f32_e32 v6, v6
	s_waitcnt_depctr 0xfff
	v_sub_f32_e32 v6, v6, v7
	v_mul_f32_e32 v6, 0x3f317218, v6
	s_delay_alu instid0(VALU_DEP_1) | instskip(NEXT) | instid1(VALU_DEP_1)
	v_cndmask_b32_e32 v4, v6, v5, vcc_lo
	v_mul_f32_e32 v5, 0x4f800000, v4
	v_cmp_gt_f32_e32 vcc_lo, 0xf800000, v4
	s_delay_alu instid0(VALU_DEP_2) | instskip(NEXT) | instid1(VALU_DEP_1)
	v_cndmask_b32_e32 v4, v4, v5, vcc_lo
	v_sqrt_f32_e32 v5, v4
	s_waitcnt_depctr 0xfff
	v_add_nc_u32_e32 v6, -1, v5
	v_add_nc_u32_e32 v7, 1, v5
	s_delay_alu instid0(VALU_DEP_2) | instskip(NEXT) | instid1(VALU_DEP_2)
	v_fma_f32 v8, -v6, v5, v4
	v_fma_f32 v9, -v7, v5, v4
	s_delay_alu instid0(VALU_DEP_2) | instskip(NEXT) | instid1(VALU_DEP_1)
	v_cmp_ge_f32_e64 s2, 0, v8
	v_cndmask_b32_e64 v5, v5, v6, s2
	s_delay_alu instid0(VALU_DEP_3) | instskip(NEXT) | instid1(VALU_DEP_1)
	v_cmp_lt_f32_e64 s2, 0, v9
	v_cndmask_b32_e64 v5, v5, v7, s2
	s_delay_alu instid0(VALU_DEP_1) | instskip(NEXT) | instid1(VALU_DEP_1)
	v_mul_f32_e32 v6, 0x37800000, v5
	v_cndmask_b32_e32 v5, v5, v6, vcc_lo
	v_cmp_class_f32_e64 vcc_lo, v4, 0x260
	s_delay_alu instid0(VALU_DEP_2) | instskip(SKIP_1) | instid1(VALU_DEP_2)
	v_cndmask_b32_e32 v4, v5, v4, vcc_lo
	v_cmp_ne_u32_e32 vcc_lo, 1, v14
	v_mov_b32_e32 v40, v4
	s_cbranch_vccnz .LBB198_8
; %bb.7:
	global_load_u16 v5, v1, s[6:7] offset:192
	s_waitcnt vmcnt(0)
	v_lshlrev_b32_e32 v5, 16, v5
	s_delay_alu instid0(VALU_DEP_1)
	v_add_f32_e32 v40, v4, v5
.LBB198_8:
	global_load_u16 v5, v[12:13], off offset:256
	;; [unrolled: 59-line block ×8, first 2 shown]
	s_waitcnt vmcnt(0)
	v_cvt_f32_f16_e32 v15, v11
	s_delay_alu instid0(VALU_DEP_1) | instskip(NEXT) | instid1(VALU_DEP_1)
	v_mul_f32_e32 v16, 0x3fb8aa3b, v15
	v_cmp_gt_f32_e32 vcc_lo, 0xc2fc0000, v16
	v_cndmask_b32_e64 v17, 0, 0x42800000, vcc_lo
	v_cndmask_b32_e64 v16, 1.0, 0x1f800000, vcc_lo
	s_delay_alu instid0(VALU_DEP_2) | instskip(NEXT) | instid1(VALU_DEP_1)
	v_fma_mix_f32 v17, v11, s3, v17 op_sel_hi:[1,0,0]
	v_exp_f32_e32 v17, v17
	s_waitcnt_depctr 0xfff
	v_fma_f32 v16, v17, v16, 1.0
	s_delay_alu instid0(VALU_DEP_1) | instskip(SKIP_1) | instid1(VALU_DEP_1)
	v_cmp_gt_f32_e32 vcc_lo, 0x800000, v16
	v_cndmask_b32_e64 v17, 1.0, 0x4f800000, vcc_lo
	v_mul_f32_e32 v16, v16, v17
	v_cndmask_b32_e64 v17, 0, 0x42000000, vcc_lo
	v_cmp_lt_f16_e32 vcc_lo, 0x4d00, v11
	s_delay_alu instid0(VALU_DEP_3) | instskip(SKIP_2) | instid1(VALU_DEP_1)
	v_log_f32_e32 v16, v16
	s_waitcnt_depctr 0xfff
	v_sub_f32_e32 v16, v16, v17
	v_mul_f32_e32 v16, 0x3f317218, v16
	s_delay_alu instid0(VALU_DEP_1) | instskip(NEXT) | instid1(VALU_DEP_1)
	v_cndmask_b32_e32 v11, v16, v15, vcc_lo
	v_mul_f32_e32 v15, 0x4f800000, v11
	v_cmp_gt_f32_e32 vcc_lo, 0xf800000, v11
	s_delay_alu instid0(VALU_DEP_2) | instskip(NEXT) | instid1(VALU_DEP_1)
	v_cndmask_b32_e32 v11, v11, v15, vcc_lo
	v_sqrt_f32_e32 v15, v11
	s_waitcnt_depctr 0xfff
	v_add_nc_u32_e32 v17, 1, v15
	v_add_nc_u32_e32 v16, -1, v15
	s_delay_alu instid0(VALU_DEP_2) | instskip(NEXT) | instid1(VALU_DEP_2)
	v_fma_f32 v19, -v17, v15, v11
	v_fma_f32 v18, -v16, v15, v11
	s_delay_alu instid0(VALU_DEP_1) | instskip(NEXT) | instid1(VALU_DEP_1)
	v_cmp_ge_f32_e64 s2, 0, v18
	v_cndmask_b32_e64 v15, v15, v16, s2
	s_delay_alu instid0(VALU_DEP_4) | instskip(NEXT) | instid1(VALU_DEP_1)
	v_cmp_lt_f32_e64 s2, 0, v19
	v_cndmask_b32_e64 v15, v15, v17, s2
	s_delay_alu instid0(VALU_DEP_1) | instskip(NEXT) | instid1(VALU_DEP_1)
	v_mul_f32_e32 v16, 0x37800000, v15
	v_cndmask_b32_e32 v15, v15, v16, vcc_lo
	v_cmp_class_f32_e64 vcc_lo, v11, 0x260
	s_delay_alu instid0(VALU_DEP_2) | instskip(SKIP_1) | instid1(VALU_DEP_2)
	v_cndmask_b32_e32 v11, v15, v11, vcc_lo
	v_cmp_ne_u32_e32 vcc_lo, 1, v14
	v_mov_b32_e32 v47, v11
	s_cbranch_vccnz .LBB198_22
; %bb.21:
	global_load_u16 v15, v1, s[6:7] offset:640
	s_waitcnt vmcnt(0)
	v_lshlrev_b32_e32 v15, 16, v15
	s_delay_alu instid0(VALU_DEP_1)
	v_add_f32_e32 v47, v11, v15
.LBB198_22:
	global_load_u16 v12, v[12:13], off offset:704
	s_waitcnt vmcnt(0)
	v_cvt_f32_f16_e32 v13, v12
	s_delay_alu instid0(VALU_DEP_1) | instskip(NEXT) | instid1(VALU_DEP_1)
	v_mul_f32_e32 v15, 0x3fb8aa3b, v13
	v_cmp_gt_f32_e32 vcc_lo, 0xc2fc0000, v15
	v_cndmask_b32_e64 v16, 0, 0x42800000, vcc_lo
	v_cndmask_b32_e64 v15, 1.0, 0x1f800000, vcc_lo
	s_delay_alu instid0(VALU_DEP_2) | instskip(NEXT) | instid1(VALU_DEP_1)
	v_fma_mix_f32 v16, v12, s3, v16 op_sel_hi:[1,0,0]
	v_exp_f32_e32 v16, v16
	s_waitcnt_depctr 0xfff
	v_fma_f32 v15, v16, v15, 1.0
	s_delay_alu instid0(VALU_DEP_1) | instskip(SKIP_1) | instid1(VALU_DEP_1)
	v_cmp_gt_f32_e32 vcc_lo, 0x800000, v15
	v_cndmask_b32_e64 v16, 1.0, 0x4f800000, vcc_lo
	v_mul_f32_e32 v15, v15, v16
	v_cndmask_b32_e64 v16, 0, 0x42000000, vcc_lo
	v_cmp_lt_f16_e32 vcc_lo, 0x4d00, v12
	s_delay_alu instid0(VALU_DEP_3) | instskip(SKIP_2) | instid1(VALU_DEP_1)
	v_log_f32_e32 v15, v15
	s_waitcnt_depctr 0xfff
	v_sub_f32_e32 v15, v15, v16
	v_mul_f32_e32 v15, 0x3f317218, v15
	s_delay_alu instid0(VALU_DEP_1) | instskip(NEXT) | instid1(VALU_DEP_1)
	v_cndmask_b32_e32 v12, v15, v13, vcc_lo
	v_mul_f32_e32 v13, 0x4f800000, v12
	v_cmp_gt_f32_e32 vcc_lo, 0xf800000, v12
	s_delay_alu instid0(VALU_DEP_2) | instskip(NEXT) | instid1(VALU_DEP_1)
	v_cndmask_b32_e32 v12, v12, v13, vcc_lo
	v_sqrt_f32_e32 v13, v12
	s_waitcnt_depctr 0xfff
	v_add_nc_u32_e32 v15, -1, v13
	v_add_nc_u32_e32 v16, 1, v13
	s_delay_alu instid0(VALU_DEP_2) | instskip(NEXT) | instid1(VALU_DEP_2)
	v_fma_f32 v17, -v15, v13, v12
	v_fma_f32 v18, -v16, v13, v12
	s_delay_alu instid0(VALU_DEP_2) | instskip(NEXT) | instid1(VALU_DEP_1)
	v_cmp_ge_f32_e64 s2, 0, v17
	v_cndmask_b32_e64 v13, v13, v15, s2
	s_delay_alu instid0(VALU_DEP_3) | instskip(NEXT) | instid1(VALU_DEP_1)
	v_cmp_lt_f32_e64 s2, 0, v18
	v_cndmask_b32_e64 v13, v13, v16, s2
	s_delay_alu instid0(VALU_DEP_1) | instskip(NEXT) | instid1(VALU_DEP_1)
	v_mul_f32_e32 v15, 0x37800000, v13
	v_cndmask_b32_e32 v13, v13, v15, vcc_lo
	v_cmp_class_f32_e64 vcc_lo, v12, 0x260
	s_delay_alu instid0(VALU_DEP_2)
	v_cndmask_b32_e32 v12, v13, v12, vcc_lo
	v_cmp_ne_u32_e32 vcc_lo, 1, v14
	s_cbranch_vccnz .LBB198_24
; %bb.23:
	global_load_u16 v1, v1, s[6:7] offset:704
	s_waitcnt vmcnt(0)
	v_lshlrev_b32_e32 v1, 16, v1
	s_delay_alu instid0(VALU_DEP_1)
	v_add_f32_e32 v48, v12, v1
	s_branch .LBB198_25
.LBB198_24:
	s_delay_alu instid0(VALU_DEP_2)
	v_mov_b32_e32 v48, v12
.LBB198_25:
	v_dual_mov_b32 v13, v37 :: v_dual_add_nc_u32 v26, 32, v0
	v_dual_mov_b32 v14, v38 :: v_dual_add_nc_u32 v27, 64, v0
	;; [unrolled: 1-line block ×11, first 2 shown]
	v_dual_mov_b32 v24, v48 :: v_dual_mov_b32 v1, v49
	v_mov_b32_e32 v25, v0
	s_mov_b32 s2, exec_lo
	v_cmpx_lt_f32_e32 v37, v38
	s_xor_b32 s2, exec_lo, s2
; %bb.26:
	v_dual_mov_b32 v13, v38 :: v_dual_mov_b32 v14, v37
	v_dual_mov_b32 v15, v39 :: v_dual_mov_b32 v16, v40
	;; [unrolled: 1-line block ×8, first 2 shown]
	v_mov_b32_e32 v26, v0
; %bb.27:
	s_or_b32 exec_lo, exec_lo, s2
	v_dual_mov_b32 v37, v15 :: v_dual_mov_b32 v86, v12
	v_dual_mov_b32 v75, v1 :: v_dual_mov_b32 v146, v12
	;; [unrolled: 1-line block ×36, first 2 shown]
	s_clause 0x8
	scratch_store_b128 off, v[1:4], off
	scratch_store_b128 off, v[5:8], off offset:16
	scratch_store_b128 off, v[9:12], off offset:32
	scratch_store_b128 off, v[1:4], off offset:48
	scratch_store_b128 off, v[5:8], off offset:64
	scratch_store_b128 off, v[9:12], off offset:80
	scratch_store_b128 off, v[1:4], off offset:96
	scratch_store_b128 off, v[5:8], off offset:112
	scratch_store_b128 off, v[9:12], off offset:128
	v_dual_mov_b32 v73, v35 :: v_dual_mov_b32 v72, v34
	v_dual_mov_b32 v71, v33 :: v_dual_mov_b32 v70, v32
	;; [unrolled: 1-line block ×30, first 2 shown]
	v_mov_b32_e32 v159, v25
	s_clause 0x2
	scratch_store_b128 off, v[25:28], off offset:144
	scratch_store_b128 off, v[29:32], off offset:160
	;; [unrolled: 1-line block ×3, first 2 shown]
	s_mov_b32 s2, exec_lo
	v_dual_mov_b32 v182, v36 :: v_dual_mov_b32 v181, v35
	v_dual_mov_b32 v180, v34 :: v_dual_mov_b32 v179, v33
	;; [unrolled: 1-line block ×6, first 2 shown]
	v_cmpx_lt_f32_e32 v38, v15
	s_cbranch_execz .LBB198_29
; %bb.28:
	v_dual_mov_b32 v37, v38 :: v_dual_mov_b32 v182, v36
	v_dual_mov_b32 v173, v27 :: v_dual_mov_b32 v172, v26
	;; [unrolled: 1-line block ×14, first 2 shown]
	v_mov_b32_e32 v125, v2
	v_dual_mov_b32 v159, v171 :: v_dual_mov_b32 v162, v174
	v_dual_mov_b32 v161, v173 :: v_dual_mov_b32 v164, v176
	;; [unrolled: 1-line block ×6, first 2 shown]
	v_mov_b32_e32 v162, v28
	s_clause 0x2
	scratch_store_b128 off, v[123:126], off offset:96
	scratch_store_b128 off, v[127:130], off offset:112
	;; [unrolled: 1-line block ×3, first 2 shown]
	v_dual_mov_b32 v14, v15 :: v_dual_mov_b32 v15, v38
	v_dual_mov_b32 v43, v164 :: v_dual_mov_b32 v44, v165
	;; [unrolled: 1-line block ×7, first 2 shown]
	s_clause 0x2
	scratch_store_b128 off, v[38:41], off offset:144
	scratch_store_b128 off, v[42:45], off offset:160
	;; [unrolled: 1-line block ×3, first 2 shown]
	v_mov_b32_e32 v163, v29
	v_mov_b32_e32 v27, v26
	v_dual_mov_b32 v43, v128 :: v_dual_mov_b32 v44, v129
	v_dual_mov_b32 v47, v132 :: v_dual_mov_b32 v38, v123
	;; [unrolled: 1-line block ×5, first 2 shown]
	v_mov_b32_e32 v41, v126
	v_dual_mov_b32 v147, v159 :: v_dual_mov_b32 v154, v166
	v_mov_b32_e32 v148, v160
	v_mov_b32_e32 v150, v162
	s_clause 0x2
	scratch_store_b128 off, v[38:41], off offset:48
	scratch_store_b128 off, v[42:45], off offset:64
	;; [unrolled: 1-line block ×3, first 2 shown]
	v_dual_mov_b32 v127, v5 :: v_dual_mov_b32 v152, v164
	v_dual_mov_b32 v153, v165 :: v_dual_mov_b32 v152, v30
	;; [unrolled: 1-line block ×7, first 2 shown]
	v_mov_b32_e32 v41, v126
	v_dual_mov_b32 v128, v6 :: v_dual_mov_b32 v99, v147
	v_dual_mov_b32 v105, v153 :: v_dual_mov_b32 v106, v154
	v_dual_mov_b32 v109, v157 :: v_dual_mov_b32 v110, v158
	v_mov_b32_e32 v105, v31
	v_dual_mov_b32 v103, v151 :: v_dual_mov_b32 v104, v152
	v_dual_mov_b32 v107, v155 :: v_dual_mov_b32 v108, v156
	;; [unrolled: 1-line block ×6, first 2 shown]
	v_mov_b32_e32 v60, v132
	v_dual_mov_b32 v52, v124 :: v_dual_mov_b32 v55, v127
	v_dual_mov_b32 v58, v130 :: v_dual_mov_b32 v61, v133
	v_mov_b32_e32 v57, v7
	v_dual_mov_b32 v53, v125 :: v_dual_mov_b32 v56, v128
	s_clause 0x2
	scratch_store_b128 off, v[38:41], off
	scratch_store_b128 off, v[42:45], off offset:16
	scratch_store_b128 off, v[46:49], off offset:32
	v_dual_mov_b32 v39, v99 :: v_dual_mov_b32 v44, v104
	v_dual_mov_b32 v45, v105 :: v_dual_mov_b32 v50, v110
	;; [unrolled: 1-line block ×6, first 2 shown]
	v_mov_b32_e32 v122, v62
	v_dual_mov_b32 v46, v32 :: v_dual_mov_b32 v111, v51
	v_dual_mov_b32 v121, v61 :: v_dual_mov_b32 v120, v60
	;; [unrolled: 1-line block ×6, first 2 shown]
	v_mov_b32_e32 v118, v8
	v_dual_mov_b32 v98, v50 :: v_dual_mov_b32 v97, v49
	v_dual_mov_b32 v96, v48 :: v_dual_mov_b32 v95, v47
	;; [unrolled: 1-line block ×7, first 2 shown]
	v_mov_b32_e32 v135, v111
	v_dual_mov_b32 v3, v2 :: v_dual_mov_b32 v144, v120
	v_dual_mov_b32 v145, v121 :: v_dual_mov_b32 v142, v118
	;; [unrolled: 1-line block ×5, first 2 shown]
	v_mov_b32_e32 v137, v113
	v_mov_b32_e32 v143, v9
	v_dual_mov_b32 v63, v87 :: v_dual_mov_b32 v70, v94
	v_mov_b32_e32 v64, v88
	v_mov_b32_e32 v66, v90
	v_dual_mov_b32 v68, v92 :: v_dual_mov_b32 v75, v135
	v_dual_mov_b32 v80, v140 :: v_dual_mov_b32 v65, v89
	;; [unrolled: 1-line block ×13, first 2 shown]
.LBB198_29:
	s_or_b32 exec_lo, exec_lo, s2
	v_mov_b32_e32 v1, v16
	s_mov_b32 s2, exec_lo
	v_cmpx_lt_f32_e32 v37, v16
	s_cbranch_execz .LBB198_31
; %bb.30:
	s_clause 0x2
	scratch_load_b128 v[38:41], off, off offset:96
	scratch_load_b128 v[42:45], off, off offset:112
	;; [unrolled: 1-line block ×3, first 2 shown]
	v_mov_b32_e32 v173, v28
	v_dual_mov_b32 v15, v16 :: v_dual_mov_b32 v16, v37
	v_dual_mov_b32 v1, v37 :: v_dual_mov_b32 v28, v27
	s_waitcnt vmcnt(2)
	v_dual_mov_b32 v124, v39 :: v_dual_mov_b32 v123, v38
	s_waitcnt vmcnt(0)
	v_dual_mov_b32 v134, v49 :: v_dual_mov_b32 v125, v4
	v_dual_mov_b32 v159, v171 :: v_dual_mov_b32 v160, v172
	v_mov_b32_e32 v162, v174
	v_dual_mov_b32 v38, v123 :: v_dual_mov_b32 v39, v124
	v_dual_mov_b32 v161, v173 :: v_dual_mov_b32 v164, v176
	v_dual_mov_b32 v163, v175 :: v_dual_mov_b32 v166, v178
	v_dual_mov_b32 v165, v177 :: v_dual_mov_b32 v168, v180
	v_dual_mov_b32 v167, v179 :: v_dual_mov_b32 v170, v182
	v_dual_mov_b32 v169, v181 :: v_dual_mov_b32 v162, v27
	v_dual_mov_b32 v40, v125 :: v_dual_mov_b32 v133, v48
	v_dual_mov_b32 v132, v47 :: v_dual_mov_b32 v131, v46
	v_dual_mov_b32 v130, v45 :: v_dual_mov_b32 v129, v44
	v_dual_mov_b32 v128, v43 :: v_dual_mov_b32 v127, v42
	v_mov_b32_e32 v126, v41
	s_clause 0x2
	scratch_store_b128 off, v[38:41], off offset:96
	scratch_store_b128 off, v[42:45], off offset:112
	;; [unrolled: 1-line block ×3, first 2 shown]
	v_dual_mov_b32 v43, v164 :: v_dual_mov_b32 v38, v159
	v_dual_mov_b32 v41, v162 :: v_dual_mov_b32 v126, v3
	;; [unrolled: 1-line block ×7, first 2 shown]
	s_clause 0x2
	scratch_store_b128 off, v[38:41], off offset:144
	scratch_store_b128 off, v[42:45], off offset:160
	;; [unrolled: 1-line block ×3, first 2 shown]
	v_dual_mov_b32 v43, v128 :: v_dual_mov_b32 v46, v131
	v_dual_mov_b32 v49, v134 :: v_dual_mov_b32 v38, v123
	;; [unrolled: 1-line block ×5, first 2 shown]
	v_mov_b32_e32 v41, v126
	v_dual_mov_b32 v147, v159 :: v_dual_mov_b32 v152, v164
	v_dual_mov_b32 v148, v160 :: v_dual_mov_b32 v127, v5
	;; [unrolled: 1-line block ×7, first 2 shown]
	s_clause 0x2
	scratch_store_b128 off, v[38:41], off offset:48
	scratch_store_b128 off, v[42:45], off offset:64
	;; [unrolled: 1-line block ×3, first 2 shown]
	v_dual_mov_b32 v38, v123 :: v_dual_mov_b32 v39, v124
	v_dual_mov_b32 v40, v125 :: v_dual_mov_b32 v41, v126
	v_mov_b32_e32 v42, v127
	v_dual_mov_b32 v128, v6 :: v_dual_mov_b32 v99, v147
	v_dual_mov_b32 v106, v154 :: v_dual_mov_b32 v107, v155
	;; [unrolled: 1-line block ×3, first 2 shown]
	v_mov_b32_e32 v52, v124
	v_dual_mov_b32 v100, v148 :: v_dual_mov_b32 v101, v149
	v_dual_mov_b32 v102, v150 :: v_dual_mov_b32 v103, v151
	;; [unrolled: 1-line block ×6, first 2 shown]
	v_mov_b32_e32 v105, v31
	v_dual_mov_b32 v57, v129 :: v_dual_mov_b32 v58, v130
	v_dual_mov_b32 v53, v125 :: v_dual_mov_b32 v54, v126
	;; [unrolled: 1-line block ×3, first 2 shown]
	v_mov_b32_e32 v57, v7
	s_clause 0x2
	scratch_store_b128 off, v[38:41], off
	scratch_store_b128 off, v[42:45], off offset:16
	scratch_store_b128 off, v[46:49], off offset:32
	v_dual_mov_b32 v39, v99 :: v_dual_mov_b32 v42, v102
	v_dual_mov_b32 v47, v107 :: v_dual_mov_b32 v50, v110
	;; [unrolled: 1-line block ×9, first 2 shown]
	v_mov_b32_e32 v46, v32
	v_dual_mov_b32 v118, v58 :: v_dual_mov_b32 v117, v57
	v_dual_mov_b32 v116, v56 :: v_dual_mov_b32 v115, v55
	;; [unrolled: 1-line block ×3, first 2 shown]
	v_mov_b32_e32 v118, v8
	v_dual_mov_b32 v98, v50 :: v_dual_mov_b32 v95, v47
	v_dual_mov_b32 v97, v49 :: v_dual_mov_b32 v90, v42
	v_dual_mov_b32 v87, v39 :: v_dual_mov_b32 v146, v122
	v_dual_mov_b32 v145, v121 :: v_dual_mov_b32 v88, v40
	v_dual_mov_b32 v95, v33 :: v_dual_mov_b32 v144, v120
	v_dual_mov_b32 v143, v119 :: v_dual_mov_b32 v136, v112
	v_dual_mov_b32 v135, v111 :: v_dual_mov_b32 v96, v48
	v_dual_mov_b32 v93, v45 :: v_dual_mov_b32 v94, v46
	v_dual_mov_b32 v91, v43 :: v_dual_mov_b32 v92, v44
	v_mov_b32_e32 v89, v41
	v_dual_mov_b32 v143, v9 :: v_dual_mov_b32 v142, v118
	v_dual_mov_b32 v141, v117 :: v_dual_mov_b32 v140, v116
	;; [unrolled: 1-line block ×3, first 2 shown]
	v_mov_b32_e32 v137, v113
	v_dual_mov_b32 v63, v87 :: v_dual_mov_b32 v66, v90
	v_dual_mov_b32 v64, v88 :: v_dual_mov_b32 v75, v135
	;; [unrolled: 1-line block ×13, first 2 shown]
	v_mov_b32_e32 v82, v142
	v_dual_mov_b32 v84, v10 :: v_dual_mov_b32 v85, v11
	v_mov_b32_e32 v86, v12
.LBB198_31:
	s_or_b32 exec_lo, exec_lo, s2
	v_mov_b32_e32 v2, v17
	s_mov_b32 s2, exec_lo
	v_cmpx_lt_f32_e32 v1, v17
	s_cbranch_execz .LBB198_33
; %bb.32:
	s_clause 0x2
	scratch_load_b128 v[37:40], off, off offset:96
	scratch_load_b128 v[41:44], off, off offset:112
	;; [unrolled: 1-line block ×3, first 2 shown]
	v_mov_b32_e32 v174, v29
	v_dual_mov_b32 v2, v1 :: v_dual_mov_b32 v29, v28
	v_mov_b32_e32 v16, v17
	s_waitcnt vmcnt(0)
	v_dual_mov_b32 v74, v48 :: v_dual_mov_b32 v71, v45
	v_dual_mov_b32 v68, v42 :: v_dual_mov_b32 v65, v39
	;; [unrolled: 1-line block ×18, first 2 shown]
	v_mov_b32_e32 v125, v65
	v_mov_b32_e32 v127, v4
	v_dual_mov_b32 v147, v159 :: v_dual_mov_b32 v148, v160
	v_dual_mov_b32 v153, v165 :: v_dual_mov_b32 v156, v168
	v_dual_mov_b32 v155, v167 :: v_dual_mov_b32 v158, v170
	v_mov_b32_e32 v157, v169
	v_dual_mov_b32 v151, v163 :: v_dual_mov_b32 v154, v166
	v_dual_mov_b32 v149, v161 :: v_dual_mov_b32 v152, v164
	;; [unrolled: 1-line block ×4, first 2 shown]
	v_mov_b32_e32 v38, v124
	v_dual_mov_b32 v152, v30 :: v_dual_mov_b32 v45, v131
	v_dual_mov_b32 v46, v132 :: v_dual_mov_b32 v47, v133
	v_dual_mov_b32 v48, v134 :: v_dual_mov_b32 v39, v125
	v_dual_mov_b32 v40, v126 :: v_dual_mov_b32 v41, v127
	v_dual_mov_b32 v128, v6 :: v_dual_mov_b32 v99, v147
	v_dual_mov_b32 v100, v148 :: v_dual_mov_b32 v105, v153
	v_dual_mov_b32 v106, v154 :: v_dual_mov_b32 v109, v157
	v_dual_mov_b32 v110, v158 :: v_dual_mov_b32 v105, v31
	v_dual_mov_b32 v103, v151 :: v_dual_mov_b32 v104, v152
	v_dual_mov_b32 v107, v155 :: v_dual_mov_b32 v108, v156
	v_dual_mov_b32 v51, v123 :: v_dual_mov_b32 v54, v126
	v_dual_mov_b32 v101, v149 :: v_dual_mov_b32 v102, v150
	v_dual_mov_b32 v59, v131 :: v_dual_mov_b32 v62, v134
	s_clause 0x2
	scratch_store_b128 off, v[37:40], off
	scratch_store_b128 off, v[41:44], off offset:16
	scratch_store_b128 off, v[45:48], off offset:32
	v_dual_mov_b32 v57, v129 :: v_dual_mov_b32 v60, v132
	v_dual_mov_b32 v55, v127 :: v_dual_mov_b32 v58, v130
	v_mov_b32_e32 v61, v133
	v_mov_b32_e32 v57, v7
	v_dual_mov_b32 v39, v99 :: v_dual_mov_b32 v44, v104
	v_dual_mov_b32 v17, v1 :: v_dual_mov_b32 v52, v124
	v_dual_mov_b32 v53, v125 :: v_dual_mov_b32 v56, v128
	v_dual_mov_b32 v45, v105 :: v_dual_mov_b32 v50, v110
	v_dual_mov_b32 v43, v103 :: v_dual_mov_b32 v48, v108
	v_dual_mov_b32 v47, v107 :: v_dual_mov_b32 v40, v100
	v_dual_mov_b32 v41, v101 :: v_dual_mov_b32 v46, v106
	v_dual_mov_b32 v42, v102 :: v_dual_mov_b32 v49, v109
	v_mov_b32_e32 v122, v62
	v_dual_mov_b32 v46, v32 :: v_dual_mov_b32 v119, v59
	v_dual_mov_b32 v118, v58 :: v_dual_mov_b32 v111, v51
	;; [unrolled: 1-line block ×6, first 2 shown]
	v_mov_b32_e32 v112, v52
	v_dual_mov_b32 v98, v50 :: v_dual_mov_b32 v97, v49
	v_dual_mov_b32 v96, v48 :: v_dual_mov_b32 v95, v47
	;; [unrolled: 1-line block ×8, first 2 shown]
	v_mov_b32_e32 v135, v111
	v_dual_mov_b32 v145, v121 :: v_dual_mov_b32 v144, v120
	v_dual_mov_b32 v141, v117 :: v_dual_mov_b32 v140, v116
	v_mov_b32_e32 v143, v9
	v_dual_mov_b32 v139, v115 :: v_dual_mov_b32 v138, v114
	v_dual_mov_b32 v137, v113 :: v_dual_mov_b32 v136, v112
	s_clause 0x5
	scratch_store_b128 off, v[63:66], off offset:48
	scratch_store_b128 off, v[67:70], off offset:64
	;; [unrolled: 1-line block ×6, first 2 shown]
	v_dual_mov_b32 v63, v87 :: v_dual_mov_b32 v68, v92
	v_mov_b32_e32 v64, v88
	v_dual_mov_b32 v66, v90 :: v_dual_mov_b32 v75, v135
	v_dual_mov_b32 v78, v138 :: v_dual_mov_b32 v67, v91
	;; [unrolled: 1-line block ×14, first 2 shown]
.LBB198_33:
	s_or_b32 exec_lo, exec_lo, s2
	v_mov_b32_e32 v1, v18
	s_mov_b32 s2, exec_lo
	v_cmpx_lt_f32_e32 v2, v18
	s_cbranch_execz .LBB198_35
; %bb.34:
	s_clause 0x2
	scratch_load_b128 v[37:40], off, off offset:144
	scratch_load_b128 v[41:44], off, off offset:160
	;; [unrolled: 1-line block ×3, first 2 shown]
	s_waitcnt vmcnt(0)
	v_dual_mov_b32 v17, v18 :: v_dual_mov_b32 v170, v48
	v_dual_mov_b32 v169, v47 :: v_dual_mov_b32 v162, v40
	;; [unrolled: 1-line block ×6, first 2 shown]
	s_clause 0x2
	scratch_load_b128 v[37:40], off, off offset:48
	scratch_load_b128 v[41:44], off, off offset:64
	;; [unrolled: 1-line block ×3, first 2 shown]
	v_dual_mov_b32 v163, v30 :: v_dual_mov_b32 v30, v29
	s_waitcnt vmcnt(0)
	v_mov_b32_e32 v74, v48
	v_dual_mov_b32 v66, v40 :: v_dual_mov_b32 v63, v37
	v_dual_mov_b32 v73, v47 :: v_dual_mov_b32 v64, v38
	;; [unrolled: 1-line block ×5, first 2 shown]
	v_mov_b32_e32 v69, v43
	v_dual_mov_b32 v67, v6 :: v_dual_mov_b32 v148, v160
	v_dual_mov_b32 v134, v74 :: v_dual_mov_b32 v133, v73
	;; [unrolled: 1-line block ×12, first 2 shown]
	v_mov_b32_e32 v128, v5
	v_dual_mov_b32 v152, v29 :: v_dual_mov_b32 v51, v123
	v_dual_mov_b32 v99, v147 :: v_dual_mov_b32 v108, v156
	v_dual_mov_b32 v109, v157 :: v_dual_mov_b32 v110, v158
	v_dual_mov_b32 v53, v125 :: v_dual_mov_b32 v62, v134
	v_dual_mov_b32 v100, v148 :: v_dual_mov_b32 v101, v149
	v_dual_mov_b32 v102, v150 :: v_dual_mov_b32 v103, v151
	v_dual_mov_b32 v104, v152 :: v_dual_mov_b32 v105, v153
	v_dual_mov_b32 v106, v154 :: v_dual_mov_b32 v107, v155
	v_dual_mov_b32 v52, v124 :: v_dual_mov_b32 v55, v127
	v_dual_mov_b32 v54, v126 :: v_dual_mov_b32 v57, v129
	v_dual_mov_b32 v56, v128 :: v_dual_mov_b32 v59, v131
	v_dual_mov_b32 v60, v132 :: v_dual_mov_b32 v105, v31
	v_dual_mov_b32 v58, v130 :: v_dual_mov_b32 v61, v133
	v_mov_b32_e32 v57, v7
	v_dual_mov_b32 v39, v99 :: v_dual_mov_b32 v40, v100
	v_dual_mov_b32 v49, v109 :: v_dual_mov_b32 v50, v110
	s_delay_alu instid0(VALU_DEP_4)
	v_dual_mov_b32 v122, v62 :: v_dual_mov_b32 v121, v61
	v_dual_mov_b32 v43, v103 :: v_dual_mov_b32 v44, v104
	v_dual_mov_b32 v47, v107 :: v_dual_mov_b32 v48, v108
	v_dual_mov_b32 v120, v60 :: v_dual_mov_b32 v119, v59
	v_dual_mov_b32 v116, v56 :: v_dual_mov_b32 v115, v55
	v_dual_mov_b32 v112, v52 :: v_dual_mov_b32 v111, v51
	v_dual_mov_b32 v41, v101 :: v_dual_mov_b32 v42, v102
	v_dual_mov_b32 v45, v105 :: v_dual_mov_b32 v46, v106
	v_dual_mov_b32 v118, v58 :: v_dual_mov_b32 v117, v57
	v_dual_mov_b32 v114, v54 :: v_dual_mov_b32 v113, v53
	v_mov_b32_e32 v46, v32
	v_mov_b32_e32 v118, v8
	v_dual_mov_b32 v98, v50 :: v_dual_mov_b32 v93, v45
	v_dual_mov_b32 v97, v49 :: v_dual_mov_b32 v146, v122
	;; [unrolled: 1-line block ×13, first 2 shown]
	v_mov_b32_e32 v137, v113
	s_clause 0x2
	scratch_store_b128 off, v[63:66], off
	scratch_store_b128 off, v[67:70], off offset:16
	scratch_store_b128 off, v[71:74], off offset:32
	v_dual_mov_b32 v63, v87 :: v_dual_mov_b32 v66, v90
	v_dual_mov_b32 v75, v135 :: v_dual_mov_b32 v78, v138
	v_dual_mov_b32 v69, v93 :: v_dual_mov_b32 v72, v96
	v_dual_mov_b32 v71, v95 :: v_dual_mov_b32 v74, v98
	v_dual_mov_b32 v73, v97 :: v_dual_mov_b32 v76, v136
	v_dual_mov_b32 v81, v141 :: v_dual_mov_b32 v84, v144
	v_dual_mov_b32 v83, v143 :: v_dual_mov_b32 v86, v146
	v_dual_mov_b32 v85, v145 :: v_dual_mov_b32 v72, v34
	v_dual_mov_b32 v1, v2 :: v_dual_mov_b32 v64, v88
	v_dual_mov_b32 v65, v89 :: v_dual_mov_b32 v68, v92
	v_dual_mov_b32 v67, v91 :: v_dual_mov_b32 v70, v94
	v_dual_mov_b32 v77, v137 :: v_dual_mov_b32 v80, v140
	v_dual_mov_b32 v79, v139 :: v_dual_mov_b32 v82, v142
	v_dual_mov_b32 v73, v35 :: v_dual_mov_b32 v74, v36
	v_dual_mov_b32 v84, v10 :: v_dual_mov_b32 v85, v11
	v_mov_b32_e32 v86, v12
	v_mov_b32_e32 v6, v5
.LBB198_35:
	s_or_b32 exec_lo, exec_lo, s2
	v_mov_b32_e32 v2, v19
	s_mov_b32 s2, exec_lo
	v_cmpx_lt_f32_e32 v1, v19
	s_cbranch_execz .LBB198_37
; %bb.36:
	s_clause 0x2
	scratch_load_b128 v[37:40], off, off
	scratch_load_b128 v[41:44], off, off offset:16
	scratch_load_b128 v[45:48], off, off offset:32
	v_mov_b32_e32 v164, v31
	v_dual_mov_b32 v2, v1 :: v_dual_mov_b32 v31, v30
	v_mov_b32_e32 v18, v19
	s_waitcnt vmcnt(0)
	v_dual_mov_b32 v134, v48 :: v_dual_mov_b32 v133, v47
	v_dual_mov_b32 v130, v44 :: v_dual_mov_b32 v127, v41
	v_dual_mov_b32 v124, v38 :: v_dual_mov_b32 v123, v37
	v_dual_mov_b32 v132, v46 :: v_dual_mov_b32 v129, v43
	v_dual_mov_b32 v131, v45 :: v_dual_mov_b32 v128, v7
	v_dual_mov_b32 v126, v40 :: v_dual_mov_b32 v125, v39
	v_dual_mov_b32 v99, v159 :: v_dual_mov_b32 v100, v160
	v_dual_mov_b32 v101, v161 :: v_dual_mov_b32 v110, v170
	v_dual_mov_b32 v51, v123 :: v_dual_mov_b32 v104, v164
	v_dual_mov_b32 v105, v165 :: v_dual_mov_b32 v56, v128
	v_dual_mov_b32 v57, v129 :: v_dual_mov_b32 v102, v162
	v_dual_mov_b32 v103, v163 :: v_dual_mov_b32 v106, v166
	v_dual_mov_b32 v107, v167 :: v_dual_mov_b32 v108, v168
	v_dual_mov_b32 v109, v169 :: v_dual_mov_b32 v52, v124
	v_dual_mov_b32 v53, v125 :: v_dual_mov_b32 v54, v126
	v_dual_mov_b32 v55, v127 :: v_dual_mov_b32 v58, v130
	v_dual_mov_b32 v59, v131 :: v_dual_mov_b32 v60, v132
	v_mov_b32_e32 v61, v133
	v_mov_b32_e32 v57, v6
	;; [unrolled: 1-line block ×3, first 2 shown]
	v_dual_mov_b32 v62, v134 :: v_dual_mov_b32 v39, v99
	v_dual_mov_b32 v147, v159 :: v_dual_mov_b32 v148, v160
	s_delay_alu instid0(VALU_DEP_2)
	v_dual_mov_b32 v149, v161 :: v_dual_mov_b32 v122, v62
	v_dual_mov_b32 v120, v60 :: v_dual_mov_b32 v49, v109
	v_mov_b32_e32 v50, v110
	v_dual_mov_b32 v40, v100 :: v_dual_mov_b32 v119, v59
	v_dual_mov_b32 v118, v58 :: v_dual_mov_b32 v115, v55
	;; [unrolled: 1-line block ×6, first 2 shown]
	v_mov_b32_e32 v121, v61
	v_dual_mov_b32 v117, v57 :: v_dual_mov_b32 v116, v56
	v_dual_mov_b32 v113, v53 :: v_dual_mov_b32 v112, v52
	;; [unrolled: 1-line block ×3, first 2 shown]
	v_mov_b32_e32 v46, v32
	v_mov_b32_e32 v118, v8
	v_dual_mov_b32 v98, v50 :: v_dual_mov_b32 v95, v47
	v_dual_mov_b32 v97, v49 :: v_dual_mov_b32 v146, v122
	;; [unrolled: 1-line block ×4, first 2 shown]
	v_mov_b32_e32 v87, v39
	v_dual_mov_b32 v143, v9 :: v_dual_mov_b32 v96, v48
	v_dual_mov_b32 v93, v45 :: v_dual_mov_b32 v88, v40
	;; [unrolled: 1-line block ×8, first 2 shown]
	v_mov_b32_e32 v137, v113
	v_dual_mov_b32 v75, v135 :: v_dual_mov_b32 v78, v138
	v_dual_mov_b32 v63, v87 :: v_dual_mov_b32 v66, v90
	;; [unrolled: 1-line block ×14, first 2 shown]
	v_mov_b32_e32 v74, v36
	v_dual_mov_b32 v84, v10 :: v_dual_mov_b32 v85, v11
	v_dual_mov_b32 v150, v162 :: v_dual_mov_b32 v151, v163
	;; [unrolled: 1-line block ×5, first 2 shown]
	v_mov_b32_e32 v158, v170
	v_mov_b32_e32 v7, v6
.LBB198_37:
	s_or_b32 exec_lo, exec_lo, s2
	v_mov_b32_e32 v1, v20
	s_mov_b32 s2, exec_lo
	v_cmpx_lt_f32_e32 v2, v20
	s_cbranch_execz .LBB198_39
; %bb.38:
	v_mov_b32_e32 v129, v8
	v_mov_b32_e32 v153, v32
	v_dual_mov_b32 v111, v123 :: v_dual_mov_b32 v114, v126
	v_dual_mov_b32 v39, v147 :: v_dual_mov_b32 v40, v148
	;; [unrolled: 1-line block ×10, first 2 shown]
	v_mov_b32_e32 v120, v132
	v_dual_mov_b32 v116, v128 :: v_dual_mov_b32 v121, v133
	v_mov_b32_e32 v46, v31
	v_dual_mov_b32 v119, v131 :: v_dual_mov_b32 v98, v50
	v_dual_mov_b32 v118, v7 :: v_dual_mov_b32 v97, v49
	;; [unrolled: 1-line block ×13, first 2 shown]
	v_mov_b32_e32 v95, v33
	v_dual_mov_b32 v19, v20 :: v_dual_mov_b32 v20, v2
	v_mov_b32_e32 v143, v9
	v_dual_mov_b32 v63, v87 :: v_dual_mov_b32 v68, v92
	v_dual_mov_b32 v64, v88 :: v_dual_mov_b32 v75, v135
	;; [unrolled: 1-line block ×11, first 2 shown]
	v_mov_b32_e32 v70, v94
	v_dual_mov_b32 v66, v90 :: v_dual_mov_b32 v71, v95
	v_dual_mov_b32 v76, v136 :: v_dual_mov_b32 v77, v137
	;; [unrolled: 1-line block ×15, first 2 shown]
	v_mov_b32_e32 v110, v158
	v_dual_mov_b32 v1, v2 :: v_dual_mov_b32 v8, v7
	v_mov_b32_e32 v32, v31
.LBB198_39:
	s_or_b32 exec_lo, exec_lo, s2
	v_mov_b32_e32 v2, v21
	s_mov_b32 s2, exec_lo
	v_cmpx_lt_f32_e32 v1, v21
	s_cbranch_execz .LBB198_41
; %bb.40:
	v_mov_b32_e32 v58, v9
	v_mov_b32_e32 v106, v33
	v_dual_mov_b32 v146, v62 :: v_dual_mov_b32 v143, v59
	v_mov_b32_e32 v87, v99
	s_delay_alu instid0(VALU_DEP_3)
	v_dual_mov_b32 v141, v57 :: v_dual_mov_b32 v94, v106
	v_dual_mov_b32 v95, v107 :: v_dual_mov_b32 v140, v56
	v_dual_mov_b32 v135, v51 :: v_dual_mov_b32 v96, v108
	v_dual_mov_b32 v97, v109 :: v_dual_mov_b32 v98, v110
	v_dual_mov_b32 v145, v61 :: v_dual_mov_b32 v144, v60
	v_dual_mov_b32 v139, v55 :: v_dual_mov_b32 v138, v54
	v_mov_b32_e32 v95, v32
	v_dual_mov_b32 v143, v8 :: v_dual_mov_b32 v20, v21
	v_dual_mov_b32 v88, v100 :: v_dual_mov_b32 v89, v101
	v_dual_mov_b32 v90, v102 :: v_dual_mov_b32 v91, v103
	v_dual_mov_b32 v92, v104 :: v_dual_mov_b32 v93, v105
	v_dual_mov_b32 v142, v58 :: v_dual_mov_b32 v137, v53
	v_dual_mov_b32 v136, v52 :: v_dual_mov_b32 v21, v1
	v_dual_mov_b32 v63, v87 :: v_dual_mov_b32 v64, v88
	s_delay_alu instid0(VALU_DEP_2)
	v_dual_mov_b32 v75, v135 :: v_dual_mov_b32 v76, v136
	v_dual_mov_b32 v122, v62 :: v_dual_mov_b32 v117, v57
	;; [unrolled: 1-line block ×25, first 2 shown]
	v_mov_b32_e32 v48, v108
	v_dual_mov_b32 v50, v110 :: v_dual_mov_b32 v9, v8
	v_dual_mov_b32 v2, v1 :: v_dual_mov_b32 v33, v32
.LBB198_41:
	s_or_b32 exec_lo, exec_lo, s2
	v_mov_b32_e32 v3, v22
	s_mov_b32 s2, exec_lo
	s_delay_alu instid0(VALU_DEP_2)
	v_cmpx_lt_f32_e32 v2, v22
	s_cbranch_execz .LBB198_43
; %bb.42:
	v_mov_b32_e32 v47, v34
	v_mov_b32_e32 v74, v50
	v_dual_mov_b32 v21, v22 :: v_dual_mov_b32 v72, v48
	v_dual_mov_b32 v72, v33 :: v_dual_mov_b32 v119, v10
	;; [unrolled: 1-line block ×3, first 2 shown]
	v_mov_b32_e32 v78, v114
	v_dual_mov_b32 v22, v2 :: v_dual_mov_b32 v73, v49
	v_dual_mov_b32 v81, v117 :: v_dual_mov_b32 v84, v120
	v_dual_mov_b32 v83, v119 :: v_dual_mov_b32 v86, v122
	v_dual_mov_b32 v85, v121 :: v_dual_mov_b32 v86, v12
	v_dual_mov_b32 v146, v122 :: v_dual_mov_b32 v145, v121
	v_dual_mov_b32 v98, v50 :: v_dual_mov_b32 v97, v49
	v_dual_mov_b32 v71, v47 :: v_dual_mov_b32 v70, v46
	v_mov_b32_e32 v69, v45
	v_dual_mov_b32 v67, v43 :: v_dual_mov_b32 v66, v42
	v_dual_mov_b32 v65, v41 :: v_dual_mov_b32 v64, v40
	;; [unrolled: 1-line block ×18, first 2 shown]
	v_mov_b32_e32 v34, v33
.LBB198_43:
	s_or_b32 exec_lo, exec_lo, s2
	v_mov_b32_e32 v1, v23
	s_mov_b32 s2, exec_lo
	v_cmpx_lt_f32_e32 v3, v23
	s_cbranch_execz .LBB198_45
; %bb.44:
	v_dual_mov_b32 v144, v11 :: v_dual_mov_b32 v145, v10
	v_dual_mov_b32 v96, v35 :: v_dual_mov_b32 v97, v34
	v_mov_b32_e32 v146, v12
	v_mov_b32_e32 v22, v23
	v_dual_mov_b32 v23, v3 :: v_dual_mov_b32 v98, v36
	v_dual_mov_b32 v75, v135 :: v_dual_mov_b32 v84, v144
	;; [unrolled: 1-line block ×3, first 2 shown]
	v_mov_b32_e32 v79, v139
	v_dual_mov_b32 v77, v137 :: v_dual_mov_b32 v78, v138
	v_dual_mov_b32 v81, v141 :: v_dual_mov_b32 v80, v140
	;; [unrolled: 1-line block ×10, first 2 shown]
.LBB198_45:
	s_or_b32 exec_lo, exec_lo, s2
	s_delay_alu instid0(VALU_DEP_1)
	v_cmp_lt_f32_e32 vcc_lo, v1, v24
	v_mov_b32_e32 v42, v78
	v_cmp_lt_f32_e64 s2, v13, v14
	v_dual_mov_b32 v40, v76 :: v_dual_mov_b32 v41, v77
	v_dual_cndmask_b32 v12, v24, v1 :: v_dual_mov_b32 v43, v79
	v_dual_cndmask_b32 v23, v23, v24 :: v_dual_cndmask_b32 v50, v86, v85
	s_delay_alu instid0(VALU_DEP_2) | instskip(SKIP_2) | instid1(VALU_DEP_3)
	v_dual_mov_b32 v39, v75 :: v_dual_mov_b32 v24, v12
	v_dual_cndmask_b32 v49, v85, v86 :: v_dual_mov_b32 v44, v80
	v_dual_cndmask_b32 v61, v73, v74 :: v_dual_cndmask_b32 v62, v74, v73
	v_dual_mov_b32 v38, v24 :: v_dual_mov_b32 v35, v21
	v_dual_mov_b32 v37, v23 :: v_dual_mov_b32 v36, v22
	;; [unrolled: 1-line block ×13, first 2 shown]
	s_and_saveexec_b32 s3, s2
	s_delay_alu instid0(SALU_CYCLE_1)
	s_xor_b32 s2, exec_lo, s3
	s_cbranch_execz .LBB198_47
; %bb.46:
	v_dual_mov_b32 v1, v14 :: v_dual_mov_b32 v2, v13
	v_dual_mov_b32 v3, v15 :: v_dual_mov_b32 v4, v16
	;; [unrolled: 1-line block ×6, first 2 shown]
	s_delay_alu instid0(VALU_DEP_2) | instskip(NEXT) | instid1(VALU_DEP_2)
	v_dual_mov_b32 v38, v12 :: v_dual_mov_b32 v35, v9
	v_dual_mov_b32 v36, v10 :: v_dual_mov_b32 v37, v11
	;; [unrolled: 1-line block ×16, first 2 shown]
.LBB198_47:
	s_or_b32 exec_lo, exec_lo, s2
	v_dual_mov_b32 v13, v29 :: v_dual_mov_b32 v122, v50
	v_dual_mov_b32 v15, v39 :: v_dual_mov_b32 v16, v40
	;; [unrolled: 1-line block ×30, first 2 shown]
	v_mov_b32_e32 v135, v39
	s_clause 0x2
	scratch_store_b128 off, v[39:42], off offset:48
	scratch_store_b128 off, v[43:46], off offset:64
	scratch_store_b128 off, v[47:50], off offset:80
	v_dual_mov_b32 v1, v51 :: v_dual_mov_b32 v4, v54
	v_dual_mov_b32 v11, v61 :: v_dual_mov_b32 v74, v62
	;; [unrolled: 1-line block ×34, first 2 shown]
	v_mov_b32_e32 v159, v51
	s_mov_b32 s2, exec_lo
	v_dual_mov_b32 v73, v61 :: v_dual_mov_b32 v72, v60
	v_mov_b32_e32 v2, v52
	s_clause 0x2
	scratch_store_b128 off, v[51:54], off
	scratch_store_b128 off, v[55:58], off offset:16
	scratch_store_b128 off, v[59:62], off offset:32
	v_dual_mov_b32 v182, v50 :: v_dual_mov_b32 v181, v49
	v_dual_mov_b32 v180, v48 :: v_dual_mov_b32 v179, v47
	;; [unrolled: 1-line block ×6, first 2 shown]
	v_cmpx_lt_f32_e32 v14, v29
	s_cbranch_execz .LBB198_49
; %bb.48:
	v_dual_mov_b32 v170, v62 :: v_dual_mov_b32 v169, v61
	v_dual_mov_b32 v162, v54 :: v_dual_mov_b32 v161, v53
	;; [unrolled: 1-line block ×7, first 2 shown]
	s_clause 0x2
	scratch_store_b128 off, v[159:162], off
	scratch_store_b128 off, v[163:166], off offset:16
	scratch_store_b128 off, v[167:170], off offset:32
	v_dual_mov_b32 v182, v50 :: v_dual_mov_b32 v181, v49
	v_dual_mov_b32 v172, v40 :: v_dual_mov_b32 v171, v39
	;; [unrolled: 1-line block ×8, first 2 shown]
	s_delay_alu instid0(VALU_DEP_3)
	v_dual_mov_b32 v140, v176 :: v_dual_mov_b32 v141, v177
	v_dual_mov_b32 v138, v174 :: v_dual_mov_b32 v139, v175
	;; [unrolled: 1-line block ×3, first 2 shown]
	v_mov_b32_e32 v146, v182
	v_dual_mov_b32 v136, v172 :: v_dual_mov_b32 v137, v173
	v_mov_b32_e32 v138, v42
	v_dual_mov_b32 v142, v178 :: v_dual_mov_b32 v143, v179
	v_mov_b32_e32 v53, v52
	v_mov_b32_e32 v139, v43
	;; [unrolled: 1-line block ×3, first 2 shown]
	v_dual_mov_b32 v147, v159 :: v_dual_mov_b32 v148, v160
	v_mov_b32_e32 v151, v163
	v_dual_mov_b32 v149, v161 :: v_dual_mov_b32 v150, v162
	v_dual_mov_b32 v153, v165 :: v_dual_mov_b32 v152, v164
	;; [unrolled: 1-line block ×16, first 2 shown]
	v_mov_b32_e32 v122, v146
	v_dual_mov_b32 v114, v138 :: v_dual_mov_b32 v117, v141
	v_dual_mov_b32 v116, v140 :: v_dual_mov_b32 v119, v143
	;; [unrolled: 1-line block ×14, first 2 shown]
	v_mov_b32_e32 v82, v118
	v_dual_mov_b32 v76, v112 :: v_dual_mov_b32 v81, v117
	v_dual_mov_b32 v80, v116 :: v_dual_mov_b32 v85, v121
	;; [unrolled: 1-line block ×6, first 2 shown]
	v_mov_b32_e32 v81, v45
	v_dual_mov_b32 v65, v89 :: v_dual_mov_b32 v72, v96
	v_mov_b32_e32 v29, v14
	s_delay_alu instid0(VALU_DEP_3)
	v_dual_mov_b32 v110, v86 :: v_dual_mov_b32 v105, v81
	v_dual_mov_b32 v70, v94 :: v_dual_mov_b32 v73, v97
	v_dual_mov_b32 v106, v82 :: v_dual_mov_b32 v103, v79
	v_dual_mov_b32 v102, v78 :: v_dual_mov_b32 v99, v75
	v_dual_mov_b32 v64, v88 :: v_dual_mov_b32 v67, v91
	v_dual_mov_b32 v66, v90 :: v_dual_mov_b32 v69, v93
	v_dual_mov_b32 v68, v92 :: v_dual_mov_b32 v71, v95
	v_dual_mov_b32 v74, v98 :: v_dual_mov_b32 v109, v85
	v_dual_mov_b32 v70, v58 :: v_dual_mov_b32 v107, v83
	v_dual_mov_b32 v13, v14 :: v_dual_mov_b32 v108, v84
	v_dual_mov_b32 v104, v80 :: v_dual_mov_b32 v101, v77
	v_mov_b32_e32 v106, v46
	s_clause 0x2
	scratch_store_b128 off, v[1:4], off offset:48
	scratch_store_b128 off, v[5:8], off offset:64
	;; [unrolled: 1-line block ×3, first 2 shown]
	v_dual_mov_b32 v100, v76 :: v_dual_mov_b32 v1, v63
	v_dual_mov_b32 v10, v72 :: v_dual_mov_b32 v3, v65
	;; [unrolled: 1-line block ×16, first 2 shown]
	v_mov_b32_e32 v26, v50
.LBB198_49:
	s_or_b32 exec_lo, exec_lo, s2
	v_mov_b32_e32 v14, v30
	s_mov_b32 s2, exec_lo
	v_cmpx_lt_f32_e32 v13, v30
	s_cbranch_execz .LBB198_51
; %bb.50:
	s_clause 0x2
	scratch_load_b128 v[1:4], off, off
	scratch_load_b128 v[5:8], off, off offset:16
	scratch_load_b128 v[9:12], off, off offset:32
	v_mov_b32_e32 v161, v54
	v_dual_mov_b32 v29, v30 :: v_dual_mov_b32 v30, v13
	v_mov_b32_e32 v54, v53
	s_waitcnt vmcnt(0)
	v_dual_mov_b32 v170, v12 :: v_dual_mov_b32 v169, v11
	v_mov_b32_e32 v162, v4
	v_dual_mov_b32 v162, v53 :: v_dual_mov_b32 v173, v42
	v_dual_mov_b32 v160, v2 :: v_dual_mov_b32 v135, v171
	;; [unrolled: 1-line block ×4, first 2 shown]
	v_mov_b32_e32 v165, v7
	s_delay_alu instid0(VALU_DEP_3)
	v_dual_mov_b32 v1, v159 :: v_dual_mov_b32 v2, v160
	v_dual_mov_b32 v136, v172 :: v_dual_mov_b32 v3, v161
	v_mov_b32_e32 v138, v174
	v_dual_mov_b32 v164, v6 :: v_dual_mov_b32 v163, v5
	s_clause 0x2
	scratch_store_b128 off, v[1:4], off
	scratch_store_b128 off, v[5:8], off offset:16
	scratch_store_b128 off, v[9:12], off offset:32
	v_dual_mov_b32 v137, v173 :: v_dual_mov_b32 v140, v176
	v_dual_mov_b32 v138, v41 :: v_dual_mov_b32 v147, v159
	;; [unrolled: 1-line block ×12, first 2 shown]
	v_mov_b32_e32 v139, v43
	v_dual_mov_b32 v123, v147 :: v_dual_mov_b32 v126, v150
	v_dual_mov_b32 v124, v148 :: v_dual_mov_b32 v111, v135
	;; [unrolled: 1-line block ×3, first 2 shown]
	s_delay_alu instid0(VALU_DEP_4)
	v_dual_mov_b32 v128, v152 :: v_dual_mov_b32 v115, v139
	v_dual_mov_b32 v116, v140 :: v_dual_mov_b32 v121, v145
	v_dual_mov_b32 v122, v146 :: v_dual_mov_b32 v127, v151
	v_dual_mov_b32 v130, v154 :: v_dual_mov_b32 v129, v153
	v_dual_mov_b32 v132, v156 :: v_dual_mov_b32 v131, v155
	v_dual_mov_b32 v134, v158 :: v_dual_mov_b32 v133, v157
	v_mov_b32_e32 v128, v56
	v_dual_mov_b32 v116, v44 :: v_dual_mov_b32 v87, v123
	v_dual_mov_b32 v113, v137 :: v_dual_mov_b32 v114, v138
	;; [unrolled: 1-line block ×17, first 2 shown]
	v_mov_b32_e32 v81, v45
	v_dual_mov_b32 v7, v141 :: v_dual_mov_b32 v8, v142
	v_dual_mov_b32 v9, v143 :: v_dual_mov_b32 v10, v144
	;; [unrolled: 1-line block ×5, first 2 shown]
	v_mov_b32_e32 v64, v88
	v_dual_mov_b32 v110, v86 :: v_dual_mov_b32 v109, v85
	v_dual_mov_b32 v65, v89 :: v_dual_mov_b32 v68, v92
	;; [unrolled: 1-line block ×10, first 2 shown]
	v_mov_b32_e32 v102, v78
	v_dual_mov_b32 v42, v41 :: v_dual_mov_b32 v103, v79
	v_mov_b32_e32 v100, v76
	v_mov_b32_e32 v106, v46
	s_clause 0x2
	scratch_store_b128 off, v[1:4], off offset:48
	scratch_store_b128 off, v[5:8], off offset:64
	;; [unrolled: 1-line block ×3, first 2 shown]
	v_mov_b32_e32 v1, v63
	v_mov_b32_e32 v5, v67
	v_dual_mov_b32 v3, v65 :: v_dual_mov_b32 v12, v74
	v_dual_mov_b32 v15, v99 :: v_dual_mov_b32 v4, v66
	;; [unrolled: 1-line block ×14, first 2 shown]
	v_mov_b32_e32 v24, v48
	v_mov_b32_e32 v26, v50
.LBB198_51:
	s_or_b32 exec_lo, exec_lo, s2
	v_mov_b32_e32 v13, v31
	s_mov_b32 s2, exec_lo
	v_cmpx_lt_f32_e32 v14, v31
	s_cbranch_execz .LBB198_53
; %bb.52:
	s_clause 0x2
	scratch_load_b128 v[1:4], off, off
	scratch_load_b128 v[5:8], off, off offset:16
	scratch_load_b128 v[9:12], off, off offset:32
	v_dual_mov_b32 v30, v31 :: v_dual_mov_b32 v31, v14
	v_dual_mov_b32 v13, v14 :: v_dual_mov_b32 v162, v55
	v_mov_b32_e32 v55, v54
	s_waitcnt vmcnt(2)
	v_dual_mov_b32 v161, v3 :: v_dual_mov_b32 v160, v2
	s_waitcnt vmcnt(0)
	v_dual_mov_b32 v159, v1 :: v_dual_mov_b32 v170, v12
	v_dual_mov_b32 v169, v11 :: v_dual_mov_b32 v168, v10
	;; [unrolled: 1-line block ×8, first 2 shown]
	s_delay_alu instid0(VALU_DEP_4)
	v_dual_mov_b32 v151, v163 :: v_dual_mov_b32 v156, v168
	v_dual_mov_b32 v157, v169 :: v_dual_mov_b32 v136, v172
	;; [unrolled: 1-line block ×8, first 2 shown]
	v_mov_b32_e32 v145, v181
	v_mov_b32_e32 v139, v42
	;; [unrolled: 1-line block ×3, first 2 shown]
	v_dual_mov_b32 v146, v182 :: v_dual_mov_b32 v123, v147
	v_dual_mov_b32 v111, v135 :: v_dual_mov_b32 v112, v136
	;; [unrolled: 1-line block ×3, first 2 shown]
	s_delay_alu instid0(VALU_DEP_4)
	v_dual_mov_b32 v124, v148 :: v_dual_mov_b32 v127, v151
	v_dual_mov_b32 v128, v152 :: v_dual_mov_b32 v131, v155
	;; [unrolled: 1-line block ×9, first 2 shown]
	v_mov_b32_e32 v120, v144
	v_dual_mov_b32 v116, v44 :: v_dual_mov_b32 v87, v123
	v_mov_b32_e32 v114, v138
	v_dual_mov_b32 v98, v134 :: v_dual_mov_b32 v75, v111
	v_dual_mov_b32 v88, v124 :: v_dual_mov_b32 v89, v125
	;; [unrolled: 1-line block ×3, first 2 shown]
	v_mov_b32_e32 v86, v122
	v_dual_mov_b32 v90, v126 :: v_dual_mov_b32 v91, v127
	v_dual_mov_b32 v92, v128 :: v_dual_mov_b32 v93, v129
	;; [unrolled: 1-line block ×8, first 2 shown]
	v_mov_b32_e32 v79, v115
	v_mov_b32_e32 v81, v45
	v_dual_mov_b32 v63, v87 :: v_dual_mov_b32 v66, v90
	v_dual_mov_b32 v64, v88 :: v_dual_mov_b32 v73, v97
	;; [unrolled: 1-line block ×9, first 2 shown]
	v_mov_b32_e32 v108, v84
	v_dual_mov_b32 v106, v46 :: v_dual_mov_b32 v1, v63
	v_dual_mov_b32 v105, v81 :: v_dual_mov_b32 v104, v80
	;; [unrolled: 1-line block ×19, first 2 shown]
	v_mov_b32_e32 v26, v50
	v_mov_b32_e32 v43, v42
	s_clause 0x2
	scratch_store_b128 off, v[171:174], off offset:48
	scratch_store_b128 off, v[175:178], off offset:64
	;; [unrolled: 1-line block ×3, first 2 shown]
.LBB198_53:
	s_or_b32 exec_lo, exec_lo, s2
	v_mov_b32_e32 v14, v32
	s_mov_b32 s2, exec_lo
	v_cmpx_lt_f32_e32 v13, v32
	s_cbranch_execz .LBB198_55
; %bb.54:
	s_clause 0x2
	scratch_load_b128 v[1:4], off, off offset:48
	scratch_load_b128 v[5:8], off, off offset:64
	;; [unrolled: 1-line block ×3, first 2 shown]
	v_dual_mov_b32 v163, v56 :: v_dual_mov_b32 v14, v13
	v_dual_mov_b32 v56, v55 :: v_dual_mov_b32 v31, v32
	s_waitcnt vmcnt(2)
	v_dual_mov_b32 v138, v4 :: v_dual_mov_b32 v137, v3
	s_waitcnt vmcnt(0)
	v_dual_mov_b32 v146, v12 :: v_dual_mov_b32 v145, v11
	v_dual_mov_b32 v136, v2 :: v_dual_mov_b32 v135, v1
	v_dual_mov_b32 v143, v9 :: v_dual_mov_b32 v142, v8
	v_dual_mov_b32 v144, v10 :: v_dual_mov_b32 v141, v7
	v_dual_mov_b32 v140, v6 :: v_dual_mov_b32 v139, v44
	v_dual_mov_b32 v123, v159 :: v_dual_mov_b32 v124, v160
	v_dual_mov_b32 v125, v161 :: v_dual_mov_b32 v128, v164
	v_dual_mov_b32 v126, v162 :: v_dual_mov_b32 v131, v167
	v_dual_mov_b32 v134, v170 :: v_dual_mov_b32 v111, v135
	v_dual_mov_b32 v114, v138 :: v_dual_mov_b32 v129, v165
	v_dual_mov_b32 v132, v168 :: v_dual_mov_b32 v133, v169
	v_dual_mov_b32 v112, v136 :: v_dual_mov_b32 v119, v143
	v_dual_mov_b32 v122, v146 :: v_dual_mov_b32 v127, v163
	v_dual_mov_b32 v130, v166 :: v_dual_mov_b32 v113, v137
	v_dual_mov_b32 v116, v140 :: v_dual_mov_b32 v115, v139
	v_dual_mov_b32 v118, v142 :: v_dual_mov_b32 v121, v145
	v_dual_mov_b32 v128, v55 :: v_dual_mov_b32 v117, v141
	v_mov_b32_e32 v120, v144
	v_mov_b32_e32 v116, v43
	v_dual_mov_b32 v87, v123 :: v_dual_mov_b32 v88, v124
	v_dual_mov_b32 v89, v125 :: v_dual_mov_b32 v98, v134
	;; [unrolled: 1-line block ×12, first 2 shown]
	v_mov_b32_e32 v79, v115
	v_mov_b32_e32 v81, v45
	v_dual_mov_b32 v63, v87 :: v_dual_mov_b32 v66, v90
	v_dual_mov_b32 v64, v88 :: v_dual_mov_b32 v73, v97
	;; [unrolled: 1-line block ×8, first 2 shown]
	v_mov_b32_e32 v70, v58
	v_dual_mov_b32 v106, v46 :: v_dual_mov_b32 v65, v89
	v_dual_mov_b32 v68, v92 :: v_dual_mov_b32 v105, v81
	;; [unrolled: 1-line block ×4, first 2 shown]
	v_mov_b32_e32 v100, v76
	v_dual_mov_b32 v32, v13 :: v_dual_mov_b32 v1, v63
	v_dual_mov_b32 v12, v74 :: v_dual_mov_b32 v15, v99
	v_mov_b32_e32 v26, v110
	v_dual_mov_b32 v8, v70 :: v_dual_mov_b32 v9, v71
	v_dual_mov_b32 v10, v72 :: v_dual_mov_b32 v11, v73
	;; [unrolled: 1-line block ×20, first 2 shown]
	v_mov_b32_e32 v44, v43
.LBB198_55:
	s_or_b32 exec_lo, exec_lo, s2
	v_mov_b32_e32 v13, v33
	s_mov_b32 s2, exec_lo
	v_cmpx_lt_f32_e32 v14, v33
	s_cbranch_execz .LBB198_57
; %bb.56:
	v_mov_b32_e32 v140, v45
	v_dual_mov_b32 v152, v57 :: v_dual_mov_b32 v75, v135
	v_dual_mov_b32 v87, v147 :: v_dual_mov_b32 v90, v150
	;; [unrolled: 1-line block ×3, first 2 shown]
	s_delay_alu instid0(VALU_DEP_3)
	v_dual_mov_b32 v92, v152 :: v_dual_mov_b32 v93, v153
	v_dual_mov_b32 v76, v136 :: v_dual_mov_b32 v79, v139
	;; [unrolled: 1-line block ×6, first 2 shown]
	v_mov_b32_e32 v93, v56
	v_dual_mov_b32 v84, v144 :: v_dual_mov_b32 v63, v87
	v_dual_mov_b32 v78, v138 :: v_dual_mov_b32 v81, v141
	;; [unrolled: 1-line block ×5, first 2 shown]
	s_delay_alu instid0(VALU_DEP_3) | instskip(SKIP_1) | instid1(VALU_DEP_4)
	v_dual_mov_b32 v110, v86 :: v_dual_mov_b32 v109, v85
	v_dual_mov_b32 v100, v76 :: v_dual_mov_b32 v99, v75
	;; [unrolled: 1-line block ×11, first 2 shown]
	v_mov_b32_e32 v106, v46
	v_dual_mov_b32 v70, v58 :: v_dual_mov_b32 v15, v99
	v_dual_mov_b32 v1, v63 :: v_dual_mov_b32 v24, v108
	;; [unrolled: 1-line block ×3, first 2 shown]
	s_delay_alu instid0(VALU_DEP_3)
	v_dual_mov_b32 v8, v70 :: v_dual_mov_b32 v9, v71
	v_dual_mov_b32 v10, v72 :: v_dual_mov_b32 v11, v73
	;; [unrolled: 1-line block ×26, first 2 shown]
	v_mov_b32_e32 v13, v14
	v_dual_mov_b32 v134, v158 :: v_dual_mov_b32 v45, v44
	v_mov_b32_e32 v57, v56
.LBB198_57:
	s_or_b32 exec_lo, exec_lo, s2
	v_mov_b32_e32 v14, v34
	s_mov_b32 s2, exec_lo
	v_cmpx_lt_f32_e32 v13, v34
	s_cbranch_execz .LBB198_59
; %bb.58:
	v_mov_b32_e32 v129, v58
	v_dual_mov_b32 v63, v123 :: v_dual_mov_b32 v70, v130
	v_dual_mov_b32 v70, v57 :: v_dual_mov_b32 v71, v131
	;; [unrolled: 1-line block ×22, first 2 shown]
	v_mov_b32_e32 v34, v13
	v_dual_mov_b32 v3, v65 :: v_dual_mov_b32 v4, v66
	v_dual_mov_b32 v5, v67 :: v_dual_mov_b32 v6, v68
	v_dual_mov_b32 v7, v69 :: v_dual_mov_b32 v8, v70
	v_dual_mov_b32 v9, v59 :: v_dual_mov_b32 v10, v60
	v_dual_mov_b32 v11, v61 :: v_dual_mov_b32 v12, v62
	v_dual_mov_b32 v17, v101 :: v_dual_mov_b32 v18, v102
	v_dual_mov_b32 v19, v103 :: v_dual_mov_b32 v20, v104
	v_dual_mov_b32 v21, v105 :: v_dual_mov_b32 v22, v106
	v_dual_mov_b32 v23, v47 :: v_dual_mov_b32 v24, v48
	v_dual_mov_b32 v25, v49 :: v_dual_mov_b32 v26, v50
	v_dual_mov_b32 v77, v113 :: v_dual_mov_b32 v78, v114
	v_dual_mov_b32 v79, v115 :: v_dual_mov_b32 v80, v116
	v_dual_mov_b32 v81, v117 :: v_dual_mov_b32 v82, v118
	v_dual_mov_b32 v83, v119 :: v_dual_mov_b32 v84, v120
	v_dual_mov_b32 v85, v121 :: v_dual_mov_b32 v86, v122
	v_dual_mov_b32 v89, v125 :: v_dual_mov_b32 v90, v126
	v_dual_mov_b32 v91, v127 :: v_dual_mov_b32 v92, v128
	v_dual_mov_b32 v93, v129 :: v_dual_mov_b32 v94, v130
	v_dual_mov_b32 v95, v131 :: v_dual_mov_b32 v96, v132
	v_dual_mov_b32 v97, v133 :: v_dual_mov_b32 v98, v134
	v_mov_b32_e32 v14, v13
	v_mov_b32_e32 v46, v45
	;; [unrolled: 1-line block ×3, first 2 shown]
.LBB198_59:
	s_or_b32 exec_lo, exec_lo, s2
	v_mov_b32_e32 v13, v35
	s_mov_b32 s2, exec_lo
	v_cmpx_lt_f32_e32 v14, v35
	s_cbranch_execz .LBB198_61
; %bb.60:
	v_mov_b32_e32 v94, v59
	v_dual_mov_b32 v34, v35 :: v_dual_mov_b32 v35, v14
	v_mov_b32_e32 v82, v47
	v_dual_mov_b32 v1, v87 :: v_dual_mov_b32 v2, v88
	v_dual_mov_b32 v10, v96 :: v_dual_mov_b32 v7, v93
	;; [unrolled: 1-line block ×13, first 2 shown]
	v_mov_b32_e32 v5, v91
	v_mov_b32_e32 v9, v58
	v_dual_mov_b32 v12, v62 :: v_dual_mov_b32 v17, v77
	v_dual_mov_b32 v16, v76 :: v_dual_mov_b32 v19, v79
	;; [unrolled: 1-line block ×14, first 2 shown]
	v_mov_b32_e32 v47, v46
	v_mov_b32_e32 v59, v58
	;; [unrolled: 1-line block ×3, first 2 shown]
.LBB198_61:
	s_or_b32 exec_lo, exec_lo, s2
	v_mov_b32_e32 v39, v36
	s_mov_b32 s2, exec_lo
	v_cmpx_lt_f32_e32 v13, v36
	s_cbranch_execz .LBB198_63
; %bb.62:
	v_dual_mov_b32 v71, v60 :: v_dual_mov_b32 v72, v59
	v_dual_mov_b32 v73, v61 :: v_dual_mov_b32 v108, v47
	;; [unrolled: 1-line block ×17, first 2 shown]
	v_mov_b32_e32 v39, v13
.LBB198_63:
	s_or_b32 exec_lo, exec_lo, s2
	s_delay_alu instid0(VALU_DEP_1)
	v_cmp_lt_f32_e32 vcc_lo, v39, v37
	v_dual_mov_b32 v40, v28 :: v_dual_mov_b32 v43, v31
	v_dual_mov_b32 v42, v30 :: v_dual_mov_b32 v45, v33
	v_dual_cndmask_b32 v13, v25, v24 :: v_dual_cndmask_b32 v24, v24, v25
	v_dual_cndmask_b32 v14, v11, v10 :: v_dual_cndmask_b32 v49, v37, v39
	v_dual_cndmask_b32 v10, v10, v11 :: v_dual_mov_b32 v39, v27
	v_dual_cndmask_b32 v48, v36, v37 :: v_dual_mov_b32 v41, v29
	v_dual_mov_b32 v44, v32 :: v_dual_mov_b32 v47, v35
	v_mov_b32_e32 v46, v34
	v_mov_b32_e32 v50, v38
	s_mov_b32 s2, exec_lo
	v_cmpx_lt_f32_e32 v27, v28
	s_cbranch_execz .LBB198_65
; %bb.64:
	v_dual_mov_b32 v28, v40 :: v_dual_mov_b32 v29, v39
	v_dual_mov_b32 v38, v49 :: v_dual_mov_b32 v39, v50
	;; [unrolled: 1-line block ×7, first 2 shown]
	v_mov_b32_e32 v11, v15
	v_swap_b32 v15, v16
	s_delay_alu instid0(VALU_DEP_4)
	v_mov_b32_e32 v48, v37
	v_swap_b32 v1, v2
	v_dual_mov_b32 v49, v38 :: v_dual_mov_b32 v46, v35
	v_dual_mov_b32 v47, v36 :: v_dual_mov_b32 v44, v33
	;; [unrolled: 1-line block ×4, first 2 shown]
	v_mov_b32_e32 v41, v30
	v_dual_mov_b32 v39, v28 :: v_dual_mov_b32 v28, v27
.LBB198_65:
	s_or_b32 exec_lo, exec_lo, s2
	v_mov_b32_e32 v11, v14
	v_dual_mov_b32 v25, v13 :: v_dual_mov_b32 v62, v12
	v_dual_mov_b32 v74, v26 :: v_dual_mov_b32 v63, v15
	v_mov_b32_e32 v86, v26
	v_dual_mov_b32 v72, v24 :: v_dual_mov_b32 v75, v15
	v_dual_mov_b32 v110, v26 :: v_dual_mov_b32 v53, v3
	;; [unrolled: 1-line block ×61, first 2 shown]
	v_mov_b32_e32 v149, v3
	v_mov_b32_e32 v147, v1
	;; [unrolled: 1-line block ×3, first 2 shown]
	s_mov_b32 s2, exec_lo
	v_dual_mov_b32 v85, v25 :: v_dual_mov_b32 v84, v24
	v_dual_mov_b32 v83, v23 :: v_dual_mov_b32 v82, v22
	s_clause 0x2
	scratch_store_b128 off, v[1:4], off
	scratch_store_b128 off, v[5:8], off offset:16
	scratch_store_b128 off, v[9:12], off offset:32
	v_cmpx_lt_f32_e32 v28, v41
	s_cbranch_execz .LBB198_67
; %bb.66:
	v_dual_mov_b32 v158, v12 :: v_dual_mov_b32 v157, v11
	v_dual_mov_b32 v150, v4 :: v_dual_mov_b32 v149, v3
	;; [unrolled: 1-line block ×7, first 2 shown]
	s_clause 0x2
	scratch_store_b128 off, v[147:150], off
	scratch_store_b128 off, v[151:154], off offset:16
	scratch_store_b128 off, v[155:158], off offset:32
	v_dual_mov_b32 v182, v26 :: v_dual_mov_b32 v181, v25
	v_dual_mov_b32 v172, v16 :: v_dual_mov_b32 v171, v15
	;; [unrolled: 1-line block ×8, first 2 shown]
	s_delay_alu instid0(VALU_DEP_4) | instskip(SKIP_1) | instid1(VALU_DEP_4)
	v_dual_mov_b32 v160, v172 :: v_dual_mov_b32 v161, v173
	v_dual_mov_b32 v162, v174 :: v_dual_mov_b32 v163, v175
	v_dual_mov_b32 v164, v176 :: v_dual_mov_b32 v165, v177
	v_dual_mov_b32 v168, v180 :: v_dual_mov_b32 v169, v181
	v_mov_b32_e32 v170, v182
	v_dual_mov_b32 v166, v178 :: v_dual_mov_b32 v167, v179
	v_mov_b32_e32 v162, v18
	v_dual_mov_b32 v40, v41 :: v_dual_mov_b32 v41, v28
	v_mov_b32_e32 v3, v2
	v_mov_b32_e32 v17, v16
	;; [unrolled: 1-line block ×3, first 2 shown]
	v_dual_mov_b32 v137, v149 :: v_dual_mov_b32 v144, v156
	v_dual_mov_b32 v123, v159 :: v_dual_mov_b32 v136, v148
	;; [unrolled: 1-line block ×12, first 2 shown]
	v_mov_b32_e32 v133, v169
	v_dual_mov_b32 v111, v135 :: v_dual_mov_b32 v112, v136
	v_dual_mov_b32 v99, v123 :: v_dual_mov_b32 v100, v124
	v_dual_mov_b32 v115, v139 :: v_dual_mov_b32 v116, v140
	v_dual_mov_b32 v103, v127 :: v_dual_mov_b32 v104, v128
	v_dual_mov_b32 v113, v137 :: v_dual_mov_b32 v114, v138
	v_dual_mov_b32 v117, v141 :: v_dual_mov_b32 v118, v142
	v_dual_mov_b32 v119, v143 :: v_dual_mov_b32 v120, v144
	v_dual_mov_b32 v121, v145 :: v_dual_mov_b32 v122, v146
	v_dual_mov_b32 v101, v125 :: v_dual_mov_b32 v102, v126
	v_dual_mov_b32 v105, v129 :: v_dual_mov_b32 v106, v130
	v_dual_mov_b32 v107, v131 :: v_dual_mov_b32 v108, v132
	v_dual_mov_b32 v109, v133 :: v_dual_mov_b32 v110, v134
	v_mov_b32_e32 v104, v20
	v_dual_mov_b32 v116, v6 :: v_dual_mov_b32 v75, v99
	v_mov_b32_e32 v87, v111
	v_dual_mov_b32 v93, v117 :: v_dual_mov_b32 v78, v102
	s_delay_alu instid0(VALU_DEP_3)
	v_dual_mov_b32 v81, v105 :: v_dual_mov_b32 v92, v116
	v_dual_mov_b32 v90, v114 :: v_dual_mov_b32 v91, v115
	;; [unrolled: 1-line block ×11, first 2 shown]
	v_mov_b32_e32 v51, v87
	v_dual_mov_b32 v63, v75 :: v_dual_mov_b32 v66, v78
	v_dual_mov_b32 v55, v91 :: v_dual_mov_b32 v58, v94
	;; [unrolled: 1-line block ×13, first 2 shown]
	v_mov_b32_e32 v60, v10
	v_dual_mov_b32 v61, v14 :: v_dual_mov_b32 v62, v12
	v_dual_mov_b32 v70, v22 :: v_dual_mov_b32 v71, v23
	;; [unrolled: 1-line block ×3, first 2 shown]
	v_mov_b32_e32 v74, v26
.LBB198_67:
	s_or_b32 exec_lo, exec_lo, s2
	v_mov_b32_e32 v1, v42
	v_cmp_lt_f32_e32 vcc_lo, v11, v42
	s_mov_b32 s2, exec_lo
	s_clause 0x2
	scratch_load_b128 v[27:30], off, off
	scratch_load_b128 v[31:34], off, off offset:16
	scratch_load_b128 v[35:38], off, off offset:32
	s_and_b32 s3, s2, vcc_lo
	s_delay_alu instid0(SALU_CYCLE_1)
	s_mov_b32 exec_lo, s3
	s_cbranch_execz .LBB198_69
; %bb.68:
	v_mov_b32_e32 v173, v18
	s_waitcnt vmcnt(2)
	v_mov_b32_e32 v29, v4
	v_dual_mov_b32 v159, v171 :: v_dual_mov_b32 v162, v174
	s_waitcnt vmcnt(0)
	v_dual_mov_b32 v158, v38 :: v_dual_mov_b32 v157, v37
	v_dual_mov_b32 v156, v36 :: v_dual_mov_b32 v147, v27
	;; [unrolled: 1-line block ×6, first 2 shown]
	v_mov_b32_e32 v168, v180
	v_dual_mov_b32 v164, v176 :: v_dual_mov_b32 v165, v177
	v_dual_mov_b32 v170, v182 :: v_dual_mov_b32 v155, v35
	;; [unrolled: 1-line block ×4, first 2 shown]
	v_mov_b32_e32 v162, v17
	v_dual_mov_b32 v169, v181 :: v_dual_mov_b32 v150, v3
	v_dual_mov_b32 v123, v159 :: v_dual_mov_b32 v124, v160
	;; [unrolled: 1-line block ×3, first 2 shown]
	s_delay_alu instid0(VALU_DEP_3)
	v_dual_mov_b32 v137, v149 :: v_dual_mov_b32 v138, v150
	v_dual_mov_b32 v139, v151 :: v_dual_mov_b32 v140, v152
	;; [unrolled: 1-line block ×10, first 2 shown]
	v_mov_b32_e32 v127, v19
	v_mov_b32_e32 v139, v5
	v_dual_mov_b32 v99, v123 :: v_dual_mov_b32 v100, v124
	v_dual_mov_b32 v111, v135 :: v_dual_mov_b32 v114, v138
	;; [unrolled: 1-line block ×4, first 2 shown]
	v_mov_b32_e32 v120, v144
	v_dual_mov_b32 v104, v128 :: v_dual_mov_b32 v105, v129
	v_dual_mov_b32 v110, v134 :: v_dual_mov_b32 v115, v139
	;; [unrolled: 1-line block ×22, first 2 shown]
	v_mov_b32_e32 v93, v7
	v_dual_mov_b32 v63, v75 :: v_dual_mov_b32 v68, v80
	v_dual_mov_b32 v64, v76 :: v_dual_mov_b32 v51, v87
	;; [unrolled: 1-line block ×3, first 2 shown]
	s_delay_alu instid0(VALU_DEP_4)
	v_dual_mov_b32 v58, v94 :: v_dual_mov_b32 v57, v93
	v_dual_mov_b32 v60, v96 :: v_dual_mov_b32 v59, v95
	;; [unrolled: 1-line block ×8, first 2 shown]
	v_mov_b32_e32 v60, v10
	v_dual_mov_b32 v52, v88 :: v_dual_mov_b32 v53, v89
	v_dual_mov_b32 v56, v92 :: v_dual_mov_b32 v59, v9
	;; [unrolled: 1-line block ×3, first 2 shown]
	v_mov_b32_e32 v72, v24
	v_dual_mov_b32 v70, v22 :: v_dual_mov_b32 v71, v23
	v_dual_mov_b32 v73, v13 :: v_dual_mov_b32 v74, v26
	;; [unrolled: 1-line block ×3, first 2 shown]
	v_mov_b32_e32 v4, v3
.LBB198_69:
	s_or_b32 exec_lo, exec_lo, s2
	v_mov_b32_e32 v2, v43
	s_mov_b32 s2, exec_lo
	v_cmpx_lt_f32_e32 v1, v43
	s_cbranch_execz .LBB198_71
; %bb.70:
	v_mov_b32_e32 v174, v19
	s_waitcnt vmcnt(2)
	v_dual_mov_b32 v30, v5 :: v_dual_mov_b32 v123, v171
	s_waitcnt vmcnt(0)
	v_dual_mov_b32 v146, v38 :: v_dual_mov_b32 v143, v35
	v_dual_mov_b32 v145, v37 :: v_dual_mov_b32 v142, v34
	s_delay_alu instid0(VALU_DEP_3)
	v_dual_mov_b32 v139, v31 :: v_dual_mov_b32 v138, v30
	v_dual_mov_b32 v135, v27 :: v_dual_mov_b32 v124, v172
	;; [unrolled: 1-line block ×5, first 2 shown]
	v_mov_b32_e32 v127, v18
	v_dual_mov_b32 v134, v182 :: v_dual_mov_b32 v139, v4
	v_dual_mov_b32 v144, v36 :: v_dual_mov_b32 v141, v33
	;; [unrolled: 1-line block ×5, first 2 shown]
	s_delay_alu instid0(VALU_DEP_3)
	v_dual_mov_b32 v111, v135 :: v_dual_mov_b32 v112, v136
	v_dual_mov_b32 v99, v123 :: v_dual_mov_b32 v100, v124
	;; [unrolled: 1-line block ×12, first 2 shown]
	v_mov_b32_e32 v104, v20
	v_dual_mov_b32 v116, v6 :: v_dual_mov_b32 v75, v99
	v_mov_b32_e32 v87, v111
	v_dual_mov_b32 v93, v117 :: v_dual_mov_b32 v78, v102
	s_delay_alu instid0(VALU_DEP_3)
	v_dual_mov_b32 v81, v105 :: v_dual_mov_b32 v92, v116
	v_dual_mov_b32 v80, v104 :: v_dual_mov_b32 v83, v107
	v_dual_mov_b32 v84, v108 :: v_dual_mov_b32 v93, v7
	v_dual_mov_b32 v94, v118 :: v_dual_mov_b32 v95, v119
	v_dual_mov_b32 v96, v120 :: v_dual_mov_b32 v97, v121
	v_dual_mov_b32 v98, v122 :: v_dual_mov_b32 v77, v101
	v_dual_mov_b32 v82, v106 :: v_dual_mov_b32 v85, v109
	v_dual_mov_b32 v86, v110 :: v_dual_mov_b32 v81, v21
	v_dual_mov_b32 v88, v112 :: v_dual_mov_b32 v89, v113
	v_dual_mov_b32 v90, v114 :: v_dual_mov_b32 v91, v115
	v_dual_mov_b32 v76, v100 :: v_dual_mov_b32 v79, v103
	v_mov_b32_e32 v63, v75
	s_delay_alu instid0(VALU_DEP_4)
	v_dual_mov_b32 v51, v87 :: v_dual_mov_b32 v52, v88
	v_dual_mov_b32 v71, v83 :: v_dual_mov_b32 v72, v84
	;; [unrolled: 1-line block ×14, first 2 shown]
	v_mov_b32_e32 v68, v80
	v_dual_mov_b32 v58, v8 :: v_dual_mov_b32 v59, v9
	v_dual_mov_b32 v60, v10 :: v_dual_mov_b32 v71, v23
	;; [unrolled: 1-line block ×16, first 2 shown]
	v_mov_b32_e32 v2, v1
.LBB198_71:
	s_or_b32 exec_lo, exec_lo, s2
	v_mov_b32_e32 v1, v44
	s_mov_b32 s2, exec_lo
	s_delay_alu instid0(VALU_DEP_2)
	v_cmpx_lt_f32_e32 v2, v44
	s_cbranch_execz .LBB198_73
; %bb.72:
	v_mov_b32_e32 v163, v20
	v_mov_b32_e32 v151, v6
	v_dual_mov_b32 v99, v159 :: v_dual_mov_b32 v100, v160
	v_dual_mov_b32 v111, v147 :: v_dual_mov_b32 v112, v148
	;; [unrolled: 1-line block ×10, first 2 shown]
	v_mov_b32_e32 v108, v168
	v_dual_mov_b32 v104, v164 :: v_dual_mov_b32 v107, v167
	v_mov_b32_e32 v116, v5
	v_dual_mov_b32 v109, v169 :: v_dual_mov_b32 v104, v19
	v_dual_mov_b32 v87, v111 :: v_dual_mov_b32 v88, v112
	;; [unrolled: 1-line block ×13, first 2 shown]
	v_mov_b32_e32 v93, v7
	v_dual_mov_b32 v43, v44 :: v_dual_mov_b32 v44, v2
	v_mov_b32_e32 v81, v21
	v_dual_mov_b32 v51, v87 :: v_dual_mov_b32 v56, v92
	v_dual_mov_b32 v52, v88 :: v_dual_mov_b32 v63, v75
	;; [unrolled: 1-line block ×14, first 2 shown]
	v_mov_b32_e32 v136, v148
	v_dual_mov_b32 v54, v90 :: v_dual_mov_b32 v59, v9
	v_dual_mov_b32 v62, v12 :: v_dual_mov_b32 v61, v14
	v_mov_b32_e32 v72, v24
	v_dual_mov_b32 v70, v22 :: v_dual_mov_b32 v71, v23
	v_dual_mov_b32 v73, v13 :: v_dual_mov_b32 v74, v26
	;; [unrolled: 1-line block ×13, first 2 shown]
	v_mov_b32_e32 v6, v5
.LBB198_73:
	s_or_b32 exec_lo, exec_lo, s2
	v_mov_b32_e32 v2, v45
	s_mov_b32 s2, exec_lo
	v_cmpx_lt_f32_e32 v1, v45
	s_cbranch_execz .LBB198_75
; %bb.74:
	v_mov_b32_e32 v140, v7
	v_dual_mov_b32 v128, v21 :: v_dual_mov_b32 v87, v135
	v_mov_b32_e32 v93, v141
	v_mov_b32_e32 v93, v6
	;; [unrolled: 1-line block ×3, first 2 shown]
	v_dual_mov_b32 v92, v140 :: v_dual_mov_b32 v95, v143
	v_dual_mov_b32 v96, v144 :: v_dual_mov_b32 v97, v145
	;; [unrolled: 1-line block ×42, first 2 shown]
	v_mov_b32_e32 v2, v1
.LBB198_75:
	s_or_b32 exec_lo, exec_lo, s2
	v_mov_b32_e32 v1, v46
	s_mov_b32 s2, exec_lo
	s_delay_alu instid0(VALU_DEP_2)
	v_cmpx_lt_f32_e32 v2, v46
	s_cbranch_execz .LBB198_77
; %bb.76:
	v_mov_b32_e32 v117, v8
	v_mov_b32_e32 v45, v46
	;; [unrolled: 1-line block ×4, first 2 shown]
	v_dual_mov_b32 v51, v111 :: v_dual_mov_b32 v54, v114
	v_dual_mov_b32 v56, v116 :: v_dual_mov_b32 v63, v99
	v_dual_mov_b32 v66, v102 :: v_dual_mov_b32 v53, v113
	v_dual_mov_b32 v58, v118 :: v_dual_mov_b32 v55, v115
	v_dual_mov_b32 v60, v120 :: v_dual_mov_b32 v57, v117
	v_dual_mov_b32 v62, v122 :: v_dual_mov_b32 v59, v119
	v_dual_mov_b32 v60, v10 :: v_dual_mov_b32 v61, v121
	v_mov_b32_e32 v58, v7
	v_dual_mov_b32 v67, v103 :: v_dual_mov_b32 v70, v106
	v_dual_mov_b32 v69, v105 :: v_dual_mov_b32 v72, v108
	v_dual_mov_b32 v71, v107 :: v_dual_mov_b32 v74, v110
	v_dual_mov_b32 v73, v109 :: v_dual_mov_b32 v72, v24
	v_dual_mov_b32 v75, v99 :: v_dual_mov_b32 v76, v100
	v_dual_mov_b32 v87, v111 :: v_dual_mov_b32 v88, v112
	v_dual_mov_b32 v52, v112 :: v_dual_mov_b32 v59, v9
	v_dual_mov_b32 v62, v12 :: v_dual_mov_b32 v61, v14
	v_dual_mov_b32 v64, v100 :: v_dual_mov_b32 v65, v101
	v_mov_b32_e32 v68, v104
	v_dual_mov_b32 v70, v21 :: v_dual_mov_b32 v71, v23
	v_dual_mov_b32 v73, v13 :: v_dual_mov_b32 v74, v26
	;; [unrolled: 10-line block ×3, first 2 shown]
	v_dual_mov_b32 v95, v119 :: v_dual_mov_b32 v96, v120
	v_dual_mov_b32 v97, v121 :: v_dual_mov_b32 v98, v122
.LBB198_77:
	s_or_b32 exec_lo, exec_lo, s2
	v_mov_b32_e32 v2, v47
	s_mov_b32 s2, exec_lo
	v_cmpx_lt_f32_e32 v1, v47
	s_cbranch_execz .LBB198_79
; %bb.78:
	v_dual_mov_b32 v83, v22 :: v_dual_mov_b32 v84, v24
	v_dual_mov_b32 v94, v9 :: v_dual_mov_b32 v95, v8
	;; [unrolled: 1-line block ×4, first 2 shown]
	v_mov_b32_e32 v86, v26
	v_dual_mov_b32 v46, v47 :: v_dual_mov_b32 v47, v1
	v_dual_mov_b32 v98, v12 :: v_dual_mov_b32 v63, v75
	;; [unrolled: 1-line block ×13, first 2 shown]
	v_mov_b32_e32 v62, v98
	v_mov_b32_e32 v2, v1
.LBB198_79:
	s_or_b32 exec_lo, exec_lo, s2
	s_delay_alu instid0(VALU_DEP_1)
	v_cmp_lt_f32_e32 vcc_lo, v2, v48
	v_dual_mov_b32 v1, v39 :: v_dual_mov_b32 v6, v44
	v_dual_mov_b32 v3, v41 :: v_dual_mov_b32 v8, v46
	s_waitcnt vmcnt(0)
	v_dual_cndmask_b32 v37, v72, v71 :: v_dual_mov_b32 v4, v42
	v_dual_cndmask_b32 v71, v71, v72 :: v_dual_cndmask_b32 v38, v60, v59
	v_dual_cndmask_b32 v59, v59, v60 :: v_dual_cndmask_b32 v10, v48, v2
	v_dual_cndmask_b32 v9, v47, v48 :: v_dual_mov_b32 v2, v40
	v_dual_mov_b32 v5, v43 :: v_dual_mov_b32 v12, v50
	v_mov_b32_e32 v7, v45
	v_mov_b32_e32 v11, v49
	s_mov_b32 s2, exec_lo
	v_cmpx_lt_f32_e32 v39, v40
	s_cbranch_execz .LBB198_81
; %bb.80:
	v_dual_mov_b32 v13, v2 :: v_dual_mov_b32 v14, v1
	v_dual_mov_b32 v15, v3 :: v_dual_mov_b32 v16, v4
	;; [unrolled: 1-line block ×6, first 2 shown]
	v_mov_b32_e32 v25, v63
	v_dual_mov_b32 v26, v51 :: v_dual_mov_b32 v1, v13
	v_swap_b32 v63, v64
	v_swap_b32 v51, v52
	v_dual_mov_b32 v2, v14 :: v_dual_mov_b32 v3, v15
	v_dual_mov_b32 v4, v16 :: v_dual_mov_b32 v5, v17
	;; [unrolled: 1-line block ×5, first 2 shown]
	v_mov_b32_e32 v12, v24
	v_mov_b32_e32 v40, v39
.LBB198_81:
	s_or_b32 exec_lo, exec_lo, s2
	v_mov_b32_e32 v60, v38
	v_dual_mov_b32 v72, v37 :: v_dual_mov_b32 v13, v51
	v_dual_mov_b32 v25, v63 :: v_dual_mov_b32 v98, v74
	;; [unrolled: 1-line block ×60, first 2 shown]
	s_mov_b32 s2, exec_lo
	v_dual_mov_b32 v96, v72 :: v_dual_mov_b32 v93, v69
	v_cmpx_lt_f32_e32 v40, v3
	s_cbranch_execz .LBB198_83
; %bb.82:
	v_dual_mov_b32 v134, v62 :: v_dual_mov_b32 v133, v61
	v_dual_mov_b32 v124, v52 :: v_dual_mov_b32 v123, v51
	v_mov_b32_e32 v124, v53
	v_dual_mov_b32 v128, v56 :: v_dual_mov_b32 v127, v55
	v_dual_mov_b32 v132, v60 :: v_dual_mov_b32 v131, v59
	;; [unrolled: 1-line block ×11, first 2 shown]
	v_mov_b32_e32 v141, v69
	v_dual_mov_b32 v136, v65 :: v_dual_mov_b32 v137, v64
	v_dual_mov_b32 v160, v124 :: v_dual_mov_b32 v159, v123
	v_dual_mov_b32 v164, v128 :: v_dual_mov_b32 v163, v127
	v_dual_mov_b32 v168, v132 :: v_dual_mov_b32 v167, v131
	v_dual_mov_b32 v158, v146 :: v_dual_mov_b32 v155, v143
	v_dual_mov_b32 v162, v126 :: v_dual_mov_b32 v161, v125
	v_dual_mov_b32 v150, v138 :: v_dual_mov_b32 v147, v135
	v_dual_mov_b32 v152, v140 :: v_dual_mov_b32 v149, v137
	v_dual_mov_b32 v166, v130 :: v_dual_mov_b32 v165, v129
	v_dual_mov_b32 v162, v54 :: v_dual_mov_b32 v157, v145
	v_dual_mov_b32 v156, v144 :: v_dual_mov_b32 v153, v141
	v_dual_mov_b32 v154, v142 :: v_dual_mov_b32 v151, v139
	v_dual_mov_b32 v148, v136 :: v_dual_mov_b32 v111, v159
	v_dual_mov_b32 v150, v66 :: v_dual_mov_b32 v113, v161
	v_dual_mov_b32 v112, v160 :: v_dual_mov_b32 v115, v163
	v_dual_mov_b32 v116, v164 :: v_dual_mov_b32 v119, v167
	v_dual_mov_b32 v120, v168 :: v_dual_mov_b32 v115, v55
	v_dual_mov_b32 v122, v170 :: v_dual_mov_b32 v99, v147
	v_dual_mov_b32 v104, v152 :: v_dual_mov_b32 v105, v153
	v_dual_mov_b32 v114, v162 :: v_dual_mov_b32 v117, v165
	v_dual_mov_b32 v118, v166 :: v_dual_mov_b32 v121, v169
	v_dual_mov_b32 v102, v150 :: v_dual_mov_b32 v103, v151
	v_dual_mov_b32 v106, v154 :: v_dual_mov_b32 v107, v155
	v_dual_mov_b32 v108, v156 :: v_dual_mov_b32 v109, v157
	v_dual_mov_b32 v110, v158 :: v_dual_mov_b32 v103, v67
	v_dual_mov_b32 v100, v148 :: v_dual_mov_b32 v101, v149
	v_dual_mov_b32 v75, v111 :: v_dual_mov_b32 v76, v112
	v_dual_mov_b32 v79, v115 :: v_dual_mov_b32 v80, v116
	v_dual_mov_b32 v83, v119 :: v_dual_mov_b32 v84, v120
	v_dual_mov_b32 v80, v56 :: v_dual_mov_b32 v87, v99
	v_dual_mov_b32 v77, v113 :: v_dual_mov_b32 v78, v114
	v_dual_mov_b32 v92, v104 :: v_dual_mov_b32 v93, v105
	v_dual_mov_b32 v81, v117 :: v_dual_mov_b32 v82, v118
	v_dual_mov_b32 v85, v121 :: v_dual_mov_b32 v86, v122
	v_dual_mov_b32 v90, v102 :: v_dual_mov_b32 v91, v103
	v_dual_mov_b32 v94, v106 :: v_dual_mov_b32 v95, v107
	v_dual_mov_b32 v96, v108 :: v_dual_mov_b32 v97, v109
	v_dual_mov_b32 v98, v110 :: v_dual_mov_b32 v13, v75
	v_dual_mov_b32 v92, v68 :: v_dual_mov_b32 v15, v77
	v_dual_mov_b32 v88, v100 :: v_dual_mov_b32 v89, v101
	v_mov_b32_e32 v22, v84
	v_dual_mov_b32 v22, v38 :: v_dual_mov_b32 v25, v87
	v_dual_mov_b32 v16, v78 :: v_dual_mov_b32 v19, v81
	v_dual_mov_b32 v18, v80 :: v_dual_mov_b32 v21, v83
	v_dual_mov_b32 v20, v82 :: v_dual_mov_b32 v23, v85
	v_dual_mov_b32 v24, v86 :: v_dual_mov_b32 v21, v59
	v_dual_mov_b32 v28, v90 :: v_dual_mov_b32 v31, v93
	v_dual_mov_b32 v30, v92 :: v_dual_mov_b32 v33, v95
	v_dual_mov_b32 v32, v94 :: v_dual_mov_b32 v35, v97
	v_dual_mov_b32 v34, v96 :: v_dual_mov_b32 v31, v69
	v_dual_mov_b32 v36, v98 :: v_dual_mov_b32 v33, v71
	v_dual_mov_b32 v2, v3 :: v_dual_mov_b32 v3, v40
	v_dual_mov_b32 v14, v76 :: v_dual_mov_b32 v17, v79
	v_dual_mov_b32 v19, v57 :: v_dual_mov_b32 v20, v58
	v_dual_mov_b32 v23, v61 :: v_dual_mov_b32 v24, v62
	v_dual_mov_b32 v27, v89 :: v_dual_mov_b32 v26, v88
	v_dual_mov_b32 v29, v91 :: v_dual_mov_b32 v32, v70
	v_mov_b32_e32 v35, v73
	v_dual_mov_b32 v34, v37 :: v_dual_mov_b32 v39, v40
	v_dual_mov_b32 v36, v74 :: v_dual_mov_b32 v65, v64
	v_mov_b32_e32 v53, v52
.LBB198_83:
	s_or_b32 exec_lo, exec_lo, s2
	v_mov_b32_e32 v40, v4
	s_mov_b32 s2, exec_lo
	v_cmpx_lt_f32_e32 v39, v4
	s_cbranch_execz .LBB198_85
; %bb.84:
	v_mov_b32_e32 v137, v66
	v_mov_b32_e32 v125, v54
	;; [unrolled: 1-line block ×4, first 2 shown]
	v_dual_mov_b32 v170, v134 :: v_dual_mov_b32 v169, v133
	v_dual_mov_b32 v168, v132 :: v_dual_mov_b32 v159, v123
	;; [unrolled: 1-line block ×9, first 2 shown]
	v_mov_b32_e32 v157, v145
	v_dual_mov_b32 v155, v143 :: v_dual_mov_b32 v152, v140
	v_mov_b32_e32 v162, v53
	v_mov_b32_e32 v149, v137
	v_dual_mov_b32 v150, v65 :: v_dual_mov_b32 v111, v159
	v_dual_mov_b32 v112, v160 :: v_dual_mov_b32 v99, v147
	;; [unrolled: 1-line block ×13, first 2 shown]
	v_mov_b32_e32 v115, v55
	v_dual_mov_b32 v87, v99 :: v_dual_mov_b32 v88, v100
	v_dual_mov_b32 v75, v111 :: v_dual_mov_b32 v78, v114
	;; [unrolled: 1-line block ×3, first 2 shown]
	s_delay_alu instid0(VALU_DEP_4)
	v_dual_mov_b32 v80, v116 :: v_dual_mov_b32 v79, v115
	v_dual_mov_b32 v82, v118 :: v_dual_mov_b32 v81, v117
	;; [unrolled: 1-line block ×6, first 2 shown]
	v_mov_b32_e32 v96, v108
	v_dual_mov_b32 v92, v104 :: v_dual_mov_b32 v93, v105
	v_dual_mov_b32 v98, v110 :: v_dual_mov_b32 v95, v107
	;; [unrolled: 1-line block ×21, first 2 shown]
	v_mov_b32_e32 v34, v37
	v_dual_mov_b32 v35, v73 :: v_dual_mov_b32 v36, v74
	v_mov_b32_e32 v40, v39
	v_mov_b32_e32 v66, v65
	;; [unrolled: 1-line block ×3, first 2 shown]
.LBB198_85:
	s_or_b32 exec_lo, exec_lo, s2
	v_mov_b32_e32 v39, v5
	s_mov_b32 s2, exec_lo
	v_cmpx_lt_f32_e32 v40, v5
	s_cbranch_execz .LBB198_87
; %bb.86:
	v_mov_b32_e32 v126, v55
	v_mov_b32_e32 v111, v123
	;; [unrolled: 1-line block ×3, first 2 shown]
	v_dual_mov_b32 v115, v54 :: v_dual_mov_b32 v116, v128
	v_dual_mov_b32 v138, v67 :: v_dual_mov_b32 v113, v125
	v_mov_b32_e32 v112, v124
	v_dual_mov_b32 v118, v130 :: v_dual_mov_b32 v119, v131
	v_dual_mov_b32 v120, v132 :: v_dual_mov_b32 v121, v133
	;; [unrolled: 1-line block ×24, first 2 shown]
	v_mov_b32_e32 v22, v84
	v_dual_mov_b32 v22, v38 :: v_dual_mov_b32 v25, v87
	v_dual_mov_b32 v16, v78 :: v_dual_mov_b32 v19, v81
	;; [unrolled: 1-line block ×18, first 2 shown]
	v_mov_b32_e32 v35, v73
	v_dual_mov_b32 v34, v37 :: v_dual_mov_b32 v155, v143
	v_dual_mov_b32 v36, v74 :: v_dual_mov_b32 v157, v145
	;; [unrolled: 1-line block ×12, first 2 shown]
	v_mov_b32_e32 v55, v54
.LBB198_87:
	s_or_b32 exec_lo, exec_lo, s2
	v_mov_b32_e32 v40, v6
	s_mov_b32 s2, exec_lo
	v_cmpx_lt_f32_e32 v39, v6
	s_cbranch_execz .LBB198_89
; %bb.88:
	v_mov_b32_e32 v163, v56
	v_dual_mov_b32 v75, v159 :: v_dual_mov_b32 v80, v164
	v_dual_mov_b32 v80, v55 :: v_dual_mov_b32 v81, v165
	v_dual_mov_b32 v151, v68 :: v_dual_mov_b32 v78, v162
	v_dual_mov_b32 v87, v147 :: v_dual_mov_b32 v90, v150
	v_dual_mov_b32 v77, v161 :: v_dual_mov_b32 v82, v166
	v_dual_mov_b32 v79, v163 :: v_dual_mov_b32 v84, v168
	v_dual_mov_b32 v83, v167 :: v_dual_mov_b32 v86, v170
	v_mov_b32_e32 v85, v169
	v_dual_mov_b32 v89, v149 :: v_dual_mov_b32 v92, v152
	v_dual_mov_b32 v91, v151 :: v_dual_mov_b32 v94, v154
	;; [unrolled: 1-line block ×6, first 2 shown]
	v_mov_b32_e32 v88, v148
	v_mov_b32_e32 v6, v39
	s_delay_alu instid0(VALU_DEP_3) | instskip(NEXT) | instid1(VALU_DEP_3)
	v_dual_mov_b32 v13, v75 :: v_dual_mov_b32 v14, v76
	v_dual_mov_b32 v25, v87 :: v_dual_mov_b32 v26, v88
	v_dual_mov_b32 v19, v81 :: v_dual_mov_b32 v20, v82
	v_dual_mov_b32 v21, v83 :: v_dual_mov_b32 v22, v84
	v_dual_mov_b32 v23, v85 :: v_dual_mov_b32 v24, v86
	v_dual_mov_b32 v31, v93 :: v_dual_mov_b32 v32, v94
	v_dual_mov_b32 v33, v95 :: v_dual_mov_b32 v34, v96
	v_dual_mov_b32 v35, v97 :: v_dual_mov_b32 v36, v98
	v_dual_mov_b32 v99, v147 :: v_dual_mov_b32 v100, v148
	v_dual_mov_b32 v111, v159 :: v_dual_mov_b32 v112, v160
	v_dual_mov_b32 v15, v77 :: v_dual_mov_b32 v16, v78
	v_dual_mov_b32 v17, v79 :: v_dual_mov_b32 v18, v80
	v_dual_mov_b32 v19, v57 :: v_dual_mov_b32 v20, v58
	v_dual_mov_b32 v21, v59 :: v_dual_mov_b32 v22, v38
	v_dual_mov_b32 v23, v61 :: v_dual_mov_b32 v24, v62
	v_dual_mov_b32 v27, v89 :: v_dual_mov_b32 v28, v90
	v_dual_mov_b32 v29, v91 :: v_dual_mov_b32 v30, v92
	v_dual_mov_b32 v31, v69 :: v_dual_mov_b32 v32, v70
	v_dual_mov_b32 v33, v71 :: v_dual_mov_b32 v34, v37
	v_dual_mov_b32 v35, v73 :: v_dual_mov_b32 v36, v74
	v_dual_mov_b32 v101, v149 :: v_dual_mov_b32 v102, v150
	v_dual_mov_b32 v103, v151 :: v_dual_mov_b32 v104, v152
	v_dual_mov_b32 v105, v153 :: v_dual_mov_b32 v106, v154
	v_dual_mov_b32 v107, v155 :: v_dual_mov_b32 v108, v156
	v_dual_mov_b32 v109, v157 :: v_dual_mov_b32 v110, v158
	v_dual_mov_b32 v113, v161 :: v_dual_mov_b32 v114, v162
	v_dual_mov_b32 v115, v163 :: v_dual_mov_b32 v116, v164
	v_dual_mov_b32 v117, v165 :: v_dual_mov_b32 v118, v166
	v_dual_mov_b32 v119, v167 :: v_dual_mov_b32 v120, v168
	v_dual_mov_b32 v121, v169 :: v_dual_mov_b32 v122, v170
	v_mov_b32_e32 v40, v39
	v_mov_b32_e32 v68, v67
	;; [unrolled: 1-line block ×3, first 2 shown]
.LBB198_89:
	s_or_b32 exec_lo, exec_lo, s2
	v_mov_b32_e32 v39, v7
	s_mov_b32 s2, exec_lo
	v_cmpx_lt_f32_e32 v40, v7
	s_cbranch_execz .LBB198_91
; %bb.90:
	v_mov_b32_e32 v116, v57
	v_dual_mov_b32 v6, v7 :: v_dual_mov_b32 v7, v40
	v_dual_mov_b32 v104, v69 :: v_dual_mov_b32 v13, v111
	v_mov_b32_e32 v22, v120
	v_dual_mov_b32 v22, v38 :: v_dual_mov_b32 v25, v99
	v_mov_b32_e32 v34, v108
	v_dual_mov_b32 v34, v37 :: v_dual_mov_b32 v87, v99
	v_dual_mov_b32 v16, v114 :: v_dual_mov_b32 v19, v117
	;; [unrolled: 1-line block ×12, first 2 shown]
	v_mov_b32_e32 v23, v61
	v_dual_mov_b32 v21, v59 :: v_dual_mov_b32 v24, v62
	v_dual_mov_b32 v27, v101 :: v_dual_mov_b32 v26, v100
	;; [unrolled: 1-line block ×3, first 2 shown]
	v_mov_b32_e32 v35, v73
	v_dual_mov_b32 v33, v71 :: v_dual_mov_b32 v36, v74
	v_dual_mov_b32 v89, v101 :: v_dual_mov_b32 v88, v100
	;; [unrolled: 1-line block ×9, first 2 shown]
	v_mov_b32_e32 v39, v40
	v_mov_b32_e32 v69, v68
	v_dual_mov_b32 v57, v56 :: v_dual_mov_b32 v94, v106
	v_dual_mov_b32 v97, v109 :: v_dual_mov_b32 v82, v118
	;; [unrolled: 1-line block ×3, first 2 shown]
.LBB198_91:
	s_or_b32 exec_lo, exec_lo, s2
	v_mov_b32_e32 v40, v8
	s_mov_b32 s2, exec_lo
	v_cmpx_lt_f32_e32 v39, v8
	s_cbranch_execz .LBB198_93
; %bb.92:
	v_dual_mov_b32 v81, v58 :: v_dual_mov_b32 v82, v57
	v_dual_mov_b32 v83, v59 :: v_dual_mov_b32 v84, v38
	;; [unrolled: 1-line block ×19, first 2 shown]
	v_mov_b32_e32 v40, v39
.LBB198_93:
	s_or_b32 exec_lo, exec_lo, s2
	s_delay_alu instid0(VALU_DEP_1)
	v_cmp_lt_f32_e32 vcc_lo, v40, v9
	v_dual_mov_b32 v38, v2 :: v_dual_mov_b32 v41, v5
	v_dual_mov_b32 v42, v6 :: v_dual_mov_b32 v47, v11
	v_dual_cndmask_b32 v145, v33, v32 :: v_dual_cndmask_b32 v32, v32, v33
	v_dual_cndmask_b32 v146, v21, v20 :: v_dual_mov_b32 v39, v3
	v_dual_cndmask_b32 v20, v20, v21 :: v_dual_cndmask_b32 v45, v9, v40
	v_dual_cndmask_b32 v44, v8, v9 :: v_dual_mov_b32 v37, v1
	v_dual_mov_b32 v40, v4 :: v_dual_mov_b32 v43, v7
	v_mov_b32_e32 v46, v10
	v_mov_b32_e32 v48, v12
	s_mov_b32 s2, exec_lo
	v_cmpx_lt_f32_e32 v1, v2
	s_cbranch_execz .LBB198_95
; %bb.94:
	v_dual_mov_b32 v49, v38 :: v_dual_mov_b32 v50, v37
	v_dual_mov_b32 v51, v39 :: v_dual_mov_b32 v52, v40
	;; [unrolled: 1-line block ×6, first 2 shown]
	v_mov_b32_e32 v3, v25
	v_mov_b32_e32 v4, v13
	v_dual_mov_b32 v37, v49 :: v_dual_mov_b32 v40, v52
	v_swap_b32 v25, v26
	v_swap_b32 v13, v14
	v_dual_mov_b32 v38, v50 :: v_dual_mov_b32 v39, v51
	v_dual_mov_b32 v41, v53 :: v_dual_mov_b32 v42, v54
	;; [unrolled: 1-line block ×5, first 2 shown]
	v_mov_b32_e32 v2, v1
.LBB198_95:
	s_or_b32 exec_lo, exec_lo, s2
	v_mov_b32_e32 v21, v146
	v_dual_mov_b32 v33, v145 :: v_dual_mov_b32 v60, v24
	v_dual_mov_b32 v72, v36 :: v_dual_mov_b32 v61, v25
	;; [unrolled: 1-line block ×43, first 2 shown]
	v_mov_b32_e32 v97, v13
	v_mov_b32_e32 v1, v39
	s_mov_b32 s2, exec_lo
	v_dual_mov_b32 v95, v35 :: v_dual_mov_b32 v94, v34
	v_dual_mov_b32 v93, v33 :: v_dual_mov_b32 v92, v32
	;; [unrolled: 1-line block ×5, first 2 shown]
	v_cmpx_lt_f32_e32 v2, v39
	s_cbranch_execz .LBB198_97
; %bb.96:
	v_dual_mov_b32 v108, v24 :: v_dual_mov_b32 v107, v23
	v_dual_mov_b32 v98, v14 :: v_dual_mov_b32 v97, v13
	v_mov_b32_e32 v98, v15
	v_dual_mov_b32 v104, v20 :: v_dual_mov_b32 v103, v19
	v_dual_mov_b32 v100, v16 :: v_dual_mov_b32 v99, v15
	v_dual_mov_b32 v120, v36 :: v_dual_mov_b32 v119, v35
	v_dual_mov_b32 v102, v18 :: v_dual_mov_b32 v101, v17
	v_dual_mov_b32 v99, v14 :: v_dual_mov_b32 v112, v28
	v_dual_mov_b32 v111, v27 :: v_dual_mov_b32 v110, v26
	v_dual_mov_b32 v109, v25 :: v_dual_mov_b32 v106, v22
	v_dual_mov_b32 v105, v21 :: v_dual_mov_b32 v118, v34
	v_dual_mov_b32 v117, v33 :: v_dual_mov_b32 v116, v32
	v_dual_mov_b32 v115, v31 :: v_dual_mov_b32 v114, v30
	v_dual_mov_b32 v113, v29 :: v_dual_mov_b32 v110, v27
	v_dual_mov_b32 v111, v26 :: v_dual_mov_b32 v144, v108
	v_dual_mov_b32 v143, v107 :: v_dual_mov_b32 v134, v98
	v_dual_mov_b32 v133, v97 :: v_dual_mov_b32 v140, v104
	v_dual_mov_b32 v139, v103 :: v_dual_mov_b32 v132, v120
	v_dual_mov_b32 v129, v117 :: v_dual_mov_b32 v138, v102
	v_dual_mov_b32 v137, v101 :: v_dual_mov_b32 v136, v100
	v_dual_mov_b32 v135, v99 :: v_dual_mov_b32 v124, v112
	v_dual_mov_b32 v121, v109 :: v_dual_mov_b32 v142, v106
	v_dual_mov_b32 v141, v105 :: v_dual_mov_b32 v136, v16
	v_dual_mov_b32 v131, v119 :: v_dual_mov_b32 v130, v118
	v_dual_mov_b32 v127, v115 :: v_dual_mov_b32 v128, v116
	v_dual_mov_b32 v125, v113 :: v_dual_mov_b32 v126, v114
	v_dual_mov_b32 v123, v111 :: v_dual_mov_b32 v124, v28
	v_dual_mov_b32 v122, v110 :: v_dual_mov_b32 v73, v133
	v_dual_mov_b32 v80, v140 :: v_dual_mov_b32 v83, v143
	v_mov_b32_e32 v84, v144
	v_dual_mov_b32 v74, v134 :: v_dual_mov_b32 v77, v137
	v_mov_b32_e32 v75, v135
	v_dual_mov_b32 v38, v39 :: v_dual_mov_b32 v85, v121
	v_dual_mov_b32 v76, v136 :: v_dual_mov_b32 v79, v139
	;; [unrolled: 1-line block ×10, first 2 shown]
	v_mov_b32_e32 v39, v2
	v_dual_mov_b32 v49, v73 :: v_dual_mov_b32 v50, v74
	v_dual_mov_b32 v59, v83 :: v_dual_mov_b32 v60, v84
	;; [unrolled: 1-line block ×18, first 2 shown]
	v_mov_b32_e32 v70, v34
	v_dual_mov_b32 v72, v36 :: v_dual_mov_b32 v1, v2
	v_mov_b32_e32 v27, v26
	v_mov_b32_e32 v15, v14
.LBB198_97:
	s_or_b32 exec_lo, exec_lo, s2
	v_mov_b32_e32 v2, v40
	s_mov_b32 s2, exec_lo
	v_cmpx_lt_f32_e32 v1, v40
	s_cbranch_execz .LBB198_99
; %bb.98:
	v_mov_b32_e32 v99, v16
	v_mov_b32_e32 v144, v108
	;; [unrolled: 1-line block ×3, first 2 shown]
	v_dual_mov_b32 v136, v15 :: v_dual_mov_b32 v111, v28
	v_dual_mov_b32 v142, v106 :: v_dual_mov_b32 v133, v97
	;; [unrolled: 1-line block ×4, first 2 shown]
	v_mov_b32_e32 v135, v99
	v_dual_mov_b32 v125, v113 :: v_dual_mov_b32 v124, v112
	v_mov_b32_e32 v143, v107
	v_dual_mov_b32 v141, v105 :: v_dual_mov_b32 v140, v104
	v_dual_mov_b32 v139, v103 :: v_dual_mov_b32 v138, v102
	;; [unrolled: 1-line block ×18, first 2 shown]
	v_mov_b32_e32 v95, v131
	v_dual_mov_b32 v89, v29 :: v_dual_mov_b32 v88, v124
	v_dual_mov_b32 v49, v73 :: v_dual_mov_b32 v54, v78
	v_mov_b32_e32 v50, v74
	v_dual_mov_b32 v52, v76 :: v_dual_mov_b32 v61, v85
	s_delay_alu instid0(VALU_DEP_4)
	v_dual_mov_b32 v64, v88 :: v_dual_mov_b32 v51, v75
	v_dual_mov_b32 v56, v80 :: v_dual_mov_b32 v53, v77
	;; [unrolled: 1-line block ×12, first 2 shown]
	v_mov_b32_e32 v58, v22
	v_dual_mov_b32 v57, v146 :: v_dual_mov_b32 v60, v24
	v_dual_mov_b32 v59, v23 :: v_dual_mov_b32 v62, v86
	;; [unrolled: 1-line block ×5, first 2 shown]
	v_mov_b32_e32 v2, v1
	v_mov_b32_e32 v28, v27
	;; [unrolled: 1-line block ×3, first 2 shown]
.LBB198_99:
	s_or_b32 exec_lo, exec_lo, s2
	v_mov_b32_e32 v1, v41
	s_mov_b32 s2, exec_lo
	v_cmpx_lt_f32_e32 v2, v41
	s_cbranch_execz .LBB198_101
; %bb.100:
	v_mov_b32_e32 v100, v17
	v_mov_b32_e32 v73, v97
	;; [unrolled: 1-line block ×3, first 2 shown]
	v_dual_mov_b32 v77, v16 :: v_dual_mov_b32 v78, v102
	v_dual_mov_b32 v112, v29 :: v_dual_mov_b32 v75, v99
	v_dual_mov_b32 v82, v106 :: v_dual_mov_b32 v83, v107
	v_mov_b32_e32 v84, v108
	v_dual_mov_b32 v74, v98 :: v_dual_mov_b32 v85, v109
	v_mov_b32_e32 v86, v110
	v_dual_mov_b32 v76, v100 :: v_dual_mov_b32 v79, v103
	v_dual_mov_b32 v80, v104 :: v_dual_mov_b32 v81, v105
	;; [unrolled: 1-line block ×8, first 2 shown]
	v_mov_b32_e32 v49, v73
	v_dual_mov_b32 v89, v28 :: v_dual_mov_b32 v50, v74
	v_dual_mov_b32 v59, v83 :: v_dual_mov_b32 v60, v84
	;; [unrolled: 1-line block ×32, first 2 shown]
	v_mov_b32_e32 v17, v16
.LBB198_101:
	s_or_b32 exec_lo, exec_lo, s2
	v_mov_b32_e32 v2, v42
	s_mov_b32 s2, exec_lo
	v_cmpx_lt_f32_e32 v1, v42
	s_cbranch_execz .LBB198_103
; %bb.102:
	v_mov_b32_e32 v137, v18
	v_mov_b32_e32 v125, v30
	v_dual_mov_b32 v41, v42 :: v_dual_mov_b32 v42, v1
	v_dual_mov_b32 v49, v133 :: v_dual_mov_b32 v50, v134
	;; [unrolled: 1-line block ×13, first 2 shown]
	v_mov_b32_e32 v66, v29
	v_dual_mov_b32 v85, v121 :: v_dual_mov_b32 v86, v122
	v_dual_mov_b32 v73, v133 :: v_dual_mov_b32 v74, v134
	;; [unrolled: 1-line block ×4, first 2 shown]
	v_mov_b32_e32 v64, v124
	v_dual_mov_b32 v58, v22 :: v_dual_mov_b32 v59, v23
	v_dual_mov_b32 v67, v31 :: v_dual_mov_b32 v68, v32
	;; [unrolled: 1-line block ×8, first 2 shown]
	v_mov_b32_e32 v2, v1
	v_mov_b32_e32 v30, v29
	v_dual_mov_b32 v18, v17 :: v_dual_mov_b32 v91, v127
	v_dual_mov_b32 v92, v128 :: v_dual_mov_b32 v93, v129
	;; [unrolled: 1-line block ×6, first 2 shown]
	v_mov_b32_e32 v84, v144
.LBB198_103:
	s_or_b32 exec_lo, exec_lo, s2
	v_mov_b32_e32 v1, v43
	s_mov_b32 s2, exec_lo
	v_cmpx_lt_f32_e32 v2, v43
	s_cbranch_execz .LBB198_105
; %bb.104:
	v_dual_mov_b32 v94, v34 :: v_dual_mov_b32 v95, v35
	v_dual_mov_b32 v78, v19 :: v_dual_mov_b32 v79, v18
	;; [unrolled: 1-line block ×6, first 2 shown]
	v_mov_b32_e32 v96, v36
	v_dual_mov_b32 v42, v43 :: v_dual_mov_b32 v43, v2
	v_dual_mov_b32 v84, v24 :: v_dual_mov_b32 v61, v85
	;; [unrolled: 1-line block ×14, first 2 shown]
.LBB198_105:
	s_or_b32 exec_lo, exec_lo, s2
	s_delay_alu instid0(VALU_DEP_1)
	v_cmp_lt_f32_e32 vcc_lo, v1, v44
	v_dual_mov_b32 v3, v39 :: v_dual_mov_b32 v10, v46
	v_dual_mov_b32 v5, v41 :: v_dual_mov_b32 v12, v48
	v_dual_cndmask_b32 v121, v68, v67 :: v_dual_mov_b32 v2, v38
	v_dual_cndmask_b32 v67, v67, v68 :: v_dual_cndmask_b32 v122, v56, v55
	v_dual_cndmask_b32 v55, v55, v56 :: v_dual_cndmask_b32 v8, v44, v1
	v_dual_cndmask_b32 v7, v43, v44 :: v_dual_mov_b32 v4, v40
	v_dual_mov_b32 v1, v37 :: v_dual_mov_b32 v6, v42
	v_mov_b32_e32 v9, v45
	v_mov_b32_e32 v11, v47
	s_mov_b32 s2, exec_lo
	v_cmpx_lt_f32_e32 v37, v38
	s_cbranch_execz .LBB198_107
; %bb.106:
	v_dual_mov_b32 v13, v2 :: v_dual_mov_b32 v14, v1
	v_dual_mov_b32 v15, v3 :: v_dual_mov_b32 v16, v4
	;; [unrolled: 1-line block ×6, first 2 shown]
	v_mov_b32_e32 v25, v61
	v_mov_b32_e32 v26, v49
	v_dual_mov_b32 v1, v13 :: v_dual_mov_b32 v4, v16
	v_swap_b32 v61, v62
	v_swap_b32 v49, v50
	v_dual_mov_b32 v2, v14 :: v_dual_mov_b32 v3, v15
	v_dual_mov_b32 v5, v17 :: v_dual_mov_b32 v6, v18
	;; [unrolled: 1-line block ×5, first 2 shown]
	v_mov_b32_e32 v38, v37
.LBB198_107:
	s_or_b32 exec_lo, exec_lo, s2
	v_mov_b32_e32 v56, v122
	v_mov_b32_e32 v68, v121
	;; [unrolled: 1-line block ×3, first 2 shown]
	v_dual_mov_b32 v27, v51 :: v_dual_mov_b32 v84, v72
	v_mov_b32_e32 v81, v69
	v_dual_mov_b32 v83, v71 :: v_dual_mov_b32 v96, v60
	v_dual_mov_b32 v91, v55 :: v_dual_mov_b32 v120, v72
	;; [unrolled: 1-line block ×31, first 2 shown]
	v_mov_b32_e32 v24, v60
	s_mov_b32 s2, exec_lo
	v_dual_mov_b32 v118, v70 :: v_dual_mov_b32 v115, v67
	v_dual_mov_b32 v116, v68 :: v_dual_mov_b32 v113, v65
	;; [unrolled: 1-line block ×3, first 2 shown]
	v_cmpx_lt_f32_e32 v38, v3
	s_cbranch_execz .LBB198_109
; %bb.108:
	v_dual_mov_b32 v13, v49 :: v_dual_mov_b32 v14, v50
	v_dual_mov_b32 v23, v59 :: v_dual_mov_b32 v24, v60
	;; [unrolled: 1-line block ×30, first 2 shown]
	v_mov_b32_e32 v112, v64
	v_dual_mov_b32 v34, v94 :: v_dual_mov_b32 v35, v95
	v_dual_mov_b32 v35, v59 :: v_dual_mov_b32 v34, v58
	;; [unrolled: 1-line block ×15, first 2 shown]
	v_mov_b32_e32 v81, v69
	v_dual_mov_b32 v80, v121 :: v_dual_mov_b32 v83, v71
	v_mov_b32_e32 v82, v70
	v_dual_mov_b32 v84, v72 :: v_dual_mov_b32 v37, v38
	v_mov_b32_e32 v63, v62
	v_mov_b32_e32 v51, v50
.LBB198_109:
	s_or_b32 exec_lo, exec_lo, s2
	v_mov_b32_e32 v38, v4
	s_mov_b32 s2, exec_lo
	v_cmpx_lt_f32_e32 v37, v4
	s_cbranch_execz .LBB198_111
; %bb.110:
	v_mov_b32_e32 v15, v52
	v_mov_b32_e32 v96, v24
	;; [unrolled: 1-line block ×3, first 2 shown]
	v_dual_mov_b32 v88, v51 :: v_dual_mov_b32 v99, v64
	v_dual_mov_b32 v94, v22 :: v_dual_mov_b32 v85, v13
	v_dual_mov_b32 v120, v108 :: v_dual_mov_b32 v109, v97
	v_mov_b32_e32 v95, v23
	v_dual_mov_b32 v93, v21 :: v_dual_mov_b32 v92, v20
	v_dual_mov_b32 v91, v19 :: v_dual_mov_b32 v90, v18
	;; [unrolled: 1-line block ×7, first 2 shown]
	v_mov_b32_e32 v87, v15
	v_dual_mov_b32 v111, v99 :: v_dual_mov_b32 v110, v98
	v_dual_mov_b32 v112, v63 :: v_dual_mov_b32 v25, v85
	;; [unrolled: 1-line block ×3, first 2 shown]
	s_delay_alu instid0(VALU_DEP_3)
	v_dual_mov_b32 v74, v110 :: v_dual_mov_b32 v29, v89
	v_dual_mov_b32 v30, v90 :: v_dual_mov_b32 v31, v91
	;; [unrolled: 1-line block ×8, first 2 shown]
	v_mov_b32_e32 v84, v120
	v_dual_mov_b32 v3, v4 :: v_dual_mov_b32 v4, v37
	v_dual_mov_b32 v27, v87 :: v_dual_mov_b32 v28, v88
	;; [unrolled: 1-line block ×11, first 2 shown]
	v_mov_b32_e32 v38, v37
	v_mov_b32_e32 v64, v63
	;; [unrolled: 1-line block ×3, first 2 shown]
.LBB198_111:
	s_or_b32 exec_lo, exec_lo, s2
	v_mov_b32_e32 v16, v5
	s_mov_b32 s2, exec_lo
	v_cmpx_lt_f32_e32 v38, v5
	s_cbranch_execz .LBB198_113
; %bb.112:
	v_mov_b32_e32 v100, v65
	v_mov_b32_e32 v16, v53
	v_dual_mov_b32 v4, v5 :: v_dual_mov_b32 v5, v38
	v_dual_mov_b32 v36, v24 :: v_dual_mov_b32 v33, v21
	;; [unrolled: 1-line block ×3, first 2 shown]
	v_mov_b32_e32 v31, v19
	v_dual_mov_b32 v35, v59 :: v_dual_mov_b32 v34, v58
	v_dual_mov_b32 v73, v97 :: v_dual_mov_b32 v32, v20
	;; [unrolled: 1-line block ×8, first 2 shown]
	v_mov_b32_e32 v77, v64
	v_dual_mov_b32 v84, v108 :: v_dual_mov_b32 v79, v67
	v_dual_mov_b32 v120, v108 :: v_dual_mov_b32 v115, v103
	;; [unrolled: 1-line block ×19, first 2 shown]
	v_mov_b32_e32 v88, v16
	v_dual_mov_b32 v86, v14 :: v_dual_mov_b32 v65, v64
	v_dual_mov_b32 v16, v38 :: v_dual_mov_b32 v53, v52
	;; [unrolled: 1-line block ×3, first 2 shown]
.LBB198_113:
	s_or_b32 exec_lo, exec_lo, s2
	v_mov_b32_e32 v13, v6
	s_mov_b32 s2, exec_lo
	v_cmpx_lt_f32_e32 v16, v6
	s_cbranch_execz .LBB198_115
; %bb.114:
	v_dual_mov_b32 v89, v54 :: v_dual_mov_b32 v90, v53
	v_dual_mov_b32 v91, v55 :: v_dual_mov_b32 v92, v122
	;; [unrolled: 1-line block ×21, first 2 shown]
	v_mov_b32_e32 v13, v16
.LBB198_115:
	s_or_b32 exec_lo, exec_lo, s2
	s_delay_alu instid0(VALU_DEP_1)
	v_cmp_lt_f32_e32 vcc_lo, v13, v7
	v_dual_mov_b32 v14, v2 :: v_dual_mov_b32 v17, v5
	v_dual_mov_b32 v16, v4 :: v_dual_mov_b32 v21, v9
	v_dual_cndmask_b32 v37, v79, v78 :: v_dual_cndmask_b32 v78, v78, v79
	v_cndmask_b32_e32 v38, v31, v30, vcc_lo
	v_dual_cndmask_b32 v30, v30, v31 :: v_dual_cndmask_b32 v19, v7, v13
	v_dual_cndmask_b32 v18, v6, v7 :: v_dual_mov_b32 v15, v3
	v_dual_mov_b32 v13, v1 :: v_dual_mov_b32 v20, v8
	v_dual_mov_b32 v23, v11 :: v_dual_mov_b32 v22, v10
	v_mov_b32_e32 v24, v12
	s_mov_b32 s2, exec_lo
	v_cmpx_lt_f32_e32 v1, v2
	s_cbranch_execz .LBB198_117
; %bb.116:
	v_dual_mov_b32 v2, v14 :: v_dual_mov_b32 v3, v13
	v_dual_mov_b32 v12, v23 :: v_dual_mov_b32 v13, v24
	;; [unrolled: 1-line block ×6, first 2 shown]
	v_mov_b32_e32 v24, v13
	v_mov_b32_e32 v31, v73
	v_dual_mov_b32 v39, v25 :: v_dual_mov_b32 v18, v7
	v_swap_b32 v73, v74
	v_swap_b32 v25, v26
	v_dual_mov_b32 v23, v12 :: v_dual_mov_b32 v20, v9
	v_dual_mov_b32 v22, v11 :: v_dual_mov_b32 v21, v10
	;; [unrolled: 1-line block ×4, first 2 shown]
	v_mov_b32_e32 v15, v4
	v_dual_mov_b32 v13, v2 :: v_dual_mov_b32 v2, v1
.LBB198_117:
	s_or_b32 exec_lo, exec_lo, s2
	v_mov_b32_e32 v31, v38
	v_dual_mov_b32 v79, v37 :: v_dual_mov_b32 v50, v36
	v_dual_mov_b32 v51, v73 :: v_dual_mov_b32 v52, v74
	;; [unrolled: 1-line block ×24, first 2 shown]
	v_mov_b32_e32 v85, v25
	v_mov_b32_e32 v1, v15
	s_mov_b32 s2, exec_lo
	v_cmpx_lt_f32_e32 v2, v15
	s_cbranch_execz .LBB198_119
; %bb.118:
	v_dual_mov_b32 v96, v36 :: v_dual_mov_b32 v95, v35
	v_dual_mov_b32 v86, v26 :: v_dual_mov_b32 v85, v25
	;; [unrolled: 1-line block ×8, first 2 shown]
	v_mov_b32_e32 v105, v81
	v_dual_mov_b32 v43, v89 :: v_dual_mov_b32 v44, v90
	v_dual_mov_b32 v100, v76 :: v_dual_mov_b32 v97, v73
	;; [unrolled: 1-line block ×6, first 2 shown]
	v_mov_b32_e32 v98, v74
	v_dual_mov_b32 v98, v75 :: v_dual_mov_b32 v99, v74
	v_dual_mov_b32 v49, v95 :: v_dual_mov_b32 v50, v96
	v_dual_mov_b32 v50, v36 :: v_dual_mov_b32 v51, v97
	v_dual_mov_b32 v41, v87 :: v_dual_mov_b32 v42, v88
	v_dual_mov_b32 v45, v91 :: v_dual_mov_b32 v46, v92
	v_dual_mov_b32 v47, v93 :: v_dual_mov_b32 v48, v94
	v_dual_mov_b32 v54, v100 :: v_dual_mov_b32 v55, v101
	v_dual_mov_b32 v56, v102 :: v_dual_mov_b32 v57, v103
	v_dual_mov_b32 v58, v104 :: v_dual_mov_b32 v59, v105
	v_dual_mov_b32 v60, v106 :: v_dual_mov_b32 v61, v107
	v_dual_mov_b32 v62, v108 :: v_dual_mov_b32 v55, v77
	v_dual_mov_b32 v14, v15 :: v_dual_mov_b32 v15, v2
	v_mov_b32_e32 v40, v86
	v_dual_mov_b32 v42, v28 :: v_dual_mov_b32 v43, v29
	v_dual_mov_b32 v45, v38 :: v_dual_mov_b32 v46, v32
	;; [unrolled: 1-line block ×9, first 2 shown]
	v_mov_b32_e32 v75, v74
	v_mov_b32_e32 v27, v26
.LBB198_119:
	s_or_b32 exec_lo, exec_lo, s2
	v_mov_b32_e32 v2, v16
	s_mov_b32 s2, exec_lo
	v_cmpx_lt_f32_e32 v1, v16
	s_cbranch_execz .LBB198_121
; %bb.120:
	v_mov_b32_e32 v87, v28
	v_mov_b32_e32 v99, v76
	v_dual_mov_b32 v15, v16 :: v_dual_mov_b32 v16, v1
	v_dual_mov_b32 v39, v85 :: v_dual_mov_b32 v42, v88
	;; [unrolled: 1-line block ×13, first 2 shown]
	v_mov_b32_e32 v56, v78
	v_mov_b32_e32 v40, v86
	v_dual_mov_b32 v42, v27 :: v_dual_mov_b32 v43, v29
	v_dual_mov_b32 v45, v38 :: v_dual_mov_b32 v46, v32
	;; [unrolled: 1-line block ×8, first 2 shown]
	v_mov_b32_e32 v2, v1
	v_mov_b32_e32 v76, v75
	;; [unrolled: 1-line block ×3, first 2 shown]
.LBB198_121:
	s_or_b32 exec_lo, exec_lo, s2
	v_mov_b32_e32 v1, v17
	s_mov_b32 s2, exec_lo
	v_cmpx_lt_f32_e32 v2, v17
	s_cbranch_execz .LBB198_123
; %bb.122:
	v_dual_mov_b32 v106, v82 :: v_dual_mov_b32 v107, v83
	v_dual_mov_b32 v88, v29 :: v_dual_mov_b32 v89, v28
	;; [unrolled: 1-line block ×8, first 2 shown]
	v_mov_b32_e32 v108, v84
	v_dual_mov_b32 v16, v17 :: v_dual_mov_b32 v17, v2
	v_dual_mov_b32 v96, v36 :: v_dual_mov_b32 v51, v97
	;; [unrolled: 1-line block ×14, first 2 shown]
.LBB198_123:
	s_or_b32 exec_lo, exec_lo, s2
	s_delay_alu instid0(VALU_DEP_1)
	v_cmp_lt_f32_e32 vcc_lo, v1, v18
	v_dual_mov_b32 v27, v13 :: v_dual_mov_b32 v34, v20
	v_dual_mov_b32 v29, v15 :: v_dual_mov_b32 v36, v22
	v_dual_cndmask_b32 v63, v56, v55 :: v_dual_cndmask_b32 v32, v18, v1
	v_dual_cndmask_b32 v55, v55, v56 :: v_dual_cndmask_b32 v64, v44, v43
	v_dual_cndmask_b32 v43, v43, v44 :: v_dual_mov_b32 v28, v14
	v_dual_cndmask_b32 v31, v17, v18 :: v_dual_mov_b32 v30, v16
	v_dual_mov_b32 v33, v19 :: v_dual_mov_b32 v38, v24
	v_mov_b32_e32 v35, v21
	v_mov_b32_e32 v37, v23
	s_mov_b32 s2, exec_lo
	v_cmpx_lt_f32_e32 v13, v14
	s_cbranch_execz .LBB198_125
; %bb.124:
	s_delay_alu instid0(VALU_DEP_2)
	v_dual_mov_b32 v11, v37 :: v_dual_mov_b32 v12, v38
	v_dual_mov_b32 v1, v28 :: v_dual_mov_b32 v2, v27
	;; [unrolled: 1-line block ×7, first 2 shown]
	s_delay_alu instid0(VALU_DEP_2)
	v_dual_mov_b32 v16, v39 :: v_dual_mov_b32 v35, v9
	v_swap_b32 v51, v52
	v_swap_b32 v39, v40
	v_dual_mov_b32 v37, v11 :: v_dual_mov_b32 v36, v10
	v_dual_mov_b32 v34, v8 :: v_dual_mov_b32 v33, v7
	;; [unrolled: 1-line block ×5, first 2 shown]
	v_mov_b32_e32 v14, v13
.LBB198_125:
	s_or_b32 exec_lo, exec_lo, s2
	v_mov_b32_e32 v44, v64
	v_mov_b32_e32 v56, v63
	;; [unrolled: 1-line block ×4, first 2 shown]
	v_dual_mov_b32 v15, v51 :: v_dual_mov_b32 v2, v40
	v_dual_mov_b32 v16, v52 :: v_dual_mov_b32 v17, v53
	;; [unrolled: 1-line block ×11, first 2 shown]
	v_mov_b32_e32 v12, v50
	s_mov_b32 s2, exec_lo
	v_cmpx_lt_f32_e32 v14, v29
	s_cbranch_execz .LBB198_127
; %bb.126:
	v_dual_mov_b32 v1, v39 :: v_dual_mov_b32 v2, v40
	v_dual_mov_b32 v11, v49 :: v_dual_mov_b32 v12, v50
	;; [unrolled: 1-line block ×25, first 2 shown]
	v_mov_b32_e32 v41, v40
.LBB198_127:
	s_or_b32 exec_lo, exec_lo, s2
	v_mov_b32_e32 v39, v30
	s_mov_b32 s2, exec_lo
	v_cmpx_lt_f32_e32 v13, v30
	s_cbranch_execz .LBB198_129
; %bb.128:
	v_dual_mov_b32 v29, v30 :: v_dual_mov_b32 v30, v13
	v_dual_mov_b32 v3, v42 :: v_dual_mov_b32 v4, v41
	;; [unrolled: 1-line block ×11, first 2 shown]
	v_mov_b32_e32 v39, v13
.LBB198_129:
	s_or_b32 exec_lo, exec_lo, s2
	s_delay_alu instid0(VALU_DEP_1)
	v_cmp_lt_f32_e32 vcc_lo, v39, v31
	v_dual_mov_b32 v40, v28 :: v_dual_mov_b32 v45, v33
	v_dual_mov_b32 v44, v32 :: v_dual_mov_b32 v47, v35
	v_dual_cndmask_b32 v13, v19, v18 :: v_dual_cndmask_b32 v18, v18, v19
	v_dual_cndmask_b32 v14, v5, v4 :: v_dual_cndmask_b32 v43, v31, v39
	v_dual_cndmask_b32 v4, v4, v5 :: v_dual_mov_b32 v39, v27
	v_dual_cndmask_b32 v42, v30, v31 :: v_dual_mov_b32 v41, v29
	v_dual_mov_b32 v46, v34 :: v_dual_mov_b32 v49, v37
	v_mov_b32_e32 v48, v36
	v_mov_b32_e32 v50, v38
	s_mov_b32 s2, exec_lo
	v_cmpx_lt_f32_e32 v27, v28
	s_cbranch_execz .LBB198_131
; %bb.130:
	v_dual_mov_b32 v28, v40 :: v_dual_mov_b32 v29, v39
	v_dual_mov_b32 v38, v49 :: v_dual_mov_b32 v39, v50
	;; [unrolled: 1-line block ×7, first 2 shown]
	v_mov_b32_e32 v5, v15
	v_swap_b32 v15, v16
	s_delay_alu instid0(VALU_DEP_4)
	v_mov_b32_e32 v48, v37
	v_swap_b32 v1, v2
	v_dual_mov_b32 v49, v38 :: v_dual_mov_b32 v46, v35
	v_dual_mov_b32 v47, v36 :: v_dual_mov_b32 v44, v33
	v_dual_mov_b32 v45, v34 :: v_dual_mov_b32 v42, v31
	v_dual_mov_b32 v43, v32 :: v_dual_mov_b32 v40, v29
	v_mov_b32_e32 v41, v30
	v_dual_mov_b32 v39, v28 :: v_dual_mov_b32 v28, v27
.LBB198_131:
	s_or_b32 exec_lo, exec_lo, s2
	v_mov_b32_e32 v5, v14
	v_mov_b32_e32 v19, v13
	;; [unrolled: 1-line block ×3, first 2 shown]
	s_mov_b32 s2, exec_lo
	v_cmpx_lt_f32_e32 v28, v41
	s_cbranch_execz .LBB198_133
; %bb.132:
	v_dual_mov_b32 v74, v26 :: v_dual_mov_b32 v73, v25
	v_dual_mov_b32 v62, v12 :: v_dual_mov_b32 v61, v11
	;; [unrolled: 1-line block ×22, first 2 shown]
	v_mov_b32_e32 v74, v26
	v_dual_mov_b32 v40, v41 :: v_dual_mov_b32 v41, v28
	v_dual_mov_b32 v62, v12 :: v_dual_mov_b32 v15, v63
	;; [unrolled: 1-line block ×14, first 2 shown]
.LBB198_133:
	s_or_b32 exec_lo, exec_lo, s2
	s_delay_alu instid0(VALU_DEP_1)
	v_cmp_lt_f32_e32 vcc_lo, v27, v42
	v_dual_mov_b32 v28, v23 :: v_dual_mov_b32 v29, v24
	v_dual_mov_b32 v30, v25 :: v_dual_mov_b32 v31, v26
	v_dual_cndmask_b32 v13, v18, v17 :: v_dual_cndmask_b32 v14, v4, v3
	v_dual_cndmask_b32 v51, v17, v18 :: v_dual_cndmask_b32 v56, v3, v4
	v_dual_cndmask_b32 v3, v42, v27 :: v_dual_cndmask_b32 v60, v41, v42
	v_cmp_lt_f32_e32 vcc_lo, v39, v40
	v_dual_mov_b32 v4, v19 :: v_dual_mov_b32 v17, v20
	v_dual_mov_b32 v18, v21 :: v_dual_mov_b32 v27, v22
	v_dual_mov_b32 v32, v5 :: v_dual_mov_b32 v33, v6
	v_dual_mov_b32 v34, v7 :: v_dual_mov_b32 v35, v8
	v_dual_mov_b32 v36, v9 :: v_dual_mov_b32 v37, v10
	v_dual_mov_b32 v38, v11 :: v_dual_mov_b32 v41, v12
	v_dual_mov_b32 v61, v40 :: v_dual_mov_b32 v42, v43
	v_dual_mov_b32 v52, v44 :: v_dual_mov_b32 v53, v45
	v_dual_mov_b32 v54, v46 :: v_dual_mov_b32 v55, v47
	v_dual_mov_b32 v57, v48 :: v_dual_mov_b32 v58, v49
	v_mov_b32_e32 v59, v50
	s_and_saveexec_b32 s2, vcc_lo
	s_cbranch_execz .LBB198_135
; %bb.134:
	v_dual_mov_b32 v42, v40 :: v_dual_mov_b32 v27, v22
	v_dual_mov_b32 v4, v15 :: v_dual_mov_b32 v17, v20
	;; [unrolled: 1-line block ×3, first 2 shown]
	v_swap_b32 v15, v16
	v_swap_b32 v1, v2
	v_dual_mov_b32 v40, v39 :: v_dual_mov_b32 v29, v24
	v_dual_mov_b32 v4, v19 :: v_dual_mov_b32 v31, v26
	;; [unrolled: 1-line block ×11, first 2 shown]
	v_mov_b32_e32 v54, v46
	v_mov_b32_e32 v58, v49
.LBB198_135:
	s_or_b32 exec_lo, exec_lo, s2
	s_clause 0x1
	s_load_b32 s8, s[0:1], 0x28
	s_load_b128 s[4:7], s[0:1], 0x10
	s_waitcnt lgkmcnt(0)
	s_cmp_lt_i32 s8, 1
	s_cbranch_scc1 .LBB198_141
; %bb.136:
	v_cmp_lt_f32_e32 vcc_lo, v40, v60
	v_dual_mov_b32 v7, 0 :: v_dual_mov_b32 v6, 0
	s_mov_b32 s9, 0x76543210
	s_mov_b32 s10, s8
	v_dual_cndmask_b32 v5, v56, v2 :: v_dual_cndmask_b32 v12, v61, v60
	v_dual_cndmask_b32 v10, v2, v56 :: v_dual_cndmask_b32 v19, v16, v51
	v_cndmask_b32_e32 v2, v60, v40, vcc_lo
	v_cndmask_b32_e32 v8, v51, v16, vcc_lo
	s_delay_alu instid0(VALU_DEP_4) | instskip(NEXT) | instid1(VALU_DEP_1)
	v_cmp_lt_f32_e64 s2, v39, v12
	v_cndmask_b32_e64 v9, v10, v1, s2
	v_cndmask_b32_e64 v10, v1, v10, s2
	;; [unrolled: 1-line block ×6, first 2 shown]
	v_mov_b32_e32 v19, v0
	v_mov_b32_e32 v1, 0
.LBB198_137:                            ; =>This Inner Loop Header: Depth=1
	v_cmp_eq_u32_e32 vcc_lo, 1, v7
	v_cmp_eq_u32_e64 s2, 2, v7
	v_cmp_gt_u32_e64 s3, 12, v7
	v_dual_cndmask_b32 v20, v12, v11 :: v_dual_cndmask_b32 v21, v10, v9
	s_delay_alu instid0(VALU_DEP_1) | instskip(NEXT) | instid1(VALU_DEP_2)
	v_cndmask_b32_e64 v20, v20, v2, s2
	v_cndmask_b32_e64 v21, v21, v5, s2
	v_cndmask_b32_e32 v22, v15, v16, vcc_lo
	v_cmp_eq_u32_e32 vcc_lo, 3, v7
	s_delay_alu instid0(VALU_DEP_3) | instskip(NEXT) | instid1(VALU_DEP_3)
	v_cndmask_b32_e32 v21, v21, v14, vcc_lo
	v_cndmask_b32_e64 v22, v22, v8, s2
	v_cmp_eq_u32_e64 s2, 4, v7
	s_delay_alu instid0(VALU_DEP_2) | instskip(NEXT) | instid1(VALU_DEP_2)
	v_cndmask_b32_e32 v22, v22, v13, vcc_lo
	v_cndmask_b32_e64 v21, v21, v32, s2
	v_cndmask_b32_e32 v20, v20, v3, vcc_lo
	v_cmp_eq_u32_e32 vcc_lo, 5, v7
	s_delay_alu instid0(VALU_DEP_4) | instskip(NEXT) | instid1(VALU_DEP_4)
	v_cndmask_b32_e64 v22, v22, v4, s2
	v_cndmask_b32_e32 v21, v21, v33, vcc_lo
	s_delay_alu instid0(VALU_DEP_4) | instskip(SKIP_1) | instid1(VALU_DEP_4)
	v_cndmask_b32_e64 v20, v20, v42, s2
	v_cmp_eq_u32_e64 s2, 6, v7
	v_cndmask_b32_e32 v22, v22, v17, vcc_lo
	s_delay_alu instid0(VALU_DEP_3) | instskip(SKIP_1) | instid1(VALU_DEP_4)
	v_cndmask_b32_e32 v20, v20, v52, vcc_lo
	v_cmp_eq_u32_e32 vcc_lo, 7, v7
	v_cndmask_b32_e64 v21, v21, v34, s2
	s_delay_alu instid0(VALU_DEP_4) | instskip(NEXT) | instid1(VALU_DEP_4)
	v_cndmask_b32_e64 v22, v22, v18, s2
	v_cndmask_b32_e64 v20, v20, v53, s2
	v_cmp_eq_u32_e64 s2, 8, v7
	s_delay_alu instid0(VALU_DEP_4) | instskip(NEXT) | instid1(VALU_DEP_4)
	v_cndmask_b32_e32 v21, v21, v35, vcc_lo
	v_cndmask_b32_e32 v22, v22, v27, vcc_lo
	s_delay_alu instid0(VALU_DEP_4) | instskip(SKIP_1) | instid1(VALU_DEP_4)
	v_cndmask_b32_e32 v20, v20, v54, vcc_lo
	v_cmp_eq_u32_e32 vcc_lo, 9, v7
	v_cndmask_b32_e64 v21, v21, v36, s2
	s_delay_alu instid0(VALU_DEP_4) | instskip(NEXT) | instid1(VALU_DEP_4)
	v_cndmask_b32_e64 v22, v22, v28, s2
	v_cndmask_b32_e64 v20, v20, v55, s2
	v_cmp_eq_u32_e64 s2, 10, v7
	s_delay_alu instid0(VALU_DEP_4) | instskip(NEXT) | instid1(VALU_DEP_4)
	v_cndmask_b32_e32 v21, v21, v37, vcc_lo
	v_cndmask_b32_e32 v22, v22, v29, vcc_lo
	s_delay_alu instid0(VALU_DEP_4) | instskip(SKIP_1) | instid1(VALU_DEP_4)
	v_cndmask_b32_e32 v20, v20, v57, vcc_lo
	v_cmp_eq_u32_e32 vcc_lo, 11, v7
	v_cndmask_b32_e64 v21, v21, v38, s2
	s_delay_alu instid0(VALU_DEP_3) | instskip(NEXT) | instid1(VALU_DEP_1)
	v_cndmask_b32_e64 v20, v20, v58, s2
	v_dual_cndmask_b32 v21, v21, v41 :: v_dual_cndmask_b32 v20, v20, v59
	s_delay_alu instid0(VALU_DEP_1)
	v_cndmask_b32_e64 v20, 0xff800000, v20, s3
	;;#ASMSTART
	v_max_f32 v23, v20, v20 quad_perm:[1,0,3,2] row_mask:0xf bank_mask:0xf bound_ctrl:1
	;;#ASMEND
	;;#ASMSTART
	v_max_f32 v24, v23, v23 quad_perm:[2,3,0,1] row_mask:0xf bank_mask:0xf bound_ctrl:1
	;;#ASMEND
	;;#ASMSTART
	v_max_f32 v23, v24, v24 row_half_mirror row_mask:0xf bank_mask:0xf bound_ctrl:1
	;;#ASMEND
	;;#ASMSTART
	v_max_f32 v24, v23, v23 row_mirror row_mask:0xf bank_mask:0xf bound_ctrl:1
	;;#ASMEND
	v_permlanex16_b32 v23, v24, s9, 0xfedcba98 op_sel:[1,1]
	s_delay_alu instid0(VALU_DEP_1) | instskip(NEXT) | instid1(VALU_DEP_1)
	v_dual_max_f32 v24, v24, v24 :: v_dual_max_f32 v23, v23, v23
	v_max_f32_e32 v23, v24, v23
	v_cndmask_b32_e64 v22, v22, v30, s2
	s_delay_alu instid0(VALU_DEP_2) | instskip(SKIP_1) | instid1(VALU_DEP_2)
	v_cmp_eq_f32_e64 s2, v20, v23
	v_cndmask_b32_e64 v20, 0, v21, s3
	s_ctz_i32_b32 s11, s2
	s_cmp_lg_u32 s2, 0
	s_cselect_b32 s2, s11, 0
	s_add_i32 s10, s10, -1
	v_readlane_b32 s11, v20, s2
	v_cndmask_b32_e32 v20, v22, v31, vcc_lo
	s_delay_alu instid0(VALU_DEP_2)
	v_cmp_eq_u32_e32 vcc_lo, s11, v21
	s_and_b32 s2, s11, 31
	s_and_b32 vcc_lo, s3, vcc_lo
	s_cmp_eq_u32 s10, 0
	v_cndmask_b32_e32 v20, 0, v20, vcc_lo
	v_add_co_ci_u32_e32 v7, vcc_lo, 0, v7, vcc_lo
	s_delay_alu instid0(VALU_DEP_2) | instskip(SKIP_2) | instid1(VALU_DEP_2)
	v_readlane_b32 s3, v20, s2
	v_cmp_eq_u32_e64 s2, 0, v19
	v_add_nc_u32_e32 v19, -1, v19
	v_cndmask_b32_e64 v6, v6, s3, s2
	v_cndmask_b32_e64 v1, v1, s11, s2
	s_cbranch_scc0 .LBB198_137
; %bb.138:
	s_mov_b32 s2, exec_lo
	v_cmpx_gt_i32_e64 s8, v0
	s_cbranch_execz .LBB198_140
.LBB198_139:
	s_clause 0x1
	s_load_b64 s[2:3], s[0:1], 0x20
	s_load_b32 s8, s[0:1], 0x30
	s_ashr_i32 s0, s15, 31
	v_lshlrev_b32_e32 v0, 2, v0
	s_waitcnt lgkmcnt(0)
	s_mul_i32 s1, s15, s3
	s_mul_hi_u32 s3, s15, s2
	s_mul_i32 s0, s0, s2
	s_add_i32 s1, s3, s1
	v_mul_f32_e32 v2, s8, v6
	s_add_i32 s1, s1, s0
	s_mul_i32 s0, s15, s2
	s_delay_alu instid0(SALU_CYCLE_1) | instskip(NEXT) | instid1(SALU_CYCLE_1)
	s_lshl_b64 s[0:1], s[0:1], 2
	s_add_u32 s2, s4, s0
	s_addc_u32 s3, s5, s1
	s_add_u32 s0, s6, s0
	s_addc_u32 s1, s7, s1
	s_clause 0x1
	global_store_b32 v0, v2, s[2:3]
	global_store_b32 v0, v1, s[0:1]
.LBB198_140:
	s_endpgm
.LBB198_141:
	v_dual_mov_b32 v1, 0 :: v_dual_mov_b32 v6, 0
	s_mov_b32 s2, exec_lo
	v_cmpx_gt_i32_e64 s8, v0
	s_cbranch_execnz .LBB198_139
	s_branch .LBB198_140
	.section	.rodata,"a",@progbits
	.p2align	6, 0x0
	.amdhsa_kernel _ZN5aiter24topk_softplus_kernel_optI6__half12hip_bfloat16Li384ELb0ELi0EEEvPKT_PKT0_PfPimiif
		.amdhsa_group_segment_fixed_size 0
		.amdhsa_private_segment_fixed_size 196
		.amdhsa_kernarg_size 52
		.amdhsa_user_sgpr_count 15
		.amdhsa_user_sgpr_dispatch_ptr 0
		.amdhsa_user_sgpr_queue_ptr 0
		.amdhsa_user_sgpr_kernarg_segment_ptr 1
		.amdhsa_user_sgpr_dispatch_id 0
		.amdhsa_user_sgpr_private_segment_size 0
		.amdhsa_wavefront_size32 1
		.amdhsa_uses_dynamic_stack 0
		.amdhsa_enable_private_segment 1
		.amdhsa_system_sgpr_workgroup_id_x 1
		.amdhsa_system_sgpr_workgroup_id_y 0
		.amdhsa_system_sgpr_workgroup_id_z 0
		.amdhsa_system_sgpr_workgroup_info 0
		.amdhsa_system_vgpr_workitem_id 0
		.amdhsa_next_free_vgpr 183
		.amdhsa_next_free_sgpr 16
		.amdhsa_reserve_vcc 1
		.amdhsa_float_round_mode_32 0
		.amdhsa_float_round_mode_16_64 0
		.amdhsa_float_denorm_mode_32 3
		.amdhsa_float_denorm_mode_16_64 3
		.amdhsa_dx10_clamp 1
		.amdhsa_ieee_mode 1
		.amdhsa_fp16_overflow 0
		.amdhsa_workgroup_processor_mode 1
		.amdhsa_memory_ordered 1
		.amdhsa_forward_progress 0
		.amdhsa_shared_vgpr_count 0
		.amdhsa_exception_fp_ieee_invalid_op 0
		.amdhsa_exception_fp_denorm_src 0
		.amdhsa_exception_fp_ieee_div_zero 0
		.amdhsa_exception_fp_ieee_overflow 0
		.amdhsa_exception_fp_ieee_underflow 0
		.amdhsa_exception_fp_ieee_inexact 0
		.amdhsa_exception_int_div_zero 0
	.end_amdhsa_kernel
	.section	.text._ZN5aiter24topk_softplus_kernel_optI6__half12hip_bfloat16Li384ELb0ELi0EEEvPKT_PKT0_PfPimiif,"axG",@progbits,_ZN5aiter24topk_softplus_kernel_optI6__half12hip_bfloat16Li384ELb0ELi0EEEvPKT_PKT0_PfPimiif,comdat
.Lfunc_end198:
	.size	_ZN5aiter24topk_softplus_kernel_optI6__half12hip_bfloat16Li384ELb0ELi0EEEvPKT_PKT0_PfPimiif, .Lfunc_end198-_ZN5aiter24topk_softplus_kernel_optI6__half12hip_bfloat16Li384ELb0ELi0EEEvPKT_PKT0_PfPimiif
                                        ; -- End function
	.section	.AMDGPU.csdata,"",@progbits
; Kernel info:
; codeLenInByte = 30456
; NumSgprs: 18
; NumVgprs: 183
; ScratchSize: 196
; MemoryBound: 0
; FloatMode: 240
; IeeeMode: 1
; LDSByteSize: 0 bytes/workgroup (compile time only)
; SGPRBlocks: 2
; VGPRBlocks: 22
; NumSGPRsForWavesPerEU: 18
; NumVGPRsForWavesPerEU: 183
; Occupancy: 8
; WaveLimiterHint : 0
; COMPUTE_PGM_RSRC2:SCRATCH_EN: 1
; COMPUTE_PGM_RSRC2:USER_SGPR: 15
; COMPUTE_PGM_RSRC2:TRAP_HANDLER: 0
; COMPUTE_PGM_RSRC2:TGID_X_EN: 1
; COMPUTE_PGM_RSRC2:TGID_Y_EN: 0
; COMPUTE_PGM_RSRC2:TGID_Z_EN: 0
; COMPUTE_PGM_RSRC2:TIDIG_COMP_CNT: 0
	.section	.text._ZN5aiter20topk_softplus_kernelI6__half12hip_bfloat16Dv4_fLb1ELi0EEEvPKT_PKT0_PfPimiiif,"axG",@progbits,_ZN5aiter20topk_softplus_kernelI6__half12hip_bfloat16Dv4_fLb1ELi0EEEvPKT_PKT0_PfPimiiif,comdat
	.protected	_ZN5aiter20topk_softplus_kernelI6__half12hip_bfloat16Dv4_fLb1ELi0EEEvPKT_PKT0_PfPimiiif ; -- Begin function _ZN5aiter20topk_softplus_kernelI6__half12hip_bfloat16Dv4_fLb1ELi0EEEvPKT_PKT0_PfPimiiif
	.globl	_ZN5aiter20topk_softplus_kernelI6__half12hip_bfloat16Dv4_fLb1ELi0EEEvPKT_PKT0_PfPimiiif
	.p2align	8
	.type	_ZN5aiter20topk_softplus_kernelI6__half12hip_bfloat16Dv4_fLb1ELi0EEEvPKT_PKT0_PfPimiiif,@function
_ZN5aiter20topk_softplus_kernelI6__half12hip_bfloat16Dv4_fLb1ELi0EEEvPKT_PKT0_PfPimiiif: ; @_ZN5aiter20topk_softplus_kernelI6__half12hip_bfloat16Dv4_fLb1ELi0EEEvPKT_PKT0_PfPimiiif
; %bb.0:
	s_clause 0x1
	s_load_b64 s[12:13], s[0:1], 0x28
	s_load_b256 s[4:11], s[0:1], 0x0
	v_lshlrev_b32_e32 v11, 2, v0
	v_lshl_add_u32 v12, v0, 4, 0
	s_waitcnt lgkmcnt(0)
	s_ashr_i32 s2, s12, 31
	s_mul_i32 s16, s15, s12
	s_lshr_b32 s2, s2, 30
	s_ashr_i32 s17, s16, 31
	s_add_i32 s2, s12, s2
	s_delay_alu instid0(SALU_CYCLE_1) | instskip(NEXT) | instid1(SALU_CYCLE_1)
	s_ashr_i32 s14, s2, 2
	v_cmp_gt_i32_e64 s2, s14, v0
	s_delay_alu instid0(VALU_DEP_1)
	s_and_saveexec_b32 s18, s2
	s_cbranch_execz .LBB199_11
; %bb.1:
	s_load_b32 s3, s[0:1], 0x44
	s_cmp_lg_u64 s[6:7], 0
	v_dual_mov_b32 v6, 0 :: v_dual_lshlrev_b32 v1, 3, v0
	s_cselect_b32 s20, -1, 0
	v_dual_mov_b32 v14, v0 :: v_dual_lshlrev_b32 v5, 2, v0
	v_lshl_add_u32 v13, v0, 4, 0
	s_mov_b32 s19, 0
	s_mov_b32 s31, 0x3fb8aa3b
	s_waitcnt lgkmcnt(0)
	s_and_b32 s21, s3, 0xffff
	s_add_u32 s22, s6, 2
	s_addc_u32 s23, s7, 0
	s_add_u32 s24, s6, 4
	s_addc_u32 s25, s7, 0
	;; [unrolled: 2-line block ×3, first 2 shown]
	s_lshl_b64 s[28:29], s[16:17], 1
	s_delay_alu instid0(SALU_CYCLE_1) | instskip(SKIP_2) | instid1(VALU_DEP_1)
	s_add_u32 s3, s4, s28
	s_addc_u32 s29, s5, s29
	v_add_co_u32 v7, s3, s3, v1
	v_add_co_ci_u32_e64 v8, null, s29, 0, s3
	s_lshl_b32 s28, s21, 3
	s_lshl_b32 s29, s21, 2
	;; [unrolled: 1-line block ×3, first 2 shown]
	s_branch .LBB199_3
.LBB199_2:                              ;   in Loop: Header=BB199_3 Depth=1
	v_add_nc_u32_e32 v14, s21, v14
	v_add_co_u32 v7, s3, v7, s28
	ds_store_b128 v13, v[1:4]
	v_add_co_ci_u32_e64 v8, s3, 0, v8, s3
	v_cmp_le_i32_e32 vcc_lo, s14, v14
	v_add_nc_u32_e32 v5, s29, v5
	v_add_nc_u32_e32 v13, s30, v13
	s_or_b32 s19, vcc_lo, s19
	s_delay_alu instid0(SALU_CYCLE_1)
	s_and_not1_b32 exec_lo, exec_lo, s19
	s_cbranch_execz .LBB199_11
.LBB199_3:                              ; =>This Inner Loop Header: Depth=1
	global_load_b64 v[3:4], v[7:8], off
	s_waitcnt vmcnt(0)
	v_cvt_f32_f16_e32 v1, v3
	s_delay_alu instid0(VALU_DEP_1) | instskip(NEXT) | instid1(VALU_DEP_1)
	v_mul_f32_e32 v2, 0x3fb8aa3b, v1
	v_cmp_gt_f32_e32 vcc_lo, 0xc2fc0000, v2
	v_cndmask_b32_e64 v9, 0, 0x42800000, vcc_lo
	v_cndmask_b32_e64 v2, 1.0, 0x1f800000, vcc_lo
	s_delay_alu instid0(VALU_DEP_2) | instskip(NEXT) | instid1(VALU_DEP_1)
	v_fma_mix_f32 v9, v3, s31, v9 op_sel_hi:[1,0,0]
	v_exp_f32_e32 v9, v9
	s_waitcnt_depctr 0xfff
	v_fma_f32 v2, v9, v2, 1.0
	s_delay_alu instid0(VALU_DEP_1) | instskip(SKIP_1) | instid1(VALU_DEP_1)
	v_cmp_gt_f32_e32 vcc_lo, 0x800000, v2
	v_cndmask_b32_e64 v9, 1.0, 0x4f800000, vcc_lo
	v_mul_f32_e32 v2, v2, v9
	v_cndmask_b32_e64 v9, 0, 0x42000000, vcc_lo
	v_cmp_lt_f16_e32 vcc_lo, 0x4d00, v3
	s_delay_alu instid0(VALU_DEP_3) | instskip(SKIP_2) | instid1(VALU_DEP_1)
	v_log_f32_e32 v2, v2
	s_waitcnt_depctr 0xfff
	v_sub_f32_e32 v2, v2, v9
	v_mul_f32_e32 v2, 0x3f317218, v2
	s_delay_alu instid0(VALU_DEP_1) | instskip(NEXT) | instid1(VALU_DEP_1)
	v_cndmask_b32_e32 v1, v2, v1, vcc_lo
	v_mul_f32_e32 v2, 0x4f800000, v1
	v_cmp_gt_f32_e32 vcc_lo, 0xf800000, v1
	s_delay_alu instid0(VALU_DEP_2) | instskip(NEXT) | instid1(VALU_DEP_1)
	v_cndmask_b32_e32 v1, v1, v2, vcc_lo
	v_sqrt_f32_e32 v2, v1
	s_waitcnt_depctr 0xfff
	v_add_nc_u32_e32 v9, -1, v2
	v_add_nc_u32_e32 v10, 1, v2
	s_delay_alu instid0(VALU_DEP_2) | instskip(NEXT) | instid1(VALU_DEP_2)
	v_fma_f32 v15, -v9, v2, v1
	v_fma_f32 v16, -v10, v2, v1
	s_delay_alu instid0(VALU_DEP_2) | instskip(NEXT) | instid1(VALU_DEP_1)
	v_cmp_ge_f32_e64 s3, 0, v15
	v_cndmask_b32_e64 v2, v2, v9, s3
	s_delay_alu instid0(VALU_DEP_3) | instskip(NEXT) | instid1(VALU_DEP_1)
	v_cmp_lt_f32_e64 s3, 0, v16
	v_cndmask_b32_e64 v2, v2, v10, s3
	s_delay_alu instid0(VALU_DEP_1) | instskip(NEXT) | instid1(VALU_DEP_1)
	v_mul_f32_e32 v9, 0x37800000, v2
	v_cndmask_b32_e32 v2, v2, v9, vcc_lo
	v_cmp_class_f32_e64 vcc_lo, v1, 0x260
	v_lshlrev_b64 v[9:10], 1, v[5:6]
	s_delay_alu instid0(VALU_DEP_3)
	v_cndmask_b32_e32 v1, v2, v1, vcc_lo
	s_and_not1_b32 vcc_lo, exec_lo, s20
	s_cbranch_vccnz .LBB199_5
; %bb.4:                                ;   in Loop: Header=BB199_3 Depth=1
	s_delay_alu instid0(VALU_DEP_2) | instskip(NEXT) | instid1(VALU_DEP_3)
	v_add_co_u32 v15, vcc_lo, s6, v9
	v_add_co_ci_u32_e32 v16, vcc_lo, s7, v10, vcc_lo
	global_load_u16 v2, v[15:16], off
	s_waitcnt vmcnt(0)
	v_lshlrev_b32_e32 v2, 16, v2
	s_delay_alu instid0(VALU_DEP_1)
	v_add_f32_e32 v1, v1, v2
.LBB199_5:                              ;   in Loop: Header=BB199_3 Depth=1
	v_lshrrev_b32_e32 v2, 16, v3
	s_delay_alu instid0(VALU_DEP_1) | instskip(NEXT) | instid1(VALU_DEP_1)
	v_cvt_f32_f16_e32 v15, v2
	v_mul_f32_e32 v16, 0x3fb8aa3b, v15
	s_delay_alu instid0(VALU_DEP_1) | instskip(SKIP_2) | instid1(VALU_DEP_2)
	v_cmp_gt_f32_e32 vcc_lo, 0xc2fc0000, v16
	v_cndmask_b32_e64 v17, 0, 0x42800000, vcc_lo
	v_cndmask_b32_e64 v16, 1.0, 0x1f800000, vcc_lo
	v_fma_mix_f32 v3, v3, s31, v17 op_sel:[1,0,0] op_sel_hi:[1,0,0]
	s_delay_alu instid0(VALU_DEP_1) | instskip(SKIP_2) | instid1(VALU_DEP_1)
	v_exp_f32_e32 v3, v3
	s_waitcnt_depctr 0xfff
	v_fma_f32 v3, v3, v16, 1.0
	v_cmp_gt_f32_e32 vcc_lo, 0x800000, v3
	v_cndmask_b32_e64 v16, 1.0, 0x4f800000, vcc_lo
	s_delay_alu instid0(VALU_DEP_1) | instskip(SKIP_2) | instid1(VALU_DEP_3)
	v_mul_f32_e32 v3, v3, v16
	v_cndmask_b32_e64 v16, 0, 0x42000000, vcc_lo
	v_cmp_lt_f16_e32 vcc_lo, 0x4d00, v2
	v_log_f32_e32 v3, v3
	s_waitcnt_depctr 0xfff
	v_sub_f32_e32 v3, v3, v16
	s_delay_alu instid0(VALU_DEP_1) | instskip(NEXT) | instid1(VALU_DEP_1)
	v_mul_f32_e32 v3, 0x3f317218, v3
	v_cndmask_b32_e32 v2, v3, v15, vcc_lo
	s_delay_alu instid0(VALU_DEP_1) | instskip(SKIP_1) | instid1(VALU_DEP_2)
	v_mul_f32_e32 v3, 0x4f800000, v2
	v_cmp_gt_f32_e32 vcc_lo, 0xf800000, v2
	v_cndmask_b32_e32 v2, v2, v3, vcc_lo
	s_delay_alu instid0(VALU_DEP_1) | instskip(SKIP_3) | instid1(VALU_DEP_2)
	v_sqrt_f32_e32 v3, v2
	s_waitcnt_depctr 0xfff
	v_add_nc_u32_e32 v15, -1, v3
	v_add_nc_u32_e32 v16, 1, v3
	v_fma_f32 v17, -v15, v3, v2
	s_delay_alu instid0(VALU_DEP_2) | instskip(NEXT) | instid1(VALU_DEP_2)
	v_fma_f32 v18, -v16, v3, v2
	v_cmp_ge_f32_e64 s3, 0, v17
	s_delay_alu instid0(VALU_DEP_1) | instskip(NEXT) | instid1(VALU_DEP_3)
	v_cndmask_b32_e64 v3, v3, v15, s3
	v_cmp_lt_f32_e64 s3, 0, v18
	s_delay_alu instid0(VALU_DEP_1) | instskip(NEXT) | instid1(VALU_DEP_1)
	v_cndmask_b32_e64 v3, v3, v16, s3
	v_mul_f32_e32 v15, 0x37800000, v3
	s_delay_alu instid0(VALU_DEP_1) | instskip(SKIP_1) | instid1(VALU_DEP_2)
	v_cndmask_b32_e32 v3, v3, v15, vcc_lo
	v_cmp_class_f32_e64 vcc_lo, v2, 0x260
	v_cndmask_b32_e32 v2, v3, v2, vcc_lo
	s_and_not1_b32 vcc_lo, exec_lo, s20
	s_cbranch_vccnz .LBB199_7
; %bb.6:                                ;   in Loop: Header=BB199_3 Depth=1
	v_add_co_u32 v15, vcc_lo, s22, v9
	v_add_co_ci_u32_e32 v16, vcc_lo, s23, v10, vcc_lo
	global_load_u16 v3, v[15:16], off
	s_waitcnt vmcnt(0)
	v_lshlrev_b32_e32 v3, 16, v3
	s_delay_alu instid0(VALU_DEP_1)
	v_add_f32_e32 v2, v2, v3
.LBB199_7:                              ;   in Loop: Header=BB199_3 Depth=1
	v_cvt_f32_f16_e32 v3, v4
	s_delay_alu instid0(VALU_DEP_1) | instskip(NEXT) | instid1(VALU_DEP_1)
	v_mul_f32_e32 v15, 0x3fb8aa3b, v3
	v_cmp_gt_f32_e32 vcc_lo, 0xc2fc0000, v15
	v_cndmask_b32_e64 v16, 0, 0x42800000, vcc_lo
	v_cndmask_b32_e64 v15, 1.0, 0x1f800000, vcc_lo
	s_delay_alu instid0(VALU_DEP_2) | instskip(NEXT) | instid1(VALU_DEP_1)
	v_fma_mix_f32 v16, v4, s31, v16 op_sel_hi:[1,0,0]
	v_exp_f32_e32 v16, v16
	s_waitcnt_depctr 0xfff
	v_fma_f32 v15, v16, v15, 1.0
	s_delay_alu instid0(VALU_DEP_1) | instskip(SKIP_1) | instid1(VALU_DEP_1)
	v_cmp_gt_f32_e32 vcc_lo, 0x800000, v15
	v_cndmask_b32_e64 v16, 1.0, 0x4f800000, vcc_lo
	v_mul_f32_e32 v15, v15, v16
	v_cndmask_b32_e64 v16, 0, 0x42000000, vcc_lo
	v_cmp_lt_f16_e32 vcc_lo, 0x4d00, v4
	s_delay_alu instid0(VALU_DEP_3) | instskip(SKIP_2) | instid1(VALU_DEP_1)
	v_log_f32_e32 v15, v15
	s_waitcnt_depctr 0xfff
	v_sub_f32_e32 v15, v15, v16
	v_mul_f32_e32 v15, 0x3f317218, v15
	s_delay_alu instid0(VALU_DEP_1) | instskip(NEXT) | instid1(VALU_DEP_1)
	v_cndmask_b32_e32 v3, v15, v3, vcc_lo
	v_mul_f32_e32 v15, 0x4f800000, v3
	v_cmp_gt_f32_e32 vcc_lo, 0xf800000, v3
	s_delay_alu instid0(VALU_DEP_2) | instskip(NEXT) | instid1(VALU_DEP_1)
	v_cndmask_b32_e32 v3, v3, v15, vcc_lo
	v_sqrt_f32_e32 v15, v3
	s_waitcnt_depctr 0xfff
	v_add_nc_u32_e32 v16, -1, v15
	v_add_nc_u32_e32 v17, 1, v15
	s_delay_alu instid0(VALU_DEP_2) | instskip(NEXT) | instid1(VALU_DEP_2)
	v_fma_f32 v18, -v16, v15, v3
	v_fma_f32 v19, -v17, v15, v3
	s_delay_alu instid0(VALU_DEP_2) | instskip(NEXT) | instid1(VALU_DEP_1)
	v_cmp_ge_f32_e64 s3, 0, v18
	v_cndmask_b32_e64 v15, v15, v16, s3
	s_delay_alu instid0(VALU_DEP_3) | instskip(NEXT) | instid1(VALU_DEP_1)
	v_cmp_lt_f32_e64 s3, 0, v19
	v_cndmask_b32_e64 v15, v15, v17, s3
	s_delay_alu instid0(VALU_DEP_1) | instskip(NEXT) | instid1(VALU_DEP_1)
	v_mul_f32_e32 v16, 0x37800000, v15
	v_cndmask_b32_e32 v15, v15, v16, vcc_lo
	v_cmp_class_f32_e64 vcc_lo, v3, 0x260
	s_delay_alu instid0(VALU_DEP_2)
	v_cndmask_b32_e32 v3, v15, v3, vcc_lo
	s_and_not1_b32 vcc_lo, exec_lo, s20
	s_cbranch_vccnz .LBB199_9
; %bb.8:                                ;   in Loop: Header=BB199_3 Depth=1
	v_add_co_u32 v15, vcc_lo, s24, v9
	v_add_co_ci_u32_e32 v16, vcc_lo, s25, v10, vcc_lo
	global_load_u16 v15, v[15:16], off
	s_waitcnt vmcnt(0)
	v_lshlrev_b32_e32 v15, 16, v15
	s_delay_alu instid0(VALU_DEP_1)
	v_add_f32_e32 v3, v3, v15
.LBB199_9:                              ;   in Loop: Header=BB199_3 Depth=1
	v_lshrrev_b32_e32 v15, 16, v4
	s_delay_alu instid0(VALU_DEP_1) | instskip(NEXT) | instid1(VALU_DEP_1)
	v_cvt_f32_f16_e32 v16, v15
	v_mul_f32_e32 v17, 0x3fb8aa3b, v16
	s_delay_alu instid0(VALU_DEP_1) | instskip(SKIP_2) | instid1(VALU_DEP_2)
	v_cmp_gt_f32_e32 vcc_lo, 0xc2fc0000, v17
	v_cndmask_b32_e64 v18, 0, 0x42800000, vcc_lo
	v_cndmask_b32_e64 v17, 1.0, 0x1f800000, vcc_lo
	v_fma_mix_f32 v4, v4, s31, v18 op_sel:[1,0,0] op_sel_hi:[1,0,0]
	s_delay_alu instid0(VALU_DEP_1) | instskip(SKIP_2) | instid1(VALU_DEP_1)
	v_exp_f32_e32 v4, v4
	s_waitcnt_depctr 0xfff
	v_fma_f32 v4, v4, v17, 1.0
	v_cmp_gt_f32_e32 vcc_lo, 0x800000, v4
	v_cndmask_b32_e64 v17, 1.0, 0x4f800000, vcc_lo
	s_delay_alu instid0(VALU_DEP_1) | instskip(SKIP_2) | instid1(VALU_DEP_3)
	v_mul_f32_e32 v4, v4, v17
	v_cndmask_b32_e64 v17, 0, 0x42000000, vcc_lo
	v_cmp_lt_f16_e32 vcc_lo, 0x4d00, v15
	v_log_f32_e32 v4, v4
	s_waitcnt_depctr 0xfff
	v_sub_f32_e32 v4, v4, v17
	s_delay_alu instid0(VALU_DEP_1) | instskip(NEXT) | instid1(VALU_DEP_1)
	v_mul_f32_e32 v4, 0x3f317218, v4
	v_cndmask_b32_e32 v4, v4, v16, vcc_lo
	s_delay_alu instid0(VALU_DEP_1) | instskip(SKIP_1) | instid1(VALU_DEP_2)
	v_mul_f32_e32 v15, 0x4f800000, v4
	v_cmp_gt_f32_e32 vcc_lo, 0xf800000, v4
	v_cndmask_b32_e32 v4, v4, v15, vcc_lo
	s_delay_alu instid0(VALU_DEP_1) | instskip(SKIP_3) | instid1(VALU_DEP_2)
	v_sqrt_f32_e32 v15, v4
	s_waitcnt_depctr 0xfff
	v_add_nc_u32_e32 v16, -1, v15
	v_add_nc_u32_e32 v17, 1, v15
	v_fma_f32 v18, -v16, v15, v4
	s_delay_alu instid0(VALU_DEP_2) | instskip(NEXT) | instid1(VALU_DEP_2)
	v_fma_f32 v19, -v17, v15, v4
	v_cmp_ge_f32_e64 s3, 0, v18
	s_delay_alu instid0(VALU_DEP_1) | instskip(NEXT) | instid1(VALU_DEP_3)
	v_cndmask_b32_e64 v15, v15, v16, s3
	v_cmp_lt_f32_e64 s3, 0, v19
	s_delay_alu instid0(VALU_DEP_1) | instskip(NEXT) | instid1(VALU_DEP_1)
	v_cndmask_b32_e64 v15, v15, v17, s3
	v_mul_f32_e32 v16, 0x37800000, v15
	s_delay_alu instid0(VALU_DEP_1) | instskip(SKIP_1) | instid1(VALU_DEP_2)
	v_cndmask_b32_e32 v15, v15, v16, vcc_lo
	v_cmp_class_f32_e64 vcc_lo, v4, 0x260
	v_cndmask_b32_e32 v4, v15, v4, vcc_lo
	s_and_not1_b32 vcc_lo, exec_lo, s20
	s_cbranch_vccnz .LBB199_2
; %bb.10:                               ;   in Loop: Header=BB199_3 Depth=1
	v_add_co_u32 v9, vcc_lo, s26, v9
	v_add_co_ci_u32_e32 v10, vcc_lo, s27, v10, vcc_lo
	global_load_u16 v9, v[9:10], off
	s_waitcnt vmcnt(0)
	v_lshlrev_b32_e32 v9, 16, v9
	s_delay_alu instid0(VALU_DEP_1)
	v_add_f32_e32 v4, v4, v9
	s_branch .LBB199_2
.LBB199_11:
	s_or_b32 exec_lo, exec_lo, s18
	v_lshl_add_u32 v1, s14, 2, v0
	s_mov_b32 s18, exec_lo
	s_delay_alu instid0(VALU_DEP_1)
	v_cmpx_gt_i32_e64 s12, v1
	s_cbranch_execz .LBB199_16
; %bb.12:
	s_load_b32 s3, s[0:1], 0x44
	s_lshl_b64 s[16:17], s[16:17], 1
	v_lshlrev_b32_e32 v2, 2, v0
	s_add_u32 s4, s4, s16
	s_addc_u32 s5, s5, s17
	s_cmp_lg_u64 s[6:7], 0
	s_mov_b32 s19, 0
	s_cselect_b32 s16, -1, 0
	s_lshl_b32 s17, s14, 4
	s_mov_b32 s21, 0x3fb8aa3b
	v_add3_u32 v4, 0, s17, v2
	s_waitcnt lgkmcnt(0)
	s_and_b32 s17, s3, 0xffff
	s_delay_alu instid0(SALU_CYCLE_1)
	s_lshl_b32 s20, s17, 2
	s_branch .LBB199_14
.LBB199_13:                             ;   in Loop: Header=BB199_14 Depth=1
	v_add_nc_u32_e32 v1, s17, v1
	v_add_nc_u32_e32 v4, s20, v4
	s_delay_alu instid0(VALU_DEP_2) | instskip(SKIP_1) | instid1(SALU_CYCLE_1)
	v_cmp_le_i32_e32 vcc_lo, s12, v1
	s_or_b32 s19, vcc_lo, s19
	s_and_not1_b32 exec_lo, exec_lo, s19
	s_cbranch_execz .LBB199_16
.LBB199_14:                             ; =>This Inner Loop Header: Depth=1
	v_ashrrev_i32_e32 v2, 31, v1
	s_delay_alu instid0(VALU_DEP_1) | instskip(NEXT) | instid1(VALU_DEP_1)
	v_lshlrev_b64 v[2:3], 1, v[1:2]
	v_add_co_u32 v5, vcc_lo, s4, v2
	s_delay_alu instid0(VALU_DEP_2) | instskip(SKIP_3) | instid1(VALU_DEP_1)
	v_add_co_ci_u32_e32 v6, vcc_lo, s5, v3, vcc_lo
	global_load_u16 v5, v[5:6], off
	s_waitcnt vmcnt(0)
	v_cvt_f32_f16_e32 v6, v5
	v_mul_f32_e32 v7, 0x3fb8aa3b, v6
	s_delay_alu instid0(VALU_DEP_1) | instskip(SKIP_2) | instid1(VALU_DEP_2)
	v_cmp_gt_f32_e32 vcc_lo, 0xc2fc0000, v7
	v_cndmask_b32_e64 v7, 0, 0x42800000, vcc_lo
	v_cndmask_b32_e64 v8, 1.0, 0x1f800000, vcc_lo
	v_fma_mix_f32 v7, v5, s21, v7 op_sel_hi:[1,0,0]
	s_delay_alu instid0(VALU_DEP_1) | instskip(SKIP_2) | instid1(VALU_DEP_1)
	v_exp_f32_e32 v7, v7
	s_waitcnt_depctr 0xfff
	v_fma_f32 v7, v7, v8, 1.0
	v_cmp_gt_f32_e32 vcc_lo, 0x800000, v7
	v_cndmask_b32_e64 v8, 1.0, 0x4f800000, vcc_lo
	s_delay_alu instid0(VALU_DEP_1) | instskip(SKIP_2) | instid1(VALU_DEP_3)
	v_mul_f32_e32 v7, v7, v8
	v_cndmask_b32_e64 v8, 0, 0x42000000, vcc_lo
	v_cmp_lt_f16_e32 vcc_lo, 0x4d00, v5
	v_log_f32_e32 v7, v7
	s_waitcnt_depctr 0xfff
	v_sub_f32_e32 v7, v7, v8
	s_delay_alu instid0(VALU_DEP_1) | instskip(NEXT) | instid1(VALU_DEP_1)
	v_mul_f32_e32 v7, 0x3f317218, v7
	v_cndmask_b32_e32 v5, v7, v6, vcc_lo
	s_delay_alu instid0(VALU_DEP_1) | instskip(SKIP_1) | instid1(VALU_DEP_2)
	v_mul_f32_e32 v6, 0x4f800000, v5
	v_cmp_gt_f32_e32 vcc_lo, 0xf800000, v5
	v_cndmask_b32_e32 v5, v5, v6, vcc_lo
	s_delay_alu instid0(VALU_DEP_1) | instskip(SKIP_3) | instid1(VALU_DEP_2)
	v_sqrt_f32_e32 v6, v5
	s_waitcnt_depctr 0xfff
	v_add_nc_u32_e32 v7, -1, v6
	v_add_nc_u32_e32 v8, 1, v6
	v_fma_f32 v9, -v7, v6, v5
	s_delay_alu instid0(VALU_DEP_2) | instskip(NEXT) | instid1(VALU_DEP_2)
	v_fma_f32 v10, -v8, v6, v5
	v_cmp_ge_f32_e64 s3, 0, v9
	s_delay_alu instid0(VALU_DEP_1) | instskip(NEXT) | instid1(VALU_DEP_3)
	v_cndmask_b32_e64 v6, v6, v7, s3
	v_cmp_lt_f32_e64 s3, 0, v10
	s_delay_alu instid0(VALU_DEP_1) | instskip(NEXT) | instid1(VALU_DEP_1)
	v_cndmask_b32_e64 v6, v6, v8, s3
	v_mul_f32_e32 v7, 0x37800000, v6
	s_delay_alu instid0(VALU_DEP_1) | instskip(SKIP_1) | instid1(VALU_DEP_2)
	v_cndmask_b32_e32 v6, v6, v7, vcc_lo
	v_cmp_class_f32_e64 vcc_lo, v5, 0x260
	v_cndmask_b32_e32 v5, v6, v5, vcc_lo
	s_and_not1_b32 vcc_lo, exec_lo, s16
	ds_store_b32 v4, v5
	s_cbranch_vccnz .LBB199_13
; %bb.15:                               ;   in Loop: Header=BB199_14 Depth=1
	v_add_co_u32 v2, vcc_lo, s6, v2
	v_add_co_ci_u32_e32 v3, vcc_lo, s7, v3, vcc_lo
	global_load_u16 v2, v[2:3], off
	s_waitcnt vmcnt(0)
	v_lshlrev_b32_e32 v2, 16, v2
	s_delay_alu instid0(VALU_DEP_1)
	v_add_f32_e32 v2, v5, v2
	ds_store_b32 v4, v2
	s_branch .LBB199_13
.LBB199_16:
	s_or_b32 exec_lo, exec_lo, s18
	v_mov_b32_e32 v2, 0
	s_cmp_lt_i32 s13, 1
	s_waitcnt lgkmcnt(0)
	s_barrier
	buffer_gl0_inv
	s_cbranch_scc1 .LBB199_25
; %bb.17:
	s_add_u32 s4, s0, 56
	s_addc_u32 s5, s1, 0
	v_dual_mov_b32 v2, 0 :: v_dual_mov_b32 v5, 0xff800000
	v_dual_mov_b32 v4, 0 :: v_dual_mov_b32 v1, 0
	v_mov_b32_e32 v3, 0
	s_cmp_lg_u64 s[6:7], 0
	s_mov_b32 s18, 0
	s_cselect_b32 s12, -1, 0
	s_mov_b32 s19, 0x76543210
	s_branch .LBB199_19
.LBB199_18:                             ;   in Loop: Header=BB199_19 Depth=1
	v_cmp_eq_u32_e32 vcc_lo, s18, v0
	s_delay_alu instid0(VALU_DEP_2)
	s_lshl_b32 s3, s16, 2
	s_add_i32 s18, s18, 1
	s_add_i32 s3, s3, 0
	v_add_f32_e32 v3, v3, v8
	v_cndmask_b32_e64 v1, v1, s16, vcc_lo
	v_mov_b32_e32 v6, s3
	v_cndmask_b32_e32 v2, v2, v8, vcc_lo
	s_cmp_eq_u32 s18, s13
	ds_store_b32 v6, v5
	s_cbranch_scc1 .LBB199_26
.LBB199_19:                             ; =>This Loop Header: Depth=1
                                        ;     Child Loop BB199_21 Depth 2
	v_dual_mov_b32 v6, s18 :: v_dual_mov_b32 v7, 0xff800000
	s_and_saveexec_b32 s16, s2
	s_cbranch_execz .LBB199_23
; %bb.20:                               ;   in Loop: Header=BB199_19 Depth=1
	s_load_b32 s3, s[4:5], 0xc
	v_dual_mov_b32 v6, s18 :: v_dual_mov_b32 v7, 0xff800000
	v_dual_mov_b32 v8, v12 :: v_dual_mov_b32 v9, v11
	v_mov_b32_e32 v10, v0
	s_mov_b32 s21, 0
	s_waitcnt lgkmcnt(0)
	s_and_b32 s17, s3, 0xffff
	s_delay_alu instid0(SALU_CYCLE_1)
	s_lshl_b32 s20, s17, 2
	s_lshl_b32 s22, s17, 4
	.p2align	6
.LBB199_21:                             ;   Parent Loop BB199_19 Depth=1
                                        ; =>  This Inner Loop Header: Depth=2
	ds_load_b128 v[13:16], v8
	v_add_nc_u32_e32 v8, s22, v8
	v_add_nc_u32_e32 v10, s17, v10
	s_delay_alu instid0(VALU_DEP_1) | instskip(NEXT) | instid1(VALU_DEP_1)
	v_cmp_le_i32_e64 s3, s14, v10
	s_or_b32 s21, s3, s21
	s_waitcnt lgkmcnt(0)
	v_cmp_gt_f32_e32 vcc_lo, v13, v7
	v_cndmask_b32_e32 v7, v7, v13, vcc_lo
	v_cndmask_b32_e32 v6, v6, v9, vcc_lo
	s_delay_alu instid0(VALU_DEP_2) | instskip(SKIP_2) | instid1(VALU_DEP_1)
	v_cmp_gt_f32_e32 vcc_lo, v14, v7
	v_dual_cndmask_b32 v7, v7, v14 :: v_dual_add_nc_u32 v14, 2, v9
	v_add_nc_u32_e32 v13, 1, v9
	v_cndmask_b32_e32 v6, v6, v13, vcc_lo
	s_delay_alu instid0(VALU_DEP_3) | instskip(SKIP_2) | instid1(VALU_DEP_4)
	v_cmp_gt_f32_e32 vcc_lo, v15, v7
	v_add_nc_u32_e32 v13, 3, v9
	v_add_nc_u32_e32 v9, s20, v9
	v_dual_cndmask_b32 v7, v7, v15 :: v_dual_cndmask_b32 v6, v6, v14
	s_delay_alu instid0(VALU_DEP_1) | instskip(NEXT) | instid1(VALU_DEP_2)
	v_cmp_gt_f32_e32 vcc_lo, v16, v7
	v_dual_cndmask_b32 v7, v7, v16 :: v_dual_cndmask_b32 v6, v6, v13
	s_and_not1_b32 exec_lo, exec_lo, s21
	s_cbranch_execnz .LBB199_21
; %bb.22:                               ;   in Loop: Header=BB199_19 Depth=1
	s_or_b32 exec_lo, exec_lo, s21
.LBB199_23:                             ;   in Loop: Header=BB199_19 Depth=1
	s_delay_alu instid0(SALU_CYCLE_1)
	s_or_b32 exec_lo, exec_lo, s16
	;;#ASMSTART
	v_max_f32 v8, v7, v7 quad_perm:[1,0,3,2] row_mask:0xf bank_mask:0xf bound_ctrl:1
	;;#ASMEND
	;;#ASMSTART
	v_max_f32 v9, v8, v8 quad_perm:[2,3,0,1] row_mask:0xf bank_mask:0xf bound_ctrl:1
	;;#ASMEND
	;;#ASMSTART
	v_max_f32 v8, v9, v9 row_half_mirror row_mask:0xf bank_mask:0xf bound_ctrl:1
	;;#ASMEND
	;;#ASMSTART
	v_max_f32 v9, v8, v8 row_mirror row_mask:0xf bank_mask:0xf bound_ctrl:1
	;;#ASMEND
	v_permlanex16_b32 v8, v9, s19, 0xfedcba98 op_sel:[1,1]
	s_delay_alu instid0(VALU_DEP_1) | instskip(NEXT) | instid1(VALU_DEP_1)
	v_dual_max_f32 v9, v9, v9 :: v_dual_max_f32 v8, v8, v8
	v_max_f32_e32 v8, v9, v8
	s_delay_alu instid0(VALU_DEP_1)
	v_cmp_eq_f32_e32 vcc_lo, v7, v8
	s_ctz_i32_b32 s3, vcc_lo
	s_cmp_lg_u32 vcc_lo, 0
	s_cselect_b32 s3, s3, 0
	s_and_b32 vcc_lo, exec_lo, s12
	v_readlane_b32 s16, v6, s3
	s_cbranch_vccz .LBB199_18
; %bb.24:                               ;   in Loop: Header=BB199_19 Depth=1
	s_delay_alu instid0(VALU_DEP_1) | instskip(NEXT) | instid1(SALU_CYCLE_1)
	s_ashr_i32 s17, s16, 31
	s_lshl_b64 s[20:21], s[16:17], 1
	s_delay_alu instid0(SALU_CYCLE_1) | instskip(SKIP_4) | instid1(VALU_DEP_1)
	s_add_u32 s20, s6, s20
	s_addc_u32 s21, s7, s21
	global_load_u16 v6, v4, s[20:21]
	s_waitcnt vmcnt(0)
	v_lshlrev_b32_e32 v6, 16, v6
	v_sub_f32_e32 v8, v8, v6
	s_branch .LBB199_18
.LBB199_25:
	v_mov_b32_e32 v1, 0
	v_mov_b32_e32 v3, 0
.LBB199_26:
	s_mov_b32 s2, exec_lo
	v_cmpx_gt_i32_e64 s13, v0
	s_cbranch_execz .LBB199_29
; %bb.27:
	s_clause 0x1
	s_load_b32 s2, s[0:1], 0x34
	s_load_b32 s3, s[0:1], 0x44
	v_max_f32_e32 v3, v3, v3
	s_load_b64 s[0:1], s[0:1], 0x20
	s_ashr_i32 s4, s15, 31
	s_delay_alu instid0(VALU_DEP_1) | instskip(SKIP_1) | instid1(VALU_DEP_1)
	v_max_f32_e32 v3, 0x1e3ce508, v3
	s_waitcnt lgkmcnt(0)
	v_div_scale_f32 v4, null, v3, v3, s2
	v_div_scale_f32 v7, vcc_lo, s2, v3, s2
	s_mul_i32 s1, s15, s1
	s_delay_alu instid0(VALU_DEP_2) | instskip(SKIP_4) | instid1(VALU_DEP_1)
	v_rcp_f32_e32 v5, v4
	s_mul_i32 s4, s4, s0
	s_and_b32 s3, s3, 0xffff
	s_waitcnt_depctr 0xfff
	v_fma_f32 v6, -v4, v5, 1.0
	v_fmac_f32_e32 v5, v6, v5
	s_delay_alu instid0(VALU_DEP_1) | instskip(NEXT) | instid1(VALU_DEP_1)
	v_mul_f32_e32 v6, v7, v5
	v_fma_f32 v8, -v4, v6, v7
	s_delay_alu instid0(VALU_DEP_1) | instskip(NEXT) | instid1(VALU_DEP_1)
	v_fmac_f32_e32 v6, v8, v5
	v_fma_f32 v4, -v4, v6, v7
	s_delay_alu instid0(VALU_DEP_1) | instskip(NEXT) | instid1(VALU_DEP_1)
	v_div_fmas_f32 v4, v4, v5, v6
	v_div_fixup_f32 v3, v4, v3, s2
	s_mul_hi_u32 s2, s15, s0
	s_delay_alu instid0(SALU_CYCLE_1) | instskip(SKIP_1) | instid1(VALU_DEP_1)
	s_add_i32 s1, s2, s1
	s_mul_i32 s2, s15, s0
	v_mul_f32_e32 v2, v2, v3
	s_add_i32 s1, s1, s4
	s_mov_b32 s4, 0
	.p2align	6
.LBB199_28:                             ; =>This Inner Loop Header: Depth=1
	v_ashrrev_i32_e32 v4, 31, v0
	v_add_co_u32 v3, vcc_lo, s2, v0
	v_add_nc_u32_e32 v0, s3, v0
	s_delay_alu instid0(VALU_DEP_3) | instskip(NEXT) | instid1(VALU_DEP_2)
	v_add_co_ci_u32_e32 v4, vcc_lo, s1, v4, vcc_lo
	v_cmp_le_i32_e32 vcc_lo, s13, v0
	s_delay_alu instid0(VALU_DEP_2) | instskip(SKIP_1) | instid1(VALU_DEP_1)
	v_lshlrev_b64 v[3:4], 2, v[3:4]
	s_or_b32 s4, vcc_lo, s4
	v_add_co_u32 v5, s0, s8, v3
	s_delay_alu instid0(VALU_DEP_1) | instskip(SKIP_1) | instid1(VALU_DEP_1)
	v_add_co_ci_u32_e64 v6, s0, s9, v4, s0
	v_add_co_u32 v3, s0, s10, v3
	v_add_co_ci_u32_e64 v4, s0, s11, v4, s0
	global_store_b32 v[5:6], v2, off
	global_store_b32 v[3:4], v1, off
	s_and_not1_b32 exec_lo, exec_lo, s4
	s_cbranch_execnz .LBB199_28
.LBB199_29:
	s_nop 0
	s_sendmsg sendmsg(MSG_DEALLOC_VGPRS)
	s_endpgm
	.section	.rodata,"a",@progbits
	.p2align	6, 0x0
	.amdhsa_kernel _ZN5aiter20topk_softplus_kernelI6__half12hip_bfloat16Dv4_fLb1ELi0EEEvPKT_PKT0_PfPimiiif
		.amdhsa_group_segment_fixed_size 0
		.amdhsa_private_segment_fixed_size 0
		.amdhsa_kernarg_size 312
		.amdhsa_user_sgpr_count 15
		.amdhsa_user_sgpr_dispatch_ptr 0
		.amdhsa_user_sgpr_queue_ptr 0
		.amdhsa_user_sgpr_kernarg_segment_ptr 1
		.amdhsa_user_sgpr_dispatch_id 0
		.amdhsa_user_sgpr_private_segment_size 0
		.amdhsa_wavefront_size32 1
		.amdhsa_uses_dynamic_stack 0
		.amdhsa_enable_private_segment 0
		.amdhsa_system_sgpr_workgroup_id_x 1
		.amdhsa_system_sgpr_workgroup_id_y 0
		.amdhsa_system_sgpr_workgroup_id_z 0
		.amdhsa_system_sgpr_workgroup_info 0
		.amdhsa_system_vgpr_workitem_id 0
		.amdhsa_next_free_vgpr 20
		.amdhsa_next_free_sgpr 32
		.amdhsa_reserve_vcc 1
		.amdhsa_float_round_mode_32 0
		.amdhsa_float_round_mode_16_64 0
		.amdhsa_float_denorm_mode_32 3
		.amdhsa_float_denorm_mode_16_64 3
		.amdhsa_dx10_clamp 1
		.amdhsa_ieee_mode 1
		.amdhsa_fp16_overflow 0
		.amdhsa_workgroup_processor_mode 1
		.amdhsa_memory_ordered 1
		.amdhsa_forward_progress 0
		.amdhsa_shared_vgpr_count 0
		.amdhsa_exception_fp_ieee_invalid_op 0
		.amdhsa_exception_fp_denorm_src 0
		.amdhsa_exception_fp_ieee_div_zero 0
		.amdhsa_exception_fp_ieee_overflow 0
		.amdhsa_exception_fp_ieee_underflow 0
		.amdhsa_exception_fp_ieee_inexact 0
		.amdhsa_exception_int_div_zero 0
	.end_amdhsa_kernel
	.section	.text._ZN5aiter20topk_softplus_kernelI6__half12hip_bfloat16Dv4_fLb1ELi0EEEvPKT_PKT0_PfPimiiif,"axG",@progbits,_ZN5aiter20topk_softplus_kernelI6__half12hip_bfloat16Dv4_fLb1ELi0EEEvPKT_PKT0_PfPimiiif,comdat
.Lfunc_end199:
	.size	_ZN5aiter20topk_softplus_kernelI6__half12hip_bfloat16Dv4_fLb1ELi0EEEvPKT_PKT0_PfPimiiif, .Lfunc_end199-_ZN5aiter20topk_softplus_kernelI6__half12hip_bfloat16Dv4_fLb1ELi0EEEvPKT_PKT0_PfPimiiif
                                        ; -- End function
	.section	.AMDGPU.csdata,"",@progbits
; Kernel info:
; codeLenInByte = 3068
; NumSgprs: 34
; NumVgprs: 20
; ScratchSize: 0
; MemoryBound: 0
; FloatMode: 240
; IeeeMode: 1
; LDSByteSize: 0 bytes/workgroup (compile time only)
; SGPRBlocks: 4
; VGPRBlocks: 2
; NumSGPRsForWavesPerEU: 34
; NumVGPRsForWavesPerEU: 20
; Occupancy: 16
; WaveLimiterHint : 0
; COMPUTE_PGM_RSRC2:SCRATCH_EN: 0
; COMPUTE_PGM_RSRC2:USER_SGPR: 15
; COMPUTE_PGM_RSRC2:TRAP_HANDLER: 0
; COMPUTE_PGM_RSRC2:TGID_X_EN: 1
; COMPUTE_PGM_RSRC2:TGID_Y_EN: 0
; COMPUTE_PGM_RSRC2:TGID_Z_EN: 0
; COMPUTE_PGM_RSRC2:TIDIG_COMP_CNT: 0
	.section	.text._ZN5aiter20topk_softplus_kernelI6__half12hip_bfloat16Dv4_fLb0ELi0EEEvPKT_PKT0_PfPimiiif,"axG",@progbits,_ZN5aiter20topk_softplus_kernelI6__half12hip_bfloat16Dv4_fLb0ELi0EEEvPKT_PKT0_PfPimiiif,comdat
	.protected	_ZN5aiter20topk_softplus_kernelI6__half12hip_bfloat16Dv4_fLb0ELi0EEEvPKT_PKT0_PfPimiiif ; -- Begin function _ZN5aiter20topk_softplus_kernelI6__half12hip_bfloat16Dv4_fLb0ELi0EEEvPKT_PKT0_PfPimiiif
	.globl	_ZN5aiter20topk_softplus_kernelI6__half12hip_bfloat16Dv4_fLb0ELi0EEEvPKT_PKT0_PfPimiiif
	.p2align	8
	.type	_ZN5aiter20topk_softplus_kernelI6__half12hip_bfloat16Dv4_fLb0ELi0EEEvPKT_PKT0_PfPimiiif,@function
_ZN5aiter20topk_softplus_kernelI6__half12hip_bfloat16Dv4_fLb0ELi0EEEvPKT_PKT0_PfPimiiif: ; @_ZN5aiter20topk_softplus_kernelI6__half12hip_bfloat16Dv4_fLb0ELi0EEEvPKT_PKT0_PfPimiiif
; %bb.0:
	s_clause 0x1
	s_load_b64 s[12:13], s[0:1], 0x28
	s_load_b256 s[4:11], s[0:1], 0x0
	v_lshlrev_b32_e32 v11, 2, v0
	v_lshl_add_u32 v12, v0, 4, 0
	s_waitcnt lgkmcnt(0)
	s_ashr_i32 s2, s12, 31
	s_mul_i32 s16, s15, s12
	s_lshr_b32 s2, s2, 30
	s_ashr_i32 s17, s16, 31
	s_add_i32 s2, s12, s2
	s_delay_alu instid0(SALU_CYCLE_1) | instskip(NEXT) | instid1(SALU_CYCLE_1)
	s_ashr_i32 s14, s2, 2
	v_cmp_gt_i32_e64 s2, s14, v0
	s_delay_alu instid0(VALU_DEP_1)
	s_and_saveexec_b32 s18, s2
	s_cbranch_execz .LBB200_11
; %bb.1:
	s_load_b32 s3, s[0:1], 0x44
	s_cmp_lg_u64 s[6:7], 0
	v_dual_mov_b32 v6, 0 :: v_dual_lshlrev_b32 v1, 3, v0
	s_cselect_b32 s20, -1, 0
	v_dual_mov_b32 v14, v0 :: v_dual_lshlrev_b32 v5, 2, v0
	v_lshl_add_u32 v13, v0, 4, 0
	s_mov_b32 s19, 0
	s_mov_b32 s31, 0x3fb8aa3b
	s_waitcnt lgkmcnt(0)
	s_and_b32 s21, s3, 0xffff
	s_add_u32 s22, s6, 2
	s_addc_u32 s23, s7, 0
	s_add_u32 s24, s6, 4
	s_addc_u32 s25, s7, 0
	s_add_u32 s26, s6, 6
	s_addc_u32 s27, s7, 0
	s_lshl_b64 s[28:29], s[16:17], 1
	s_delay_alu instid0(SALU_CYCLE_1) | instskip(SKIP_2) | instid1(VALU_DEP_1)
	s_add_u32 s3, s4, s28
	s_addc_u32 s29, s5, s29
	v_add_co_u32 v7, s3, s3, v1
	v_add_co_ci_u32_e64 v8, null, s29, 0, s3
	s_lshl_b32 s28, s21, 3
	s_lshl_b32 s29, s21, 2
	;; [unrolled: 1-line block ×3, first 2 shown]
	s_branch .LBB200_3
.LBB200_2:                              ;   in Loop: Header=BB200_3 Depth=1
	v_add_nc_u32_e32 v14, s21, v14
	v_add_co_u32 v7, s3, v7, s28
	ds_store_b128 v13, v[1:4]
	v_add_co_ci_u32_e64 v8, s3, 0, v8, s3
	v_cmp_le_i32_e32 vcc_lo, s14, v14
	v_add_nc_u32_e32 v5, s29, v5
	v_add_nc_u32_e32 v13, s30, v13
	s_or_b32 s19, vcc_lo, s19
	s_delay_alu instid0(SALU_CYCLE_1)
	s_and_not1_b32 exec_lo, exec_lo, s19
	s_cbranch_execz .LBB200_11
.LBB200_3:                              ; =>This Inner Loop Header: Depth=1
	global_load_b64 v[3:4], v[7:8], off
	s_waitcnt vmcnt(0)
	v_cvt_f32_f16_e32 v1, v3
	s_delay_alu instid0(VALU_DEP_1) | instskip(NEXT) | instid1(VALU_DEP_1)
	v_mul_f32_e32 v2, 0x3fb8aa3b, v1
	v_cmp_gt_f32_e32 vcc_lo, 0xc2fc0000, v2
	v_cndmask_b32_e64 v9, 0, 0x42800000, vcc_lo
	v_cndmask_b32_e64 v2, 1.0, 0x1f800000, vcc_lo
	s_delay_alu instid0(VALU_DEP_2) | instskip(NEXT) | instid1(VALU_DEP_1)
	v_fma_mix_f32 v9, v3, s31, v9 op_sel_hi:[1,0,0]
	v_exp_f32_e32 v9, v9
	s_waitcnt_depctr 0xfff
	v_fma_f32 v2, v9, v2, 1.0
	s_delay_alu instid0(VALU_DEP_1) | instskip(SKIP_1) | instid1(VALU_DEP_1)
	v_cmp_gt_f32_e32 vcc_lo, 0x800000, v2
	v_cndmask_b32_e64 v9, 1.0, 0x4f800000, vcc_lo
	v_mul_f32_e32 v2, v2, v9
	v_cndmask_b32_e64 v9, 0, 0x42000000, vcc_lo
	v_cmp_lt_f16_e32 vcc_lo, 0x4d00, v3
	s_delay_alu instid0(VALU_DEP_3) | instskip(SKIP_2) | instid1(VALU_DEP_1)
	v_log_f32_e32 v2, v2
	s_waitcnt_depctr 0xfff
	v_sub_f32_e32 v2, v2, v9
	v_mul_f32_e32 v2, 0x3f317218, v2
	s_delay_alu instid0(VALU_DEP_1) | instskip(NEXT) | instid1(VALU_DEP_1)
	v_cndmask_b32_e32 v1, v2, v1, vcc_lo
	v_mul_f32_e32 v2, 0x4f800000, v1
	v_cmp_gt_f32_e32 vcc_lo, 0xf800000, v1
	s_delay_alu instid0(VALU_DEP_2) | instskip(NEXT) | instid1(VALU_DEP_1)
	v_cndmask_b32_e32 v1, v1, v2, vcc_lo
	v_sqrt_f32_e32 v2, v1
	s_waitcnt_depctr 0xfff
	v_add_nc_u32_e32 v9, -1, v2
	v_add_nc_u32_e32 v10, 1, v2
	s_delay_alu instid0(VALU_DEP_2) | instskip(NEXT) | instid1(VALU_DEP_2)
	v_fma_f32 v15, -v9, v2, v1
	v_fma_f32 v16, -v10, v2, v1
	s_delay_alu instid0(VALU_DEP_2) | instskip(NEXT) | instid1(VALU_DEP_1)
	v_cmp_ge_f32_e64 s3, 0, v15
	v_cndmask_b32_e64 v2, v2, v9, s3
	s_delay_alu instid0(VALU_DEP_3) | instskip(NEXT) | instid1(VALU_DEP_1)
	v_cmp_lt_f32_e64 s3, 0, v16
	v_cndmask_b32_e64 v2, v2, v10, s3
	s_delay_alu instid0(VALU_DEP_1) | instskip(NEXT) | instid1(VALU_DEP_1)
	v_mul_f32_e32 v9, 0x37800000, v2
	v_cndmask_b32_e32 v2, v2, v9, vcc_lo
	v_cmp_class_f32_e64 vcc_lo, v1, 0x260
	v_lshlrev_b64 v[9:10], 1, v[5:6]
	s_delay_alu instid0(VALU_DEP_3)
	v_cndmask_b32_e32 v1, v2, v1, vcc_lo
	s_and_not1_b32 vcc_lo, exec_lo, s20
	s_cbranch_vccnz .LBB200_5
; %bb.4:                                ;   in Loop: Header=BB200_3 Depth=1
	s_delay_alu instid0(VALU_DEP_2) | instskip(NEXT) | instid1(VALU_DEP_3)
	v_add_co_u32 v15, vcc_lo, s6, v9
	v_add_co_ci_u32_e32 v16, vcc_lo, s7, v10, vcc_lo
	global_load_u16 v2, v[15:16], off
	s_waitcnt vmcnt(0)
	v_lshlrev_b32_e32 v2, 16, v2
	s_delay_alu instid0(VALU_DEP_1)
	v_add_f32_e32 v1, v1, v2
.LBB200_5:                              ;   in Loop: Header=BB200_3 Depth=1
	v_lshrrev_b32_e32 v2, 16, v3
	s_delay_alu instid0(VALU_DEP_1) | instskip(NEXT) | instid1(VALU_DEP_1)
	v_cvt_f32_f16_e32 v15, v2
	v_mul_f32_e32 v16, 0x3fb8aa3b, v15
	s_delay_alu instid0(VALU_DEP_1) | instskip(SKIP_2) | instid1(VALU_DEP_2)
	v_cmp_gt_f32_e32 vcc_lo, 0xc2fc0000, v16
	v_cndmask_b32_e64 v17, 0, 0x42800000, vcc_lo
	v_cndmask_b32_e64 v16, 1.0, 0x1f800000, vcc_lo
	v_fma_mix_f32 v3, v3, s31, v17 op_sel:[1,0,0] op_sel_hi:[1,0,0]
	s_delay_alu instid0(VALU_DEP_1) | instskip(SKIP_2) | instid1(VALU_DEP_1)
	v_exp_f32_e32 v3, v3
	s_waitcnt_depctr 0xfff
	v_fma_f32 v3, v3, v16, 1.0
	v_cmp_gt_f32_e32 vcc_lo, 0x800000, v3
	v_cndmask_b32_e64 v16, 1.0, 0x4f800000, vcc_lo
	s_delay_alu instid0(VALU_DEP_1) | instskip(SKIP_2) | instid1(VALU_DEP_3)
	v_mul_f32_e32 v3, v3, v16
	v_cndmask_b32_e64 v16, 0, 0x42000000, vcc_lo
	v_cmp_lt_f16_e32 vcc_lo, 0x4d00, v2
	v_log_f32_e32 v3, v3
	s_waitcnt_depctr 0xfff
	v_sub_f32_e32 v3, v3, v16
	s_delay_alu instid0(VALU_DEP_1) | instskip(NEXT) | instid1(VALU_DEP_1)
	v_mul_f32_e32 v3, 0x3f317218, v3
	v_cndmask_b32_e32 v2, v3, v15, vcc_lo
	s_delay_alu instid0(VALU_DEP_1) | instskip(SKIP_1) | instid1(VALU_DEP_2)
	v_mul_f32_e32 v3, 0x4f800000, v2
	v_cmp_gt_f32_e32 vcc_lo, 0xf800000, v2
	v_cndmask_b32_e32 v2, v2, v3, vcc_lo
	s_delay_alu instid0(VALU_DEP_1) | instskip(SKIP_3) | instid1(VALU_DEP_2)
	v_sqrt_f32_e32 v3, v2
	s_waitcnt_depctr 0xfff
	v_add_nc_u32_e32 v15, -1, v3
	v_add_nc_u32_e32 v16, 1, v3
	v_fma_f32 v17, -v15, v3, v2
	s_delay_alu instid0(VALU_DEP_2) | instskip(NEXT) | instid1(VALU_DEP_2)
	v_fma_f32 v18, -v16, v3, v2
	v_cmp_ge_f32_e64 s3, 0, v17
	s_delay_alu instid0(VALU_DEP_1) | instskip(NEXT) | instid1(VALU_DEP_3)
	v_cndmask_b32_e64 v3, v3, v15, s3
	v_cmp_lt_f32_e64 s3, 0, v18
	s_delay_alu instid0(VALU_DEP_1) | instskip(NEXT) | instid1(VALU_DEP_1)
	v_cndmask_b32_e64 v3, v3, v16, s3
	v_mul_f32_e32 v15, 0x37800000, v3
	s_delay_alu instid0(VALU_DEP_1) | instskip(SKIP_1) | instid1(VALU_DEP_2)
	v_cndmask_b32_e32 v3, v3, v15, vcc_lo
	v_cmp_class_f32_e64 vcc_lo, v2, 0x260
	v_cndmask_b32_e32 v2, v3, v2, vcc_lo
	s_and_not1_b32 vcc_lo, exec_lo, s20
	s_cbranch_vccnz .LBB200_7
; %bb.6:                                ;   in Loop: Header=BB200_3 Depth=1
	v_add_co_u32 v15, vcc_lo, s22, v9
	v_add_co_ci_u32_e32 v16, vcc_lo, s23, v10, vcc_lo
	global_load_u16 v3, v[15:16], off
	s_waitcnt vmcnt(0)
	v_lshlrev_b32_e32 v3, 16, v3
	s_delay_alu instid0(VALU_DEP_1)
	v_add_f32_e32 v2, v2, v3
.LBB200_7:                              ;   in Loop: Header=BB200_3 Depth=1
	v_cvt_f32_f16_e32 v3, v4
	s_delay_alu instid0(VALU_DEP_1) | instskip(NEXT) | instid1(VALU_DEP_1)
	v_mul_f32_e32 v15, 0x3fb8aa3b, v3
	v_cmp_gt_f32_e32 vcc_lo, 0xc2fc0000, v15
	v_cndmask_b32_e64 v16, 0, 0x42800000, vcc_lo
	v_cndmask_b32_e64 v15, 1.0, 0x1f800000, vcc_lo
	s_delay_alu instid0(VALU_DEP_2) | instskip(NEXT) | instid1(VALU_DEP_1)
	v_fma_mix_f32 v16, v4, s31, v16 op_sel_hi:[1,0,0]
	v_exp_f32_e32 v16, v16
	s_waitcnt_depctr 0xfff
	v_fma_f32 v15, v16, v15, 1.0
	s_delay_alu instid0(VALU_DEP_1) | instskip(SKIP_1) | instid1(VALU_DEP_1)
	v_cmp_gt_f32_e32 vcc_lo, 0x800000, v15
	v_cndmask_b32_e64 v16, 1.0, 0x4f800000, vcc_lo
	v_mul_f32_e32 v15, v15, v16
	v_cndmask_b32_e64 v16, 0, 0x42000000, vcc_lo
	v_cmp_lt_f16_e32 vcc_lo, 0x4d00, v4
	s_delay_alu instid0(VALU_DEP_3) | instskip(SKIP_2) | instid1(VALU_DEP_1)
	v_log_f32_e32 v15, v15
	s_waitcnt_depctr 0xfff
	v_sub_f32_e32 v15, v15, v16
	v_mul_f32_e32 v15, 0x3f317218, v15
	s_delay_alu instid0(VALU_DEP_1) | instskip(NEXT) | instid1(VALU_DEP_1)
	v_cndmask_b32_e32 v3, v15, v3, vcc_lo
	v_mul_f32_e32 v15, 0x4f800000, v3
	v_cmp_gt_f32_e32 vcc_lo, 0xf800000, v3
	s_delay_alu instid0(VALU_DEP_2) | instskip(NEXT) | instid1(VALU_DEP_1)
	v_cndmask_b32_e32 v3, v3, v15, vcc_lo
	v_sqrt_f32_e32 v15, v3
	s_waitcnt_depctr 0xfff
	v_add_nc_u32_e32 v16, -1, v15
	v_add_nc_u32_e32 v17, 1, v15
	s_delay_alu instid0(VALU_DEP_2) | instskip(NEXT) | instid1(VALU_DEP_2)
	v_fma_f32 v18, -v16, v15, v3
	v_fma_f32 v19, -v17, v15, v3
	s_delay_alu instid0(VALU_DEP_2) | instskip(NEXT) | instid1(VALU_DEP_1)
	v_cmp_ge_f32_e64 s3, 0, v18
	v_cndmask_b32_e64 v15, v15, v16, s3
	s_delay_alu instid0(VALU_DEP_3) | instskip(NEXT) | instid1(VALU_DEP_1)
	v_cmp_lt_f32_e64 s3, 0, v19
	v_cndmask_b32_e64 v15, v15, v17, s3
	s_delay_alu instid0(VALU_DEP_1) | instskip(NEXT) | instid1(VALU_DEP_1)
	v_mul_f32_e32 v16, 0x37800000, v15
	v_cndmask_b32_e32 v15, v15, v16, vcc_lo
	v_cmp_class_f32_e64 vcc_lo, v3, 0x260
	s_delay_alu instid0(VALU_DEP_2)
	v_cndmask_b32_e32 v3, v15, v3, vcc_lo
	s_and_not1_b32 vcc_lo, exec_lo, s20
	s_cbranch_vccnz .LBB200_9
; %bb.8:                                ;   in Loop: Header=BB200_3 Depth=1
	v_add_co_u32 v15, vcc_lo, s24, v9
	v_add_co_ci_u32_e32 v16, vcc_lo, s25, v10, vcc_lo
	global_load_u16 v15, v[15:16], off
	s_waitcnt vmcnt(0)
	v_lshlrev_b32_e32 v15, 16, v15
	s_delay_alu instid0(VALU_DEP_1)
	v_add_f32_e32 v3, v3, v15
.LBB200_9:                              ;   in Loop: Header=BB200_3 Depth=1
	v_lshrrev_b32_e32 v15, 16, v4
	s_delay_alu instid0(VALU_DEP_1) | instskip(NEXT) | instid1(VALU_DEP_1)
	v_cvt_f32_f16_e32 v16, v15
	v_mul_f32_e32 v17, 0x3fb8aa3b, v16
	s_delay_alu instid0(VALU_DEP_1) | instskip(SKIP_2) | instid1(VALU_DEP_2)
	v_cmp_gt_f32_e32 vcc_lo, 0xc2fc0000, v17
	v_cndmask_b32_e64 v18, 0, 0x42800000, vcc_lo
	v_cndmask_b32_e64 v17, 1.0, 0x1f800000, vcc_lo
	v_fma_mix_f32 v4, v4, s31, v18 op_sel:[1,0,0] op_sel_hi:[1,0,0]
	s_delay_alu instid0(VALU_DEP_1) | instskip(SKIP_2) | instid1(VALU_DEP_1)
	v_exp_f32_e32 v4, v4
	s_waitcnt_depctr 0xfff
	v_fma_f32 v4, v4, v17, 1.0
	v_cmp_gt_f32_e32 vcc_lo, 0x800000, v4
	v_cndmask_b32_e64 v17, 1.0, 0x4f800000, vcc_lo
	s_delay_alu instid0(VALU_DEP_1) | instskip(SKIP_2) | instid1(VALU_DEP_3)
	v_mul_f32_e32 v4, v4, v17
	v_cndmask_b32_e64 v17, 0, 0x42000000, vcc_lo
	v_cmp_lt_f16_e32 vcc_lo, 0x4d00, v15
	v_log_f32_e32 v4, v4
	s_waitcnt_depctr 0xfff
	v_sub_f32_e32 v4, v4, v17
	s_delay_alu instid0(VALU_DEP_1) | instskip(NEXT) | instid1(VALU_DEP_1)
	v_mul_f32_e32 v4, 0x3f317218, v4
	v_cndmask_b32_e32 v4, v4, v16, vcc_lo
	s_delay_alu instid0(VALU_DEP_1) | instskip(SKIP_1) | instid1(VALU_DEP_2)
	v_mul_f32_e32 v15, 0x4f800000, v4
	v_cmp_gt_f32_e32 vcc_lo, 0xf800000, v4
	v_cndmask_b32_e32 v4, v4, v15, vcc_lo
	s_delay_alu instid0(VALU_DEP_1) | instskip(SKIP_3) | instid1(VALU_DEP_2)
	v_sqrt_f32_e32 v15, v4
	s_waitcnt_depctr 0xfff
	v_add_nc_u32_e32 v16, -1, v15
	v_add_nc_u32_e32 v17, 1, v15
	v_fma_f32 v18, -v16, v15, v4
	s_delay_alu instid0(VALU_DEP_2) | instskip(NEXT) | instid1(VALU_DEP_2)
	v_fma_f32 v19, -v17, v15, v4
	v_cmp_ge_f32_e64 s3, 0, v18
	s_delay_alu instid0(VALU_DEP_1) | instskip(NEXT) | instid1(VALU_DEP_3)
	v_cndmask_b32_e64 v15, v15, v16, s3
	v_cmp_lt_f32_e64 s3, 0, v19
	s_delay_alu instid0(VALU_DEP_1) | instskip(NEXT) | instid1(VALU_DEP_1)
	v_cndmask_b32_e64 v15, v15, v17, s3
	v_mul_f32_e32 v16, 0x37800000, v15
	s_delay_alu instid0(VALU_DEP_1) | instskip(SKIP_1) | instid1(VALU_DEP_2)
	v_cndmask_b32_e32 v15, v15, v16, vcc_lo
	v_cmp_class_f32_e64 vcc_lo, v4, 0x260
	v_cndmask_b32_e32 v4, v15, v4, vcc_lo
	s_and_not1_b32 vcc_lo, exec_lo, s20
	s_cbranch_vccnz .LBB200_2
; %bb.10:                               ;   in Loop: Header=BB200_3 Depth=1
	v_add_co_u32 v9, vcc_lo, s26, v9
	v_add_co_ci_u32_e32 v10, vcc_lo, s27, v10, vcc_lo
	global_load_u16 v9, v[9:10], off
	s_waitcnt vmcnt(0)
	v_lshlrev_b32_e32 v9, 16, v9
	s_delay_alu instid0(VALU_DEP_1)
	v_add_f32_e32 v4, v4, v9
	s_branch .LBB200_2
.LBB200_11:
	s_or_b32 exec_lo, exec_lo, s18
	v_lshl_add_u32 v1, s14, 2, v0
	s_mov_b32 s18, exec_lo
	s_delay_alu instid0(VALU_DEP_1)
	v_cmpx_gt_i32_e64 s12, v1
	s_cbranch_execz .LBB200_16
; %bb.12:
	s_load_b32 s3, s[0:1], 0x44
	s_lshl_b64 s[16:17], s[16:17], 1
	v_lshlrev_b32_e32 v2, 2, v0
	s_add_u32 s4, s4, s16
	s_addc_u32 s5, s5, s17
	s_cmp_lg_u64 s[6:7], 0
	s_mov_b32 s19, 0
	s_cselect_b32 s16, -1, 0
	s_lshl_b32 s17, s14, 4
	s_mov_b32 s21, 0x3fb8aa3b
	v_add3_u32 v4, 0, s17, v2
	s_waitcnt lgkmcnt(0)
	s_and_b32 s17, s3, 0xffff
	s_delay_alu instid0(SALU_CYCLE_1)
	s_lshl_b32 s20, s17, 2
	s_branch .LBB200_14
.LBB200_13:                             ;   in Loop: Header=BB200_14 Depth=1
	v_add_nc_u32_e32 v1, s17, v1
	v_add_nc_u32_e32 v4, s20, v4
	s_delay_alu instid0(VALU_DEP_2) | instskip(SKIP_1) | instid1(SALU_CYCLE_1)
	v_cmp_le_i32_e32 vcc_lo, s12, v1
	s_or_b32 s19, vcc_lo, s19
	s_and_not1_b32 exec_lo, exec_lo, s19
	s_cbranch_execz .LBB200_16
.LBB200_14:                             ; =>This Inner Loop Header: Depth=1
	v_ashrrev_i32_e32 v2, 31, v1
	s_delay_alu instid0(VALU_DEP_1) | instskip(NEXT) | instid1(VALU_DEP_1)
	v_lshlrev_b64 v[2:3], 1, v[1:2]
	v_add_co_u32 v5, vcc_lo, s4, v2
	s_delay_alu instid0(VALU_DEP_2) | instskip(SKIP_3) | instid1(VALU_DEP_1)
	v_add_co_ci_u32_e32 v6, vcc_lo, s5, v3, vcc_lo
	global_load_u16 v5, v[5:6], off
	s_waitcnt vmcnt(0)
	v_cvt_f32_f16_e32 v6, v5
	v_mul_f32_e32 v7, 0x3fb8aa3b, v6
	s_delay_alu instid0(VALU_DEP_1) | instskip(SKIP_2) | instid1(VALU_DEP_2)
	v_cmp_gt_f32_e32 vcc_lo, 0xc2fc0000, v7
	v_cndmask_b32_e64 v7, 0, 0x42800000, vcc_lo
	v_cndmask_b32_e64 v8, 1.0, 0x1f800000, vcc_lo
	v_fma_mix_f32 v7, v5, s21, v7 op_sel_hi:[1,0,0]
	s_delay_alu instid0(VALU_DEP_1) | instskip(SKIP_2) | instid1(VALU_DEP_1)
	v_exp_f32_e32 v7, v7
	s_waitcnt_depctr 0xfff
	v_fma_f32 v7, v7, v8, 1.0
	v_cmp_gt_f32_e32 vcc_lo, 0x800000, v7
	v_cndmask_b32_e64 v8, 1.0, 0x4f800000, vcc_lo
	s_delay_alu instid0(VALU_DEP_1) | instskip(SKIP_2) | instid1(VALU_DEP_3)
	v_mul_f32_e32 v7, v7, v8
	v_cndmask_b32_e64 v8, 0, 0x42000000, vcc_lo
	v_cmp_lt_f16_e32 vcc_lo, 0x4d00, v5
	v_log_f32_e32 v7, v7
	s_waitcnt_depctr 0xfff
	v_sub_f32_e32 v7, v7, v8
	s_delay_alu instid0(VALU_DEP_1) | instskip(NEXT) | instid1(VALU_DEP_1)
	v_mul_f32_e32 v7, 0x3f317218, v7
	v_cndmask_b32_e32 v5, v7, v6, vcc_lo
	s_delay_alu instid0(VALU_DEP_1) | instskip(SKIP_1) | instid1(VALU_DEP_2)
	v_mul_f32_e32 v6, 0x4f800000, v5
	v_cmp_gt_f32_e32 vcc_lo, 0xf800000, v5
	v_cndmask_b32_e32 v5, v5, v6, vcc_lo
	s_delay_alu instid0(VALU_DEP_1) | instskip(SKIP_3) | instid1(VALU_DEP_2)
	v_sqrt_f32_e32 v6, v5
	s_waitcnt_depctr 0xfff
	v_add_nc_u32_e32 v7, -1, v6
	v_add_nc_u32_e32 v8, 1, v6
	v_fma_f32 v9, -v7, v6, v5
	s_delay_alu instid0(VALU_DEP_2) | instskip(NEXT) | instid1(VALU_DEP_2)
	v_fma_f32 v10, -v8, v6, v5
	v_cmp_ge_f32_e64 s3, 0, v9
	s_delay_alu instid0(VALU_DEP_1) | instskip(NEXT) | instid1(VALU_DEP_3)
	v_cndmask_b32_e64 v6, v6, v7, s3
	v_cmp_lt_f32_e64 s3, 0, v10
	s_delay_alu instid0(VALU_DEP_1) | instskip(NEXT) | instid1(VALU_DEP_1)
	v_cndmask_b32_e64 v6, v6, v8, s3
	v_mul_f32_e32 v7, 0x37800000, v6
	s_delay_alu instid0(VALU_DEP_1) | instskip(SKIP_1) | instid1(VALU_DEP_2)
	v_cndmask_b32_e32 v6, v6, v7, vcc_lo
	v_cmp_class_f32_e64 vcc_lo, v5, 0x260
	v_cndmask_b32_e32 v5, v6, v5, vcc_lo
	s_and_not1_b32 vcc_lo, exec_lo, s16
	ds_store_b32 v4, v5
	s_cbranch_vccnz .LBB200_13
; %bb.15:                               ;   in Loop: Header=BB200_14 Depth=1
	v_add_co_u32 v2, vcc_lo, s6, v2
	v_add_co_ci_u32_e32 v3, vcc_lo, s7, v3, vcc_lo
	global_load_u16 v2, v[2:3], off
	s_waitcnt vmcnt(0)
	v_lshlrev_b32_e32 v2, 16, v2
	s_delay_alu instid0(VALU_DEP_1)
	v_add_f32_e32 v2, v5, v2
	ds_store_b32 v4, v2
	s_branch .LBB200_13
.LBB200_16:
	s_or_b32 exec_lo, exec_lo, s18
	s_cmp_lt_i32 s13, 1
	s_waitcnt lgkmcnt(0)
	s_barrier
	buffer_gl0_inv
	s_cbranch_scc1 .LBB200_25
; %bb.17:
	s_add_u32 s4, s0, 56
	s_addc_u32 s5, s1, 0
	v_dual_mov_b32 v3, 0 :: v_dual_mov_b32 v4, 0xff800000
	v_dual_mov_b32 v1, 0 :: v_dual_mov_b32 v2, 0
	s_cmp_lg_u64 s[6:7], 0
	s_mov_b32 s18, 0
	s_cselect_b32 s12, -1, 0
	s_mov_b32 s19, 0x76543210
	s_branch .LBB200_19
.LBB200_18:                             ;   in Loop: Header=BB200_19 Depth=1
	v_cmp_eq_u32_e32 vcc_lo, s18, v0
	s_delay_alu instid0(VALU_DEP_2)
	s_lshl_b32 s3, s16, 2
	s_add_i32 s18, s18, 1
	s_add_i32 s3, s3, 0
	s_cmp_eq_u32 s18, s13
	v_cndmask_b32_e64 v1, v1, s16, vcc_lo
	v_dual_mov_b32 v5, s3 :: v_dual_cndmask_b32 v2, v2, v7
	ds_store_b32 v5, v4
	s_cbranch_scc1 .LBB200_26
.LBB200_19:                             ; =>This Loop Header: Depth=1
                                        ;     Child Loop BB200_21 Depth 2
	v_dual_mov_b32 v5, s18 :: v_dual_mov_b32 v6, 0xff800000
	s_and_saveexec_b32 s16, s2
	s_cbranch_execz .LBB200_23
; %bb.20:                               ;   in Loop: Header=BB200_19 Depth=1
	s_load_b32 s3, s[4:5], 0xc
	v_dual_mov_b32 v5, s18 :: v_dual_mov_b32 v6, 0xff800000
	v_dual_mov_b32 v7, v12 :: v_dual_mov_b32 v8, v11
	v_mov_b32_e32 v9, v0
	s_mov_b32 s21, 0
	s_waitcnt lgkmcnt(0)
	s_and_b32 s17, s3, 0xffff
	s_delay_alu instid0(SALU_CYCLE_1)
	s_lshl_b32 s20, s17, 2
	s_lshl_b32 s22, s17, 4
	.p2align	6
.LBB200_21:                             ;   Parent Loop BB200_19 Depth=1
                                        ; =>  This Inner Loop Header: Depth=2
	ds_load_b128 v[13:16], v7
	v_add_nc_u32_e32 v7, s22, v7
	s_waitcnt lgkmcnt(0)
	v_cmp_gt_f32_e32 vcc_lo, v13, v6
	v_dual_cndmask_b32 v6, v6, v13 :: v_dual_cndmask_b32 v5, v5, v8
	v_add_nc_u32_e32 v13, 2, v8
	v_add_nc_u32_e32 v10, 1, v8
	s_delay_alu instid0(VALU_DEP_3) | instskip(SKIP_1) | instid1(VALU_DEP_3)
	v_cmp_gt_f32_e32 vcc_lo, v14, v6
	v_cndmask_b32_e32 v6, v6, v14, vcc_lo
	v_dual_cndmask_b32 v5, v5, v10 :: v_dual_add_nc_u32 v10, 3, v8
	s_delay_alu instid0(VALU_DEP_2) | instskip(NEXT) | instid1(VALU_DEP_2)
	v_cmp_gt_f32_e32 vcc_lo, v15, v6
	v_dual_cndmask_b32 v6, v6, v15 :: v_dual_cndmask_b32 v5, v5, v13
	s_delay_alu instid0(VALU_DEP_1) | instskip(SKIP_1) | instid1(VALU_DEP_3)
	v_cmp_gt_f32_e32 vcc_lo, v16, v6
	v_add_nc_u32_e32 v9, s17, v9
	v_dual_cndmask_b32 v5, v5, v10 :: v_dual_add_nc_u32 v8, s20, v8
	v_cndmask_b32_e32 v6, v6, v16, vcc_lo
	s_delay_alu instid0(VALU_DEP_3) | instskip(NEXT) | instid1(VALU_DEP_1)
	v_cmp_le_i32_e64 s3, s14, v9
	s_or_b32 s21, s3, s21
	s_delay_alu instid0(SALU_CYCLE_1)
	s_and_not1_b32 exec_lo, exec_lo, s21
	s_cbranch_execnz .LBB200_21
; %bb.22:                               ;   in Loop: Header=BB200_19 Depth=1
	s_or_b32 exec_lo, exec_lo, s21
.LBB200_23:                             ;   in Loop: Header=BB200_19 Depth=1
	s_delay_alu instid0(SALU_CYCLE_1)
	s_or_b32 exec_lo, exec_lo, s16
	;;#ASMSTART
	v_max_f32 v7, v6, v6 quad_perm:[1,0,3,2] row_mask:0xf bank_mask:0xf bound_ctrl:1
	;;#ASMEND
	;;#ASMSTART
	v_max_f32 v8, v7, v7 quad_perm:[2,3,0,1] row_mask:0xf bank_mask:0xf bound_ctrl:1
	;;#ASMEND
	;;#ASMSTART
	v_max_f32 v7, v8, v8 row_half_mirror row_mask:0xf bank_mask:0xf bound_ctrl:1
	;;#ASMEND
	;;#ASMSTART
	v_max_f32 v8, v7, v7 row_mirror row_mask:0xf bank_mask:0xf bound_ctrl:1
	;;#ASMEND
	v_permlanex16_b32 v7, v8, s19, 0xfedcba98 op_sel:[1,1]
	s_delay_alu instid0(VALU_DEP_1) | instskip(NEXT) | instid1(VALU_DEP_1)
	v_dual_max_f32 v8, v8, v8 :: v_dual_max_f32 v7, v7, v7
	v_max_f32_e32 v7, v8, v7
	s_delay_alu instid0(VALU_DEP_1)
	v_cmp_eq_f32_e32 vcc_lo, v6, v7
	s_ctz_i32_b32 s3, vcc_lo
	s_cmp_lg_u32 vcc_lo, 0
	s_cselect_b32 s3, s3, 0
	s_and_b32 vcc_lo, exec_lo, s12
	v_readlane_b32 s16, v5, s3
	s_cbranch_vccz .LBB200_18
; %bb.24:                               ;   in Loop: Header=BB200_19 Depth=1
	s_delay_alu instid0(VALU_DEP_1) | instskip(NEXT) | instid1(SALU_CYCLE_1)
	s_ashr_i32 s17, s16, 31
	s_lshl_b64 s[20:21], s[16:17], 1
	s_delay_alu instid0(SALU_CYCLE_1) | instskip(SKIP_4) | instid1(VALU_DEP_1)
	s_add_u32 s20, s6, s20
	s_addc_u32 s21, s7, s21
	global_load_u16 v5, v3, s[20:21]
	s_waitcnt vmcnt(0)
	v_lshlrev_b32_e32 v5, 16, v5
	v_sub_f32_e32 v7, v7, v5
	s_branch .LBB200_18
.LBB200_25:
	v_dual_mov_b32 v2, 0 :: v_dual_mov_b32 v1, 0
.LBB200_26:
	s_mov_b32 s2, exec_lo
	v_cmpx_gt_i32_e64 s13, v0
	s_cbranch_execz .LBB200_29
; %bb.27:
	s_clause 0x2
	s_load_b32 s4, s[0:1], 0x34
	s_load_b64 s[2:3], s[0:1], 0x20
	s_load_b32 s0, s[0:1], 0x44
	s_ashr_i32 s1, s15, 31
	s_waitcnt lgkmcnt(0)
	v_mul_f32_e32 v2, s4, v2
	s_mul_i32 s3, s15, s3
	s_mul_hi_u32 s4, s15, s2
	s_mul_i32 s5, s1, s2
	s_add_i32 s3, s4, s3
	s_mul_i32 s1, s15, s2
	s_and_b32 s2, s0, 0xffff
	s_add_i32 s3, s3, s5
	s_mov_b32 s4, 0
	.p2align	6
.LBB200_28:                             ; =>This Inner Loop Header: Depth=1
	v_ashrrev_i32_e32 v4, 31, v0
	v_add_co_u32 v3, vcc_lo, s1, v0
	v_add_nc_u32_e32 v0, s2, v0
	s_delay_alu instid0(VALU_DEP_3) | instskip(NEXT) | instid1(VALU_DEP_2)
	v_add_co_ci_u32_e32 v4, vcc_lo, s3, v4, vcc_lo
	v_cmp_le_i32_e32 vcc_lo, s13, v0
	s_delay_alu instid0(VALU_DEP_2) | instskip(SKIP_1) | instid1(VALU_DEP_1)
	v_lshlrev_b64 v[3:4], 2, v[3:4]
	s_or_b32 s4, vcc_lo, s4
	v_add_co_u32 v5, s0, s8, v3
	s_delay_alu instid0(VALU_DEP_1) | instskip(SKIP_1) | instid1(VALU_DEP_1)
	v_add_co_ci_u32_e64 v6, s0, s9, v4, s0
	v_add_co_u32 v3, s0, s10, v3
	v_add_co_ci_u32_e64 v4, s0, s11, v4, s0
	global_store_b32 v[5:6], v2, off
	global_store_b32 v[3:4], v1, off
	s_and_not1_b32 exec_lo, exec_lo, s4
	s_cbranch_execnz .LBB200_28
.LBB200_29:
	s_nop 0
	s_sendmsg sendmsg(MSG_DEALLOC_VGPRS)
	s_endpgm
	.section	.rodata,"a",@progbits
	.p2align	6, 0x0
	.amdhsa_kernel _ZN5aiter20topk_softplus_kernelI6__half12hip_bfloat16Dv4_fLb0ELi0EEEvPKT_PKT0_PfPimiiif
		.amdhsa_group_segment_fixed_size 0
		.amdhsa_private_segment_fixed_size 0
		.amdhsa_kernarg_size 312
		.amdhsa_user_sgpr_count 15
		.amdhsa_user_sgpr_dispatch_ptr 0
		.amdhsa_user_sgpr_queue_ptr 0
		.amdhsa_user_sgpr_kernarg_segment_ptr 1
		.amdhsa_user_sgpr_dispatch_id 0
		.amdhsa_user_sgpr_private_segment_size 0
		.amdhsa_wavefront_size32 1
		.amdhsa_uses_dynamic_stack 0
		.amdhsa_enable_private_segment 0
		.amdhsa_system_sgpr_workgroup_id_x 1
		.amdhsa_system_sgpr_workgroup_id_y 0
		.amdhsa_system_sgpr_workgroup_id_z 0
		.amdhsa_system_sgpr_workgroup_info 0
		.amdhsa_system_vgpr_workitem_id 0
		.amdhsa_next_free_vgpr 20
		.amdhsa_next_free_sgpr 32
		.amdhsa_reserve_vcc 1
		.amdhsa_float_round_mode_32 0
		.amdhsa_float_round_mode_16_64 0
		.amdhsa_float_denorm_mode_32 3
		.amdhsa_float_denorm_mode_16_64 3
		.amdhsa_dx10_clamp 1
		.amdhsa_ieee_mode 1
		.amdhsa_fp16_overflow 0
		.amdhsa_workgroup_processor_mode 1
		.amdhsa_memory_ordered 1
		.amdhsa_forward_progress 0
		.amdhsa_shared_vgpr_count 0
		.amdhsa_exception_fp_ieee_invalid_op 0
		.amdhsa_exception_fp_denorm_src 0
		.amdhsa_exception_fp_ieee_div_zero 0
		.amdhsa_exception_fp_ieee_overflow 0
		.amdhsa_exception_fp_ieee_underflow 0
		.amdhsa_exception_fp_ieee_inexact 0
		.amdhsa_exception_int_div_zero 0
	.end_amdhsa_kernel
	.section	.text._ZN5aiter20topk_softplus_kernelI6__half12hip_bfloat16Dv4_fLb0ELi0EEEvPKT_PKT0_PfPimiiif,"axG",@progbits,_ZN5aiter20topk_softplus_kernelI6__half12hip_bfloat16Dv4_fLb0ELi0EEEvPKT_PKT0_PfPimiiif,comdat
.Lfunc_end200:
	.size	_ZN5aiter20topk_softplus_kernelI6__half12hip_bfloat16Dv4_fLb0ELi0EEEvPKT_PKT0_PfPimiiif, .Lfunc_end200-_ZN5aiter20topk_softplus_kernelI6__half12hip_bfloat16Dv4_fLb0ELi0EEEvPKT_PKT0_PfPimiiif
                                        ; -- End function
	.section	.AMDGPU.csdata,"",@progbits
; Kernel info:
; codeLenInByte = 2948
; NumSgprs: 34
; NumVgprs: 20
; ScratchSize: 0
; MemoryBound: 0
; FloatMode: 240
; IeeeMode: 1
; LDSByteSize: 0 bytes/workgroup (compile time only)
; SGPRBlocks: 4
; VGPRBlocks: 2
; NumSGPRsForWavesPerEU: 34
; NumVGPRsForWavesPerEU: 20
; Occupancy: 16
; WaveLimiterHint : 0
; COMPUTE_PGM_RSRC2:SCRATCH_EN: 0
; COMPUTE_PGM_RSRC2:USER_SGPR: 15
; COMPUTE_PGM_RSRC2:TRAP_HANDLER: 0
; COMPUTE_PGM_RSRC2:TGID_X_EN: 1
; COMPUTE_PGM_RSRC2:TGID_Y_EN: 0
; COMPUTE_PGM_RSRC2:TGID_Z_EN: 0
; COMPUTE_PGM_RSRC2:TIDIG_COMP_CNT: 0
	.section	.text._ZN5aiter20topk_softplus_kernelI6__half12hip_bfloat16Dv2_fLb1ELi0EEEvPKT_PKT0_PfPimiiif,"axG",@progbits,_ZN5aiter20topk_softplus_kernelI6__half12hip_bfloat16Dv2_fLb1ELi0EEEvPKT_PKT0_PfPimiiif,comdat
	.protected	_ZN5aiter20topk_softplus_kernelI6__half12hip_bfloat16Dv2_fLb1ELi0EEEvPKT_PKT0_PfPimiiif ; -- Begin function _ZN5aiter20topk_softplus_kernelI6__half12hip_bfloat16Dv2_fLb1ELi0EEEvPKT_PKT0_PfPimiiif
	.globl	_ZN5aiter20topk_softplus_kernelI6__half12hip_bfloat16Dv2_fLb1ELi0EEEvPKT_PKT0_PfPimiiif
	.p2align	8
	.type	_ZN5aiter20topk_softplus_kernelI6__half12hip_bfloat16Dv2_fLb1ELi0EEEvPKT_PKT0_PfPimiiif,@function
_ZN5aiter20topk_softplus_kernelI6__half12hip_bfloat16Dv2_fLb1ELi0EEEvPKT_PKT0_PfPimiiif: ; @_ZN5aiter20topk_softplus_kernelI6__half12hip_bfloat16Dv2_fLb1ELi0EEEvPKT_PKT0_PfPimiiif
; %bb.0:
	s_clause 0x1
	s_load_b64 s[12:13], s[0:1], 0x28
	s_load_b256 s[4:11], s[0:1], 0x0
	v_lshl_add_u32 v4, v0, 3, 0
	s_waitcnt lgkmcnt(0)
	s_lshr_b32 s3, s12, 31
	s_mul_i32 s2, s15, s12
	s_add_i32 s14, s12, s3
	s_ashr_i32 s3, s2, 31
	s_ashr_i32 s14, s14, 1
	s_lshl_b64 s[16:17], s[2:3], 1
	v_cmp_gt_i32_e64 s2, s14, v0
	s_add_u32 s4, s4, s16
	s_addc_u32 s5, s5, s17
	s_delay_alu instid0(VALU_DEP_1)
	s_and_saveexec_b32 s16, s2
	s_cbranch_execz .LBB201_7
; %bb.1:
	s_load_b32 s3, s[0:1], 0x44
	s_cmp_lg_u64 s[6:7], 0
	v_lshlrev_b32_e32 v3, 2, v0
	v_mov_b32_e32 v5, 0
	v_lshl_add_u32 v6, v0, 3, 0
	v_mov_b32_e32 v7, v0
	s_cselect_b32 s18, -1, 0
	s_mov_b32 s17, 0
	s_mov_b32 s22, 0x3fb8aa3b
	s_waitcnt lgkmcnt(0)
	s_and_b32 s19, s3, 0xffff
	s_delay_alu instid0(SALU_CYCLE_1)
	s_lshl_b32 s20, s19, 2
	s_lshl_b32 s21, s19, 3
	s_branch .LBB201_3
.LBB201_2:                              ;   in Loop: Header=BB201_3 Depth=1
	v_add_nc_u32_e32 v7, s19, v7
	v_add_co_u32 v3, s3, v3, s20
	ds_store_b64 v6, v[1:2]
	v_add_co_ci_u32_e64 v5, s3, 0, v5, s3
	v_cmp_le_i32_e32 vcc_lo, s14, v7
	v_add_nc_u32_e32 v6, s21, v6
	s_or_b32 s17, vcc_lo, s17
	s_delay_alu instid0(SALU_CYCLE_1)
	s_and_not1_b32 exec_lo, exec_lo, s17
	s_cbranch_execz .LBB201_7
.LBB201_3:                              ; =>This Inner Loop Header: Depth=1
	v_add_co_u32 v1, vcc_lo, s4, v3
	v_add_co_ci_u32_e32 v2, vcc_lo, s5, v5, vcc_lo
	global_load_b32 v2, v[1:2], off
	s_waitcnt vmcnt(0)
	v_cvt_f32_f16_e32 v1, v2
	s_delay_alu instid0(VALU_DEP_1) | instskip(NEXT) | instid1(VALU_DEP_1)
	v_mul_f32_e32 v8, 0x3fb8aa3b, v1
	v_cmp_gt_f32_e32 vcc_lo, 0xc2fc0000, v8
	v_cndmask_b32_e64 v8, 0, 0x42800000, vcc_lo
	v_cndmask_b32_e64 v9, 1.0, 0x1f800000, vcc_lo
	s_delay_alu instid0(VALU_DEP_2) | instskip(NEXT) | instid1(VALU_DEP_1)
	v_fma_mix_f32 v8, v2, s22, v8 op_sel_hi:[1,0,0]
	v_exp_f32_e32 v8, v8
	s_waitcnt_depctr 0xfff
	v_fma_f32 v8, v8, v9, 1.0
	s_delay_alu instid0(VALU_DEP_1) | instskip(SKIP_1) | instid1(VALU_DEP_1)
	v_cmp_gt_f32_e32 vcc_lo, 0x800000, v8
	v_cndmask_b32_e64 v9, 1.0, 0x4f800000, vcc_lo
	v_mul_f32_e32 v8, v8, v9
	v_cndmask_b32_e64 v9, 0, 0x42000000, vcc_lo
	v_cmp_lt_f16_e32 vcc_lo, 0x4d00, v2
	s_delay_alu instid0(VALU_DEP_3) | instskip(SKIP_2) | instid1(VALU_DEP_1)
	v_log_f32_e32 v8, v8
	s_waitcnt_depctr 0xfff
	v_sub_f32_e32 v8, v8, v9
	v_mul_f32_e32 v8, 0x3f317218, v8
	s_delay_alu instid0(VALU_DEP_1) | instskip(NEXT) | instid1(VALU_DEP_1)
	v_cndmask_b32_e32 v1, v8, v1, vcc_lo
	v_mul_f32_e32 v8, 0x4f800000, v1
	v_cmp_gt_f32_e32 vcc_lo, 0xf800000, v1
	s_delay_alu instid0(VALU_DEP_2) | instskip(NEXT) | instid1(VALU_DEP_1)
	v_cndmask_b32_e32 v1, v1, v8, vcc_lo
	v_sqrt_f32_e32 v8, v1
	s_waitcnt_depctr 0xfff
	v_add_nc_u32_e32 v9, -1, v8
	v_add_nc_u32_e32 v10, 1, v8
	s_delay_alu instid0(VALU_DEP_2) | instskip(NEXT) | instid1(VALU_DEP_2)
	v_fma_f32 v11, -v9, v8, v1
	v_fma_f32 v12, -v10, v8, v1
	s_delay_alu instid0(VALU_DEP_2) | instskip(NEXT) | instid1(VALU_DEP_1)
	v_cmp_ge_f32_e64 s3, 0, v11
	v_cndmask_b32_e64 v8, v8, v9, s3
	s_delay_alu instid0(VALU_DEP_3) | instskip(NEXT) | instid1(VALU_DEP_1)
	v_cmp_lt_f32_e64 s3, 0, v12
	v_cndmask_b32_e64 v8, v8, v10, s3
	s_delay_alu instid0(VALU_DEP_1) | instskip(NEXT) | instid1(VALU_DEP_1)
	v_mul_f32_e32 v9, 0x37800000, v8
	v_cndmask_b32_e32 v8, v8, v9, vcc_lo
	v_cmp_class_f32_e64 vcc_lo, v1, 0x260
	s_delay_alu instid0(VALU_DEP_2)
	v_cndmask_b32_e32 v1, v8, v1, vcc_lo
	s_and_not1_b32 vcc_lo, exec_lo, s18
	s_cbranch_vccnz .LBB201_5
; %bb.4:                                ;   in Loop: Header=BB201_3 Depth=1
	v_add_co_u32 v8, vcc_lo, s6, v3
	v_add_co_ci_u32_e32 v9, vcc_lo, s7, v5, vcc_lo
	global_load_u16 v8, v[8:9], off
	s_waitcnt vmcnt(0)
	v_lshlrev_b32_e32 v8, 16, v8
	s_delay_alu instid0(VALU_DEP_1)
	v_add_f32_e32 v1, v1, v8
.LBB201_5:                              ;   in Loop: Header=BB201_3 Depth=1
	v_lshrrev_b32_e32 v8, 16, v2
	s_delay_alu instid0(VALU_DEP_1) | instskip(NEXT) | instid1(VALU_DEP_1)
	v_cvt_f32_f16_e32 v9, v8
	v_mul_f32_e32 v10, 0x3fb8aa3b, v9
	s_delay_alu instid0(VALU_DEP_1) | instskip(SKIP_2) | instid1(VALU_DEP_2)
	v_cmp_gt_f32_e32 vcc_lo, 0xc2fc0000, v10
	v_cndmask_b32_e64 v11, 0, 0x42800000, vcc_lo
	v_cndmask_b32_e64 v10, 1.0, 0x1f800000, vcc_lo
	v_fma_mix_f32 v2, v2, s22, v11 op_sel:[1,0,0] op_sel_hi:[1,0,0]
	s_delay_alu instid0(VALU_DEP_1) | instskip(SKIP_2) | instid1(VALU_DEP_1)
	v_exp_f32_e32 v2, v2
	s_waitcnt_depctr 0xfff
	v_fma_f32 v2, v2, v10, 1.0
	v_cmp_gt_f32_e32 vcc_lo, 0x800000, v2
	v_cndmask_b32_e64 v10, 1.0, 0x4f800000, vcc_lo
	s_delay_alu instid0(VALU_DEP_1) | instskip(SKIP_2) | instid1(VALU_DEP_3)
	v_mul_f32_e32 v2, v2, v10
	v_cndmask_b32_e64 v10, 0, 0x42000000, vcc_lo
	v_cmp_lt_f16_e32 vcc_lo, 0x4d00, v8
	v_log_f32_e32 v2, v2
	s_waitcnt_depctr 0xfff
	v_sub_f32_e32 v2, v2, v10
	s_delay_alu instid0(VALU_DEP_1) | instskip(NEXT) | instid1(VALU_DEP_1)
	v_mul_f32_e32 v2, 0x3f317218, v2
	v_cndmask_b32_e32 v2, v2, v9, vcc_lo
	s_delay_alu instid0(VALU_DEP_1) | instskip(SKIP_1) | instid1(VALU_DEP_2)
	v_mul_f32_e32 v8, 0x4f800000, v2
	v_cmp_gt_f32_e32 vcc_lo, 0xf800000, v2
	v_cndmask_b32_e32 v2, v2, v8, vcc_lo
	s_delay_alu instid0(VALU_DEP_1) | instskip(SKIP_3) | instid1(VALU_DEP_2)
	v_sqrt_f32_e32 v8, v2
	s_waitcnt_depctr 0xfff
	v_add_nc_u32_e32 v9, -1, v8
	v_add_nc_u32_e32 v10, 1, v8
	v_fma_f32 v11, -v9, v8, v2
	s_delay_alu instid0(VALU_DEP_2) | instskip(NEXT) | instid1(VALU_DEP_2)
	v_fma_f32 v12, -v10, v8, v2
	v_cmp_ge_f32_e64 s3, 0, v11
	s_delay_alu instid0(VALU_DEP_1) | instskip(NEXT) | instid1(VALU_DEP_3)
	v_cndmask_b32_e64 v8, v8, v9, s3
	v_cmp_lt_f32_e64 s3, 0, v12
	s_delay_alu instid0(VALU_DEP_1) | instskip(NEXT) | instid1(VALU_DEP_1)
	v_cndmask_b32_e64 v8, v8, v10, s3
	v_mul_f32_e32 v9, 0x37800000, v8
	s_delay_alu instid0(VALU_DEP_1) | instskip(SKIP_1) | instid1(VALU_DEP_2)
	v_cndmask_b32_e32 v8, v8, v9, vcc_lo
	v_cmp_class_f32_e64 vcc_lo, v2, 0x260
	v_cndmask_b32_e32 v2, v8, v2, vcc_lo
	s_and_not1_b32 vcc_lo, exec_lo, s18
	s_cbranch_vccnz .LBB201_2
; %bb.6:                                ;   in Loop: Header=BB201_3 Depth=1
	v_add_co_u32 v8, vcc_lo, s6, v3
	v_add_co_ci_u32_e32 v9, vcc_lo, s7, v5, vcc_lo
	global_load_u16 v8, v[8:9], off offset:2
	s_waitcnt vmcnt(0)
	v_lshlrev_b32_e32 v8, 16, v8
	s_delay_alu instid0(VALU_DEP_1)
	v_add_f32_e32 v2, v2, v8
	s_branch .LBB201_2
.LBB201_7:
	s_or_b32 exec_lo, exec_lo, s16
	v_lshl_add_u32 v1, s14, 1, v0
	s_mov_b32 s16, exec_lo
	s_delay_alu instid0(VALU_DEP_1)
	v_cmpx_gt_i32_e64 s12, v1
	s_cbranch_execz .LBB201_12
; %bb.8:
	s_load_b32 s3, s[0:1], 0x44
	v_lshlrev_b32_e32 v2, 2, v0
	s_cmp_lg_u64 s[6:7], 0
	s_mov_b32 s19, 0
	s_cselect_b32 s17, -1, 0
	s_lshl_b32 s18, s14, 3
	s_mov_b32 s21, 0x3fb8aa3b
	v_add3_u32 v5, 0, s18, v2
	s_waitcnt lgkmcnt(0)
	s_and_b32 s18, s3, 0xffff
	s_delay_alu instid0(SALU_CYCLE_1)
	s_lshl_b32 s20, s18, 2
	s_branch .LBB201_10
.LBB201_9:                              ;   in Loop: Header=BB201_10 Depth=1
	v_add_nc_u32_e32 v1, s18, v1
	v_add_nc_u32_e32 v5, s20, v5
	s_delay_alu instid0(VALU_DEP_2) | instskip(SKIP_1) | instid1(SALU_CYCLE_1)
	v_cmp_le_i32_e32 vcc_lo, s12, v1
	s_or_b32 s19, vcc_lo, s19
	s_and_not1_b32 exec_lo, exec_lo, s19
	s_cbranch_execz .LBB201_12
.LBB201_10:                             ; =>This Inner Loop Header: Depth=1
	v_ashrrev_i32_e32 v2, 31, v1
	s_delay_alu instid0(VALU_DEP_1) | instskip(NEXT) | instid1(VALU_DEP_1)
	v_lshlrev_b64 v[2:3], 1, v[1:2]
	v_add_co_u32 v6, vcc_lo, s4, v2
	s_delay_alu instid0(VALU_DEP_2) | instskip(SKIP_3) | instid1(VALU_DEP_1)
	v_add_co_ci_u32_e32 v7, vcc_lo, s5, v3, vcc_lo
	global_load_u16 v6, v[6:7], off
	s_waitcnt vmcnt(0)
	v_cvt_f32_f16_e32 v7, v6
	v_mul_f32_e32 v8, 0x3fb8aa3b, v7
	s_delay_alu instid0(VALU_DEP_1) | instskip(SKIP_2) | instid1(VALU_DEP_2)
	v_cmp_gt_f32_e32 vcc_lo, 0xc2fc0000, v8
	v_cndmask_b32_e64 v8, 0, 0x42800000, vcc_lo
	v_cndmask_b32_e64 v9, 1.0, 0x1f800000, vcc_lo
	v_fma_mix_f32 v8, v6, s21, v8 op_sel_hi:[1,0,0]
	s_delay_alu instid0(VALU_DEP_1) | instskip(SKIP_2) | instid1(VALU_DEP_1)
	v_exp_f32_e32 v8, v8
	s_waitcnt_depctr 0xfff
	v_fma_f32 v8, v8, v9, 1.0
	v_cmp_gt_f32_e32 vcc_lo, 0x800000, v8
	v_cndmask_b32_e64 v9, 1.0, 0x4f800000, vcc_lo
	s_delay_alu instid0(VALU_DEP_1) | instskip(SKIP_2) | instid1(VALU_DEP_3)
	v_mul_f32_e32 v8, v8, v9
	v_cndmask_b32_e64 v9, 0, 0x42000000, vcc_lo
	v_cmp_lt_f16_e32 vcc_lo, 0x4d00, v6
	v_log_f32_e32 v8, v8
	s_waitcnt_depctr 0xfff
	v_sub_f32_e32 v8, v8, v9
	s_delay_alu instid0(VALU_DEP_1) | instskip(NEXT) | instid1(VALU_DEP_1)
	v_mul_f32_e32 v8, 0x3f317218, v8
	v_cndmask_b32_e32 v6, v8, v7, vcc_lo
	s_delay_alu instid0(VALU_DEP_1) | instskip(SKIP_1) | instid1(VALU_DEP_2)
	v_mul_f32_e32 v7, 0x4f800000, v6
	v_cmp_gt_f32_e32 vcc_lo, 0xf800000, v6
	v_cndmask_b32_e32 v6, v6, v7, vcc_lo
	s_delay_alu instid0(VALU_DEP_1) | instskip(SKIP_3) | instid1(VALU_DEP_2)
	v_sqrt_f32_e32 v7, v6
	s_waitcnt_depctr 0xfff
	v_add_nc_u32_e32 v8, -1, v7
	v_add_nc_u32_e32 v9, 1, v7
	v_fma_f32 v10, -v8, v7, v6
	s_delay_alu instid0(VALU_DEP_2) | instskip(NEXT) | instid1(VALU_DEP_2)
	v_fma_f32 v11, -v9, v7, v6
	v_cmp_ge_f32_e64 s3, 0, v10
	s_delay_alu instid0(VALU_DEP_1) | instskip(NEXT) | instid1(VALU_DEP_3)
	v_cndmask_b32_e64 v7, v7, v8, s3
	v_cmp_lt_f32_e64 s3, 0, v11
	s_delay_alu instid0(VALU_DEP_1) | instskip(NEXT) | instid1(VALU_DEP_1)
	v_cndmask_b32_e64 v7, v7, v9, s3
	v_mul_f32_e32 v8, 0x37800000, v7
	s_delay_alu instid0(VALU_DEP_1) | instskip(SKIP_1) | instid1(VALU_DEP_2)
	v_cndmask_b32_e32 v7, v7, v8, vcc_lo
	v_cmp_class_f32_e64 vcc_lo, v6, 0x260
	v_cndmask_b32_e32 v6, v7, v6, vcc_lo
	s_and_not1_b32 vcc_lo, exec_lo, s17
	ds_store_b32 v5, v6
	s_cbranch_vccnz .LBB201_9
; %bb.11:                               ;   in Loop: Header=BB201_10 Depth=1
	v_add_co_u32 v2, vcc_lo, s6, v2
	v_add_co_ci_u32_e32 v3, vcc_lo, s7, v3, vcc_lo
	global_load_u16 v2, v[2:3], off
	s_waitcnt vmcnt(0)
	v_lshlrev_b32_e32 v2, 16, v2
	s_delay_alu instid0(VALU_DEP_1)
	v_add_f32_e32 v2, v6, v2
	ds_store_b32 v5, v2
	s_branch .LBB201_9
.LBB201_12:
	s_or_b32 exec_lo, exec_lo, s16
	v_mov_b32_e32 v2, 0
	s_cmp_lt_i32 s13, 1
	s_waitcnt lgkmcnt(0)
	s_barrier
	buffer_gl0_inv
	s_cbranch_scc1 .LBB201_21
; %bb.13:
	s_add_u32 s4, s0, 56
	s_addc_u32 s5, s1, 0
	v_dual_mov_b32 v2, 0 :: v_dual_lshlrev_b32 v5, 1, v0
	v_dual_mov_b32 v6, 0 :: v_dual_mov_b32 v7, 0xff800000
	v_mov_b32_e32 v1, 0
	v_mov_b32_e32 v3, 0
	s_cmp_lg_u64 s[6:7], 0
	s_mov_b32 s18, 0
	s_cselect_b32 s12, -1, 0
	s_mov_b32 s19, 0x76543210
	s_branch .LBB201_15
.LBB201_14:                             ;   in Loop: Header=BB201_15 Depth=1
	v_cmp_eq_u32_e32 vcc_lo, s18, v0
	s_delay_alu instid0(VALU_DEP_2)
	s_lshl_b32 s3, s16, 2
	s_add_i32 s18, s18, 1
	s_add_i32 s3, s3, 0
	v_add_f32_e32 v3, v3, v10
	v_cndmask_b32_e64 v1, v1, s16, vcc_lo
	v_mov_b32_e32 v8, s3
	v_cndmask_b32_e32 v2, v2, v10, vcc_lo
	s_cmp_eq_u32 s18, s13
	ds_store_b32 v8, v7
	s_cbranch_scc1 .LBB201_22
.LBB201_15:                             ; =>This Loop Header: Depth=1
                                        ;     Child Loop BB201_17 Depth 2
	v_dual_mov_b32 v8, s18 :: v_dual_mov_b32 v9, 0xff800000
	s_and_saveexec_b32 s16, s2
	s_cbranch_execz .LBB201_19
; %bb.16:                               ;   in Loop: Header=BB201_15 Depth=1
	s_load_b32 s3, s[4:5], 0xc
	v_dual_mov_b32 v8, s18 :: v_dual_mov_b32 v9, 0xff800000
	v_dual_mov_b32 v10, v4 :: v_dual_mov_b32 v11, v5
	v_mov_b32_e32 v12, v0
	s_mov_b32 s21, 0
	s_waitcnt lgkmcnt(0)
	s_and_b32 s17, s3, 0xffff
	s_delay_alu instid0(SALU_CYCLE_1)
	s_lshl_b32 s20, s17, 1
	s_lshl_b32 s22, s17, 3
	.p2align	6
.LBB201_17:                             ;   Parent Loop BB201_15 Depth=1
                                        ; =>  This Inner Loop Header: Depth=2
	ds_load_b64 v[13:14], v10
	v_add_nc_u32_e32 v10, s22, v10
	v_add_nc_u32_e32 v12, s17, v12
	s_delay_alu instid0(VALU_DEP_1) | instskip(NEXT) | instid1(VALU_DEP_1)
	v_cmp_le_i32_e64 s3, s14, v12
	s_or_b32 s21, s3, s21
	s_waitcnt lgkmcnt(0)
	v_cmp_gt_f32_e32 vcc_lo, v13, v9
	v_cndmask_b32_e32 v9, v9, v13, vcc_lo
	v_add_nc_u32_e32 v13, 1, v11
	v_cndmask_b32_e32 v8, v8, v11, vcc_lo
	s_delay_alu instid0(VALU_DEP_3) | instskip(SKIP_1) | instid1(VALU_DEP_3)
	v_cmp_gt_f32_e32 vcc_lo, v14, v9
	v_cndmask_b32_e32 v9, v9, v14, vcc_lo
	v_dual_cndmask_b32 v8, v8, v13 :: v_dual_add_nc_u32 v11, s20, v11
	s_and_not1_b32 exec_lo, exec_lo, s21
	s_cbranch_execnz .LBB201_17
; %bb.18:                               ;   in Loop: Header=BB201_15 Depth=1
	s_or_b32 exec_lo, exec_lo, s21
.LBB201_19:                             ;   in Loop: Header=BB201_15 Depth=1
	s_delay_alu instid0(SALU_CYCLE_1)
	s_or_b32 exec_lo, exec_lo, s16
	;;#ASMSTART
	v_max_f32 v10, v9, v9 quad_perm:[1,0,3,2] row_mask:0xf bank_mask:0xf bound_ctrl:1
	;;#ASMEND
	;;#ASMSTART
	v_max_f32 v11, v10, v10 quad_perm:[2,3,0,1] row_mask:0xf bank_mask:0xf bound_ctrl:1
	;;#ASMEND
	;;#ASMSTART
	v_max_f32 v10, v11, v11 row_half_mirror row_mask:0xf bank_mask:0xf bound_ctrl:1
	;;#ASMEND
	;;#ASMSTART
	v_max_f32 v11, v10, v10 row_mirror row_mask:0xf bank_mask:0xf bound_ctrl:1
	;;#ASMEND
	v_permlanex16_b32 v10, v11, s19, 0xfedcba98 op_sel:[1,1]
	s_delay_alu instid0(VALU_DEP_1) | instskip(NEXT) | instid1(VALU_DEP_1)
	v_dual_max_f32 v11, v11, v11 :: v_dual_max_f32 v10, v10, v10
	v_max_f32_e32 v10, v11, v10
	s_delay_alu instid0(VALU_DEP_1)
	v_cmp_eq_f32_e32 vcc_lo, v9, v10
	s_ctz_i32_b32 s3, vcc_lo
	s_cmp_lg_u32 vcc_lo, 0
	s_cselect_b32 s3, s3, 0
	s_and_b32 vcc_lo, exec_lo, s12
	v_readlane_b32 s16, v8, s3
	s_cbranch_vccz .LBB201_14
; %bb.20:                               ;   in Loop: Header=BB201_15 Depth=1
	s_delay_alu instid0(VALU_DEP_1) | instskip(NEXT) | instid1(SALU_CYCLE_1)
	s_ashr_i32 s17, s16, 31
	s_lshl_b64 s[20:21], s[16:17], 1
	s_delay_alu instid0(SALU_CYCLE_1) | instskip(SKIP_4) | instid1(VALU_DEP_1)
	s_add_u32 s20, s6, s20
	s_addc_u32 s21, s7, s21
	global_load_u16 v8, v6, s[20:21]
	s_waitcnt vmcnt(0)
	v_lshlrev_b32_e32 v8, 16, v8
	v_sub_f32_e32 v10, v10, v8
	s_branch .LBB201_14
.LBB201_21:
	v_mov_b32_e32 v1, 0
	v_mov_b32_e32 v3, 0
.LBB201_22:
	s_mov_b32 s2, exec_lo
	v_cmpx_gt_i32_e64 s13, v0
	s_cbranch_execz .LBB201_25
; %bb.23:
	s_clause 0x1
	s_load_b32 s2, s[0:1], 0x34
	s_load_b32 s3, s[0:1], 0x44
	v_max_f32_e32 v3, v3, v3
	s_load_b64 s[0:1], s[0:1], 0x20
	s_ashr_i32 s4, s15, 31
	s_delay_alu instid0(VALU_DEP_1) | instskip(SKIP_1) | instid1(VALU_DEP_1)
	v_max_f32_e32 v3, 0x1e3ce508, v3
	s_waitcnt lgkmcnt(0)
	v_div_scale_f32 v4, null, v3, v3, s2
	v_div_scale_f32 v7, vcc_lo, s2, v3, s2
	s_mul_i32 s1, s15, s1
	s_delay_alu instid0(VALU_DEP_2) | instskip(SKIP_4) | instid1(VALU_DEP_1)
	v_rcp_f32_e32 v5, v4
	s_mul_i32 s4, s4, s0
	s_and_b32 s3, s3, 0xffff
	s_waitcnt_depctr 0xfff
	v_fma_f32 v6, -v4, v5, 1.0
	v_fmac_f32_e32 v5, v6, v5
	s_delay_alu instid0(VALU_DEP_1) | instskip(NEXT) | instid1(VALU_DEP_1)
	v_mul_f32_e32 v6, v7, v5
	v_fma_f32 v8, -v4, v6, v7
	s_delay_alu instid0(VALU_DEP_1) | instskip(NEXT) | instid1(VALU_DEP_1)
	v_fmac_f32_e32 v6, v8, v5
	v_fma_f32 v4, -v4, v6, v7
	s_delay_alu instid0(VALU_DEP_1) | instskip(NEXT) | instid1(VALU_DEP_1)
	v_div_fmas_f32 v4, v4, v5, v6
	v_div_fixup_f32 v3, v4, v3, s2
	s_mul_hi_u32 s2, s15, s0
	s_delay_alu instid0(SALU_CYCLE_1) | instskip(SKIP_1) | instid1(VALU_DEP_1)
	s_add_i32 s1, s2, s1
	s_mul_i32 s2, s15, s0
	v_mul_f32_e32 v2, v2, v3
	s_add_i32 s1, s1, s4
	s_mov_b32 s4, 0
	.p2align	6
.LBB201_24:                             ; =>This Inner Loop Header: Depth=1
	v_ashrrev_i32_e32 v4, 31, v0
	v_add_co_u32 v3, vcc_lo, s2, v0
	v_add_nc_u32_e32 v0, s3, v0
	s_delay_alu instid0(VALU_DEP_3) | instskip(NEXT) | instid1(VALU_DEP_2)
	v_add_co_ci_u32_e32 v4, vcc_lo, s1, v4, vcc_lo
	v_cmp_le_i32_e32 vcc_lo, s13, v0
	s_delay_alu instid0(VALU_DEP_2) | instskip(SKIP_1) | instid1(VALU_DEP_1)
	v_lshlrev_b64 v[3:4], 2, v[3:4]
	s_or_b32 s4, vcc_lo, s4
	v_add_co_u32 v5, s0, s8, v3
	s_delay_alu instid0(VALU_DEP_1) | instskip(SKIP_1) | instid1(VALU_DEP_1)
	v_add_co_ci_u32_e64 v6, s0, s9, v4, s0
	v_add_co_u32 v3, s0, s10, v3
	v_add_co_ci_u32_e64 v4, s0, s11, v4, s0
	global_store_b32 v[5:6], v2, off
	global_store_b32 v[3:4], v1, off
	s_and_not1_b32 exec_lo, exec_lo, s4
	s_cbranch_execnz .LBB201_24
.LBB201_25:
	s_nop 0
	s_sendmsg sendmsg(MSG_DEALLOC_VGPRS)
	s_endpgm
	.section	.rodata,"a",@progbits
	.p2align	6, 0x0
	.amdhsa_kernel _ZN5aiter20topk_softplus_kernelI6__half12hip_bfloat16Dv2_fLb1ELi0EEEvPKT_PKT0_PfPimiiif
		.amdhsa_group_segment_fixed_size 0
		.amdhsa_private_segment_fixed_size 0
		.amdhsa_kernarg_size 312
		.amdhsa_user_sgpr_count 15
		.amdhsa_user_sgpr_dispatch_ptr 0
		.amdhsa_user_sgpr_queue_ptr 0
		.amdhsa_user_sgpr_kernarg_segment_ptr 1
		.amdhsa_user_sgpr_dispatch_id 0
		.amdhsa_user_sgpr_private_segment_size 0
		.amdhsa_wavefront_size32 1
		.amdhsa_uses_dynamic_stack 0
		.amdhsa_enable_private_segment 0
		.amdhsa_system_sgpr_workgroup_id_x 1
		.amdhsa_system_sgpr_workgroup_id_y 0
		.amdhsa_system_sgpr_workgroup_id_z 0
		.amdhsa_system_sgpr_workgroup_info 0
		.amdhsa_system_vgpr_workitem_id 0
		.amdhsa_next_free_vgpr 15
		.amdhsa_next_free_sgpr 23
		.amdhsa_reserve_vcc 1
		.amdhsa_float_round_mode_32 0
		.amdhsa_float_round_mode_16_64 0
		.amdhsa_float_denorm_mode_32 3
		.amdhsa_float_denorm_mode_16_64 3
		.amdhsa_dx10_clamp 1
		.amdhsa_ieee_mode 1
		.amdhsa_fp16_overflow 0
		.amdhsa_workgroup_processor_mode 1
		.amdhsa_memory_ordered 1
		.amdhsa_forward_progress 0
		.amdhsa_shared_vgpr_count 0
		.amdhsa_exception_fp_ieee_invalid_op 0
		.amdhsa_exception_fp_denorm_src 0
		.amdhsa_exception_fp_ieee_div_zero 0
		.amdhsa_exception_fp_ieee_overflow 0
		.amdhsa_exception_fp_ieee_underflow 0
		.amdhsa_exception_fp_ieee_inexact 0
		.amdhsa_exception_int_div_zero 0
	.end_amdhsa_kernel
	.section	.text._ZN5aiter20topk_softplus_kernelI6__half12hip_bfloat16Dv2_fLb1ELi0EEEvPKT_PKT0_PfPimiiif,"axG",@progbits,_ZN5aiter20topk_softplus_kernelI6__half12hip_bfloat16Dv2_fLb1ELi0EEEvPKT_PKT0_PfPimiiif,comdat
.Lfunc_end201:
	.size	_ZN5aiter20topk_softplus_kernelI6__half12hip_bfloat16Dv2_fLb1ELi0EEEvPKT_PKT0_PfPimiiif, .Lfunc_end201-_ZN5aiter20topk_softplus_kernelI6__half12hip_bfloat16Dv2_fLb1ELi0EEEvPKT_PKT0_PfPimiiif
                                        ; -- End function
	.section	.AMDGPU.csdata,"",@progbits
; Kernel info:
; codeLenInByte = 2280
; NumSgprs: 25
; NumVgprs: 15
; ScratchSize: 0
; MemoryBound: 0
; FloatMode: 240
; IeeeMode: 1
; LDSByteSize: 0 bytes/workgroup (compile time only)
; SGPRBlocks: 3
; VGPRBlocks: 1
; NumSGPRsForWavesPerEU: 25
; NumVGPRsForWavesPerEU: 15
; Occupancy: 16
; WaveLimiterHint : 0
; COMPUTE_PGM_RSRC2:SCRATCH_EN: 0
; COMPUTE_PGM_RSRC2:USER_SGPR: 15
; COMPUTE_PGM_RSRC2:TRAP_HANDLER: 0
; COMPUTE_PGM_RSRC2:TGID_X_EN: 1
; COMPUTE_PGM_RSRC2:TGID_Y_EN: 0
; COMPUTE_PGM_RSRC2:TGID_Z_EN: 0
; COMPUTE_PGM_RSRC2:TIDIG_COMP_CNT: 0
	.section	.text._ZN5aiter20topk_softplus_kernelI6__half12hip_bfloat16Dv2_fLb0ELi0EEEvPKT_PKT0_PfPimiiif,"axG",@progbits,_ZN5aiter20topk_softplus_kernelI6__half12hip_bfloat16Dv2_fLb0ELi0EEEvPKT_PKT0_PfPimiiif,comdat
	.protected	_ZN5aiter20topk_softplus_kernelI6__half12hip_bfloat16Dv2_fLb0ELi0EEEvPKT_PKT0_PfPimiiif ; -- Begin function _ZN5aiter20topk_softplus_kernelI6__half12hip_bfloat16Dv2_fLb0ELi0EEEvPKT_PKT0_PfPimiiif
	.globl	_ZN5aiter20topk_softplus_kernelI6__half12hip_bfloat16Dv2_fLb0ELi0EEEvPKT_PKT0_PfPimiiif
	.p2align	8
	.type	_ZN5aiter20topk_softplus_kernelI6__half12hip_bfloat16Dv2_fLb0ELi0EEEvPKT_PKT0_PfPimiiif,@function
_ZN5aiter20topk_softplus_kernelI6__half12hip_bfloat16Dv2_fLb0ELi0EEEvPKT_PKT0_PfPimiiif: ; @_ZN5aiter20topk_softplus_kernelI6__half12hip_bfloat16Dv2_fLb0ELi0EEEvPKT_PKT0_PfPimiiif
; %bb.0:
	s_clause 0x1
	s_load_b64 s[12:13], s[0:1], 0x28
	s_load_b256 s[4:11], s[0:1], 0x0
	v_lshl_add_u32 v4, v0, 3, 0
	s_waitcnt lgkmcnt(0)
	s_lshr_b32 s3, s12, 31
	s_mul_i32 s2, s15, s12
	s_add_i32 s14, s12, s3
	s_ashr_i32 s3, s2, 31
	s_ashr_i32 s14, s14, 1
	s_lshl_b64 s[16:17], s[2:3], 1
	v_cmp_gt_i32_e64 s2, s14, v0
	s_add_u32 s4, s4, s16
	s_addc_u32 s5, s5, s17
	s_delay_alu instid0(VALU_DEP_1)
	s_and_saveexec_b32 s16, s2
	s_cbranch_execz .LBB202_7
; %bb.1:
	s_load_b32 s3, s[0:1], 0x44
	s_cmp_lg_u64 s[6:7], 0
	v_lshlrev_b32_e32 v3, 2, v0
	v_mov_b32_e32 v5, 0
	v_lshl_add_u32 v6, v0, 3, 0
	v_mov_b32_e32 v7, v0
	s_cselect_b32 s18, -1, 0
	s_mov_b32 s17, 0
	s_mov_b32 s22, 0x3fb8aa3b
	s_waitcnt lgkmcnt(0)
	s_and_b32 s19, s3, 0xffff
	s_delay_alu instid0(SALU_CYCLE_1)
	s_lshl_b32 s20, s19, 2
	s_lshl_b32 s21, s19, 3
	s_branch .LBB202_3
.LBB202_2:                              ;   in Loop: Header=BB202_3 Depth=1
	v_add_nc_u32_e32 v7, s19, v7
	v_add_co_u32 v3, s3, v3, s20
	ds_store_b64 v6, v[1:2]
	v_add_co_ci_u32_e64 v5, s3, 0, v5, s3
	v_cmp_le_i32_e32 vcc_lo, s14, v7
	v_add_nc_u32_e32 v6, s21, v6
	s_or_b32 s17, vcc_lo, s17
	s_delay_alu instid0(SALU_CYCLE_1)
	s_and_not1_b32 exec_lo, exec_lo, s17
	s_cbranch_execz .LBB202_7
.LBB202_3:                              ; =>This Inner Loop Header: Depth=1
	v_add_co_u32 v1, vcc_lo, s4, v3
	v_add_co_ci_u32_e32 v2, vcc_lo, s5, v5, vcc_lo
	global_load_b32 v2, v[1:2], off
	s_waitcnt vmcnt(0)
	v_cvt_f32_f16_e32 v1, v2
	s_delay_alu instid0(VALU_DEP_1) | instskip(NEXT) | instid1(VALU_DEP_1)
	v_mul_f32_e32 v8, 0x3fb8aa3b, v1
	v_cmp_gt_f32_e32 vcc_lo, 0xc2fc0000, v8
	v_cndmask_b32_e64 v8, 0, 0x42800000, vcc_lo
	v_cndmask_b32_e64 v9, 1.0, 0x1f800000, vcc_lo
	s_delay_alu instid0(VALU_DEP_2) | instskip(NEXT) | instid1(VALU_DEP_1)
	v_fma_mix_f32 v8, v2, s22, v8 op_sel_hi:[1,0,0]
	v_exp_f32_e32 v8, v8
	s_waitcnt_depctr 0xfff
	v_fma_f32 v8, v8, v9, 1.0
	s_delay_alu instid0(VALU_DEP_1) | instskip(SKIP_1) | instid1(VALU_DEP_1)
	v_cmp_gt_f32_e32 vcc_lo, 0x800000, v8
	v_cndmask_b32_e64 v9, 1.0, 0x4f800000, vcc_lo
	v_mul_f32_e32 v8, v8, v9
	v_cndmask_b32_e64 v9, 0, 0x42000000, vcc_lo
	v_cmp_lt_f16_e32 vcc_lo, 0x4d00, v2
	s_delay_alu instid0(VALU_DEP_3) | instskip(SKIP_2) | instid1(VALU_DEP_1)
	v_log_f32_e32 v8, v8
	s_waitcnt_depctr 0xfff
	v_sub_f32_e32 v8, v8, v9
	v_mul_f32_e32 v8, 0x3f317218, v8
	s_delay_alu instid0(VALU_DEP_1) | instskip(NEXT) | instid1(VALU_DEP_1)
	v_cndmask_b32_e32 v1, v8, v1, vcc_lo
	v_mul_f32_e32 v8, 0x4f800000, v1
	v_cmp_gt_f32_e32 vcc_lo, 0xf800000, v1
	s_delay_alu instid0(VALU_DEP_2) | instskip(NEXT) | instid1(VALU_DEP_1)
	v_cndmask_b32_e32 v1, v1, v8, vcc_lo
	v_sqrt_f32_e32 v8, v1
	s_waitcnt_depctr 0xfff
	v_add_nc_u32_e32 v9, -1, v8
	v_add_nc_u32_e32 v10, 1, v8
	s_delay_alu instid0(VALU_DEP_2) | instskip(NEXT) | instid1(VALU_DEP_2)
	v_fma_f32 v11, -v9, v8, v1
	v_fma_f32 v12, -v10, v8, v1
	s_delay_alu instid0(VALU_DEP_2) | instskip(NEXT) | instid1(VALU_DEP_1)
	v_cmp_ge_f32_e64 s3, 0, v11
	v_cndmask_b32_e64 v8, v8, v9, s3
	s_delay_alu instid0(VALU_DEP_3) | instskip(NEXT) | instid1(VALU_DEP_1)
	v_cmp_lt_f32_e64 s3, 0, v12
	v_cndmask_b32_e64 v8, v8, v10, s3
	s_delay_alu instid0(VALU_DEP_1) | instskip(NEXT) | instid1(VALU_DEP_1)
	v_mul_f32_e32 v9, 0x37800000, v8
	v_cndmask_b32_e32 v8, v8, v9, vcc_lo
	v_cmp_class_f32_e64 vcc_lo, v1, 0x260
	s_delay_alu instid0(VALU_DEP_2)
	v_cndmask_b32_e32 v1, v8, v1, vcc_lo
	s_and_not1_b32 vcc_lo, exec_lo, s18
	s_cbranch_vccnz .LBB202_5
; %bb.4:                                ;   in Loop: Header=BB202_3 Depth=1
	v_add_co_u32 v8, vcc_lo, s6, v3
	v_add_co_ci_u32_e32 v9, vcc_lo, s7, v5, vcc_lo
	global_load_u16 v8, v[8:9], off
	s_waitcnt vmcnt(0)
	v_lshlrev_b32_e32 v8, 16, v8
	s_delay_alu instid0(VALU_DEP_1)
	v_add_f32_e32 v1, v1, v8
.LBB202_5:                              ;   in Loop: Header=BB202_3 Depth=1
	v_lshrrev_b32_e32 v8, 16, v2
	s_delay_alu instid0(VALU_DEP_1) | instskip(NEXT) | instid1(VALU_DEP_1)
	v_cvt_f32_f16_e32 v9, v8
	v_mul_f32_e32 v10, 0x3fb8aa3b, v9
	s_delay_alu instid0(VALU_DEP_1) | instskip(SKIP_2) | instid1(VALU_DEP_2)
	v_cmp_gt_f32_e32 vcc_lo, 0xc2fc0000, v10
	v_cndmask_b32_e64 v11, 0, 0x42800000, vcc_lo
	v_cndmask_b32_e64 v10, 1.0, 0x1f800000, vcc_lo
	v_fma_mix_f32 v2, v2, s22, v11 op_sel:[1,0,0] op_sel_hi:[1,0,0]
	s_delay_alu instid0(VALU_DEP_1) | instskip(SKIP_2) | instid1(VALU_DEP_1)
	v_exp_f32_e32 v2, v2
	s_waitcnt_depctr 0xfff
	v_fma_f32 v2, v2, v10, 1.0
	v_cmp_gt_f32_e32 vcc_lo, 0x800000, v2
	v_cndmask_b32_e64 v10, 1.0, 0x4f800000, vcc_lo
	s_delay_alu instid0(VALU_DEP_1) | instskip(SKIP_2) | instid1(VALU_DEP_3)
	v_mul_f32_e32 v2, v2, v10
	v_cndmask_b32_e64 v10, 0, 0x42000000, vcc_lo
	v_cmp_lt_f16_e32 vcc_lo, 0x4d00, v8
	v_log_f32_e32 v2, v2
	s_waitcnt_depctr 0xfff
	v_sub_f32_e32 v2, v2, v10
	s_delay_alu instid0(VALU_DEP_1) | instskip(NEXT) | instid1(VALU_DEP_1)
	v_mul_f32_e32 v2, 0x3f317218, v2
	v_cndmask_b32_e32 v2, v2, v9, vcc_lo
	s_delay_alu instid0(VALU_DEP_1) | instskip(SKIP_1) | instid1(VALU_DEP_2)
	v_mul_f32_e32 v8, 0x4f800000, v2
	v_cmp_gt_f32_e32 vcc_lo, 0xf800000, v2
	v_cndmask_b32_e32 v2, v2, v8, vcc_lo
	s_delay_alu instid0(VALU_DEP_1) | instskip(SKIP_3) | instid1(VALU_DEP_2)
	v_sqrt_f32_e32 v8, v2
	s_waitcnt_depctr 0xfff
	v_add_nc_u32_e32 v9, -1, v8
	v_add_nc_u32_e32 v10, 1, v8
	v_fma_f32 v11, -v9, v8, v2
	s_delay_alu instid0(VALU_DEP_2) | instskip(NEXT) | instid1(VALU_DEP_2)
	v_fma_f32 v12, -v10, v8, v2
	v_cmp_ge_f32_e64 s3, 0, v11
	s_delay_alu instid0(VALU_DEP_1) | instskip(NEXT) | instid1(VALU_DEP_3)
	v_cndmask_b32_e64 v8, v8, v9, s3
	v_cmp_lt_f32_e64 s3, 0, v12
	s_delay_alu instid0(VALU_DEP_1) | instskip(NEXT) | instid1(VALU_DEP_1)
	v_cndmask_b32_e64 v8, v8, v10, s3
	v_mul_f32_e32 v9, 0x37800000, v8
	s_delay_alu instid0(VALU_DEP_1) | instskip(SKIP_1) | instid1(VALU_DEP_2)
	v_cndmask_b32_e32 v8, v8, v9, vcc_lo
	v_cmp_class_f32_e64 vcc_lo, v2, 0x260
	v_cndmask_b32_e32 v2, v8, v2, vcc_lo
	s_and_not1_b32 vcc_lo, exec_lo, s18
	s_cbranch_vccnz .LBB202_2
; %bb.6:                                ;   in Loop: Header=BB202_3 Depth=1
	v_add_co_u32 v8, vcc_lo, s6, v3
	v_add_co_ci_u32_e32 v9, vcc_lo, s7, v5, vcc_lo
	global_load_u16 v8, v[8:9], off offset:2
	s_waitcnt vmcnt(0)
	v_lshlrev_b32_e32 v8, 16, v8
	s_delay_alu instid0(VALU_DEP_1)
	v_add_f32_e32 v2, v2, v8
	s_branch .LBB202_2
.LBB202_7:
	s_or_b32 exec_lo, exec_lo, s16
	v_lshl_add_u32 v1, s14, 1, v0
	s_mov_b32 s16, exec_lo
	s_delay_alu instid0(VALU_DEP_1)
	v_cmpx_gt_i32_e64 s12, v1
	s_cbranch_execz .LBB202_12
; %bb.8:
	s_load_b32 s3, s[0:1], 0x44
	v_lshlrev_b32_e32 v2, 2, v0
	s_cmp_lg_u64 s[6:7], 0
	s_mov_b32 s19, 0
	s_cselect_b32 s17, -1, 0
	s_lshl_b32 s18, s14, 3
	s_mov_b32 s21, 0x3fb8aa3b
	v_add3_u32 v5, 0, s18, v2
	s_waitcnt lgkmcnt(0)
	s_and_b32 s18, s3, 0xffff
	s_delay_alu instid0(SALU_CYCLE_1)
	s_lshl_b32 s20, s18, 2
	s_branch .LBB202_10
.LBB202_9:                              ;   in Loop: Header=BB202_10 Depth=1
	v_add_nc_u32_e32 v1, s18, v1
	v_add_nc_u32_e32 v5, s20, v5
	s_delay_alu instid0(VALU_DEP_2) | instskip(SKIP_1) | instid1(SALU_CYCLE_1)
	v_cmp_le_i32_e32 vcc_lo, s12, v1
	s_or_b32 s19, vcc_lo, s19
	s_and_not1_b32 exec_lo, exec_lo, s19
	s_cbranch_execz .LBB202_12
.LBB202_10:                             ; =>This Inner Loop Header: Depth=1
	v_ashrrev_i32_e32 v2, 31, v1
	s_delay_alu instid0(VALU_DEP_1) | instskip(NEXT) | instid1(VALU_DEP_1)
	v_lshlrev_b64 v[2:3], 1, v[1:2]
	v_add_co_u32 v6, vcc_lo, s4, v2
	s_delay_alu instid0(VALU_DEP_2) | instskip(SKIP_3) | instid1(VALU_DEP_1)
	v_add_co_ci_u32_e32 v7, vcc_lo, s5, v3, vcc_lo
	global_load_u16 v6, v[6:7], off
	s_waitcnt vmcnt(0)
	v_cvt_f32_f16_e32 v7, v6
	v_mul_f32_e32 v8, 0x3fb8aa3b, v7
	s_delay_alu instid0(VALU_DEP_1) | instskip(SKIP_2) | instid1(VALU_DEP_2)
	v_cmp_gt_f32_e32 vcc_lo, 0xc2fc0000, v8
	v_cndmask_b32_e64 v8, 0, 0x42800000, vcc_lo
	v_cndmask_b32_e64 v9, 1.0, 0x1f800000, vcc_lo
	v_fma_mix_f32 v8, v6, s21, v8 op_sel_hi:[1,0,0]
	s_delay_alu instid0(VALU_DEP_1) | instskip(SKIP_2) | instid1(VALU_DEP_1)
	v_exp_f32_e32 v8, v8
	s_waitcnt_depctr 0xfff
	v_fma_f32 v8, v8, v9, 1.0
	v_cmp_gt_f32_e32 vcc_lo, 0x800000, v8
	v_cndmask_b32_e64 v9, 1.0, 0x4f800000, vcc_lo
	s_delay_alu instid0(VALU_DEP_1) | instskip(SKIP_2) | instid1(VALU_DEP_3)
	v_mul_f32_e32 v8, v8, v9
	v_cndmask_b32_e64 v9, 0, 0x42000000, vcc_lo
	v_cmp_lt_f16_e32 vcc_lo, 0x4d00, v6
	v_log_f32_e32 v8, v8
	s_waitcnt_depctr 0xfff
	v_sub_f32_e32 v8, v8, v9
	s_delay_alu instid0(VALU_DEP_1) | instskip(NEXT) | instid1(VALU_DEP_1)
	v_mul_f32_e32 v8, 0x3f317218, v8
	v_cndmask_b32_e32 v6, v8, v7, vcc_lo
	s_delay_alu instid0(VALU_DEP_1) | instskip(SKIP_1) | instid1(VALU_DEP_2)
	v_mul_f32_e32 v7, 0x4f800000, v6
	v_cmp_gt_f32_e32 vcc_lo, 0xf800000, v6
	v_cndmask_b32_e32 v6, v6, v7, vcc_lo
	s_delay_alu instid0(VALU_DEP_1) | instskip(SKIP_3) | instid1(VALU_DEP_2)
	v_sqrt_f32_e32 v7, v6
	s_waitcnt_depctr 0xfff
	v_add_nc_u32_e32 v8, -1, v7
	v_add_nc_u32_e32 v9, 1, v7
	v_fma_f32 v10, -v8, v7, v6
	s_delay_alu instid0(VALU_DEP_2) | instskip(NEXT) | instid1(VALU_DEP_2)
	v_fma_f32 v11, -v9, v7, v6
	v_cmp_ge_f32_e64 s3, 0, v10
	s_delay_alu instid0(VALU_DEP_1) | instskip(NEXT) | instid1(VALU_DEP_3)
	v_cndmask_b32_e64 v7, v7, v8, s3
	v_cmp_lt_f32_e64 s3, 0, v11
	s_delay_alu instid0(VALU_DEP_1) | instskip(NEXT) | instid1(VALU_DEP_1)
	v_cndmask_b32_e64 v7, v7, v9, s3
	v_mul_f32_e32 v8, 0x37800000, v7
	s_delay_alu instid0(VALU_DEP_1) | instskip(SKIP_1) | instid1(VALU_DEP_2)
	v_cndmask_b32_e32 v7, v7, v8, vcc_lo
	v_cmp_class_f32_e64 vcc_lo, v6, 0x260
	v_cndmask_b32_e32 v6, v7, v6, vcc_lo
	s_and_not1_b32 vcc_lo, exec_lo, s17
	ds_store_b32 v5, v6
	s_cbranch_vccnz .LBB202_9
; %bb.11:                               ;   in Loop: Header=BB202_10 Depth=1
	v_add_co_u32 v2, vcc_lo, s6, v2
	v_add_co_ci_u32_e32 v3, vcc_lo, s7, v3, vcc_lo
	global_load_u16 v2, v[2:3], off
	s_waitcnt vmcnt(0)
	v_lshlrev_b32_e32 v2, 16, v2
	s_delay_alu instid0(VALU_DEP_1)
	v_add_f32_e32 v2, v6, v2
	ds_store_b32 v5, v2
	s_branch .LBB202_9
.LBB202_12:
	s_or_b32 exec_lo, exec_lo, s16
	s_cmp_lt_i32 s13, 1
	s_waitcnt lgkmcnt(0)
	s_barrier
	buffer_gl0_inv
	s_cbranch_scc1 .LBB202_21
; %bb.13:
	s_add_u32 s4, s0, 56
	s_addc_u32 s5, s1, 0
	v_dual_mov_b32 v6, 0xff800000 :: v_dual_lshlrev_b32 v3, 1, v0
	v_dual_mov_b32 v5, 0 :: v_dual_mov_b32 v2, 0
	v_mov_b32_e32 v1, 0
	s_cmp_lg_u64 s[6:7], 0
	s_mov_b32 s18, 0
	s_cselect_b32 s12, -1, 0
	s_mov_b32 s19, 0x76543210
	s_branch .LBB202_15
.LBB202_14:                             ;   in Loop: Header=BB202_15 Depth=1
	v_cmp_eq_u32_e32 vcc_lo, s18, v0
	s_delay_alu instid0(VALU_DEP_2)
	s_lshl_b32 s3, s16, 2
	s_add_i32 s18, s18, 1
	s_add_i32 s3, s3, 0
	s_cmp_eq_u32 s18, s13
	v_cndmask_b32_e64 v1, v1, s16, vcc_lo
	v_dual_mov_b32 v7, s3 :: v_dual_cndmask_b32 v2, v2, v9
	ds_store_b32 v7, v6
	s_cbranch_scc1 .LBB202_22
.LBB202_15:                             ; =>This Loop Header: Depth=1
                                        ;     Child Loop BB202_17 Depth 2
	v_dual_mov_b32 v7, s18 :: v_dual_mov_b32 v8, 0xff800000
	s_and_saveexec_b32 s16, s2
	s_cbranch_execz .LBB202_19
; %bb.16:                               ;   in Loop: Header=BB202_15 Depth=1
	s_load_b32 s3, s[4:5], 0xc
	v_dual_mov_b32 v7, s18 :: v_dual_mov_b32 v8, 0xff800000
	v_dual_mov_b32 v9, v4 :: v_dual_mov_b32 v10, v3
	v_mov_b32_e32 v11, v0
	s_mov_b32 s21, 0
	s_waitcnt lgkmcnt(0)
	s_and_b32 s17, s3, 0xffff
	s_delay_alu instid0(SALU_CYCLE_1)
	s_lshl_b32 s20, s17, 1
	s_lshl_b32 s22, s17, 3
	.p2align	6
.LBB202_17:                             ;   Parent Loop BB202_15 Depth=1
                                        ; =>  This Inner Loop Header: Depth=2
	ds_load_b64 v[12:13], v9
	v_add_nc_u32_e32 v9, s22, v9
	v_add_nc_u32_e32 v11, s17, v11
	s_delay_alu instid0(VALU_DEP_1) | instskip(NEXT) | instid1(VALU_DEP_1)
	v_cmp_le_i32_e64 s3, s14, v11
	s_or_b32 s21, s3, s21
	s_waitcnt lgkmcnt(0)
	v_cmp_gt_f32_e32 vcc_lo, v12, v8
	v_cndmask_b32_e32 v8, v8, v12, vcc_lo
	v_add_nc_u32_e32 v12, 1, v10
	v_cndmask_b32_e32 v7, v7, v10, vcc_lo
	s_delay_alu instid0(VALU_DEP_3) | instskip(SKIP_1) | instid1(VALU_DEP_3)
	v_cmp_gt_f32_e32 vcc_lo, v13, v8
	v_cndmask_b32_e32 v8, v8, v13, vcc_lo
	v_dual_cndmask_b32 v7, v7, v12 :: v_dual_add_nc_u32 v10, s20, v10
	s_and_not1_b32 exec_lo, exec_lo, s21
	s_cbranch_execnz .LBB202_17
; %bb.18:                               ;   in Loop: Header=BB202_15 Depth=1
	s_or_b32 exec_lo, exec_lo, s21
.LBB202_19:                             ;   in Loop: Header=BB202_15 Depth=1
	s_delay_alu instid0(SALU_CYCLE_1)
	s_or_b32 exec_lo, exec_lo, s16
	;;#ASMSTART
	v_max_f32 v9, v8, v8 quad_perm:[1,0,3,2] row_mask:0xf bank_mask:0xf bound_ctrl:1
	;;#ASMEND
	;;#ASMSTART
	v_max_f32 v10, v9, v9 quad_perm:[2,3,0,1] row_mask:0xf bank_mask:0xf bound_ctrl:1
	;;#ASMEND
	;;#ASMSTART
	v_max_f32 v9, v10, v10 row_half_mirror row_mask:0xf bank_mask:0xf bound_ctrl:1
	;;#ASMEND
	;;#ASMSTART
	v_max_f32 v10, v9, v9 row_mirror row_mask:0xf bank_mask:0xf bound_ctrl:1
	;;#ASMEND
	v_permlanex16_b32 v9, v10, s19, 0xfedcba98 op_sel:[1,1]
	s_delay_alu instid0(VALU_DEP_1) | instskip(NEXT) | instid1(VALU_DEP_1)
	v_dual_max_f32 v10, v10, v10 :: v_dual_max_f32 v9, v9, v9
	v_max_f32_e32 v9, v10, v9
	s_delay_alu instid0(VALU_DEP_1)
	v_cmp_eq_f32_e32 vcc_lo, v8, v9
	s_ctz_i32_b32 s3, vcc_lo
	s_cmp_lg_u32 vcc_lo, 0
	s_cselect_b32 s3, s3, 0
	s_and_b32 vcc_lo, exec_lo, s12
	v_readlane_b32 s16, v7, s3
	s_cbranch_vccz .LBB202_14
; %bb.20:                               ;   in Loop: Header=BB202_15 Depth=1
	s_delay_alu instid0(VALU_DEP_1) | instskip(NEXT) | instid1(SALU_CYCLE_1)
	s_ashr_i32 s17, s16, 31
	s_lshl_b64 s[20:21], s[16:17], 1
	s_delay_alu instid0(SALU_CYCLE_1) | instskip(SKIP_4) | instid1(VALU_DEP_1)
	s_add_u32 s20, s6, s20
	s_addc_u32 s21, s7, s21
	global_load_u16 v7, v5, s[20:21]
	s_waitcnt vmcnt(0)
	v_lshlrev_b32_e32 v7, 16, v7
	v_sub_f32_e32 v9, v9, v7
	s_branch .LBB202_14
.LBB202_21:
	v_dual_mov_b32 v2, 0 :: v_dual_mov_b32 v1, 0
.LBB202_22:
	s_mov_b32 s2, exec_lo
	v_cmpx_gt_i32_e64 s13, v0
	s_cbranch_execz .LBB202_25
; %bb.23:
	s_clause 0x2
	s_load_b32 s4, s[0:1], 0x34
	s_load_b64 s[2:3], s[0:1], 0x20
	s_load_b32 s0, s[0:1], 0x44
	s_ashr_i32 s1, s15, 31
	s_waitcnt lgkmcnt(0)
	v_mul_f32_e32 v2, s4, v2
	s_mul_i32 s3, s15, s3
	s_mul_hi_u32 s4, s15, s2
	s_mul_i32 s5, s1, s2
	s_add_i32 s3, s4, s3
	s_mul_i32 s1, s15, s2
	s_and_b32 s2, s0, 0xffff
	s_add_i32 s3, s3, s5
	s_mov_b32 s4, 0
	.p2align	6
.LBB202_24:                             ; =>This Inner Loop Header: Depth=1
	v_ashrrev_i32_e32 v4, 31, v0
	v_add_co_u32 v3, vcc_lo, s1, v0
	v_add_nc_u32_e32 v0, s2, v0
	s_delay_alu instid0(VALU_DEP_3) | instskip(NEXT) | instid1(VALU_DEP_2)
	v_add_co_ci_u32_e32 v4, vcc_lo, s3, v4, vcc_lo
	v_cmp_le_i32_e32 vcc_lo, s13, v0
	s_delay_alu instid0(VALU_DEP_2) | instskip(SKIP_1) | instid1(VALU_DEP_1)
	v_lshlrev_b64 v[3:4], 2, v[3:4]
	s_or_b32 s4, vcc_lo, s4
	v_add_co_u32 v5, s0, s8, v3
	s_delay_alu instid0(VALU_DEP_1) | instskip(SKIP_1) | instid1(VALU_DEP_1)
	v_add_co_ci_u32_e64 v6, s0, s9, v4, s0
	v_add_co_u32 v3, s0, s10, v3
	v_add_co_ci_u32_e64 v4, s0, s11, v4, s0
	global_store_b32 v[5:6], v2, off
	global_store_b32 v[3:4], v1, off
	s_and_not1_b32 exec_lo, exec_lo, s4
	s_cbranch_execnz .LBB202_24
.LBB202_25:
	s_nop 0
	s_sendmsg sendmsg(MSG_DEALLOC_VGPRS)
	s_endpgm
	.section	.rodata,"a",@progbits
	.p2align	6, 0x0
	.amdhsa_kernel _ZN5aiter20topk_softplus_kernelI6__half12hip_bfloat16Dv2_fLb0ELi0EEEvPKT_PKT0_PfPimiiif
		.amdhsa_group_segment_fixed_size 0
		.amdhsa_private_segment_fixed_size 0
		.amdhsa_kernarg_size 312
		.amdhsa_user_sgpr_count 15
		.amdhsa_user_sgpr_dispatch_ptr 0
		.amdhsa_user_sgpr_queue_ptr 0
		.amdhsa_user_sgpr_kernarg_segment_ptr 1
		.amdhsa_user_sgpr_dispatch_id 0
		.amdhsa_user_sgpr_private_segment_size 0
		.amdhsa_wavefront_size32 1
		.amdhsa_uses_dynamic_stack 0
		.amdhsa_enable_private_segment 0
		.amdhsa_system_sgpr_workgroup_id_x 1
		.amdhsa_system_sgpr_workgroup_id_y 0
		.amdhsa_system_sgpr_workgroup_id_z 0
		.amdhsa_system_sgpr_workgroup_info 0
		.amdhsa_system_vgpr_workitem_id 0
		.amdhsa_next_free_vgpr 14
		.amdhsa_next_free_sgpr 23
		.amdhsa_reserve_vcc 1
		.amdhsa_float_round_mode_32 0
		.amdhsa_float_round_mode_16_64 0
		.amdhsa_float_denorm_mode_32 3
		.amdhsa_float_denorm_mode_16_64 3
		.amdhsa_dx10_clamp 1
		.amdhsa_ieee_mode 1
		.amdhsa_fp16_overflow 0
		.amdhsa_workgroup_processor_mode 1
		.amdhsa_memory_ordered 1
		.amdhsa_forward_progress 0
		.amdhsa_shared_vgpr_count 0
		.amdhsa_exception_fp_ieee_invalid_op 0
		.amdhsa_exception_fp_denorm_src 0
		.amdhsa_exception_fp_ieee_div_zero 0
		.amdhsa_exception_fp_ieee_overflow 0
		.amdhsa_exception_fp_ieee_underflow 0
		.amdhsa_exception_fp_ieee_inexact 0
		.amdhsa_exception_int_div_zero 0
	.end_amdhsa_kernel
	.section	.text._ZN5aiter20topk_softplus_kernelI6__half12hip_bfloat16Dv2_fLb0ELi0EEEvPKT_PKT0_PfPimiiif,"axG",@progbits,_ZN5aiter20topk_softplus_kernelI6__half12hip_bfloat16Dv2_fLb0ELi0EEEvPKT_PKT0_PfPimiiif,comdat
.Lfunc_end202:
	.size	_ZN5aiter20topk_softplus_kernelI6__half12hip_bfloat16Dv2_fLb0ELi0EEEvPKT_PKT0_PfPimiiif, .Lfunc_end202-_ZN5aiter20topk_softplus_kernelI6__half12hip_bfloat16Dv2_fLb0ELi0EEEvPKT_PKT0_PfPimiiif
                                        ; -- End function
	.section	.AMDGPU.csdata,"",@progbits
; Kernel info:
; codeLenInByte = 2156
; NumSgprs: 25
; NumVgprs: 14
; ScratchSize: 0
; MemoryBound: 0
; FloatMode: 240
; IeeeMode: 1
; LDSByteSize: 0 bytes/workgroup (compile time only)
; SGPRBlocks: 3
; VGPRBlocks: 1
; NumSGPRsForWavesPerEU: 25
; NumVGPRsForWavesPerEU: 14
; Occupancy: 16
; WaveLimiterHint : 0
; COMPUTE_PGM_RSRC2:SCRATCH_EN: 0
; COMPUTE_PGM_RSRC2:USER_SGPR: 15
; COMPUTE_PGM_RSRC2:TRAP_HANDLER: 0
; COMPUTE_PGM_RSRC2:TGID_X_EN: 1
; COMPUTE_PGM_RSRC2:TGID_Y_EN: 0
; COMPUTE_PGM_RSRC2:TGID_Z_EN: 0
; COMPUTE_PGM_RSRC2:TIDIG_COMP_CNT: 0
	.section	.text._ZN5aiter20topk_softplus_kernelI6__half12hip_bfloat16Dv1_fLb1ELi0EEEvPKT_PKT0_PfPimiiif,"axG",@progbits,_ZN5aiter20topk_softplus_kernelI6__half12hip_bfloat16Dv1_fLb1ELi0EEEvPKT_PKT0_PfPimiiif,comdat
	.protected	_ZN5aiter20topk_softplus_kernelI6__half12hip_bfloat16Dv1_fLb1ELi0EEEvPKT_PKT0_PfPimiiif ; -- Begin function _ZN5aiter20topk_softplus_kernelI6__half12hip_bfloat16Dv1_fLb1ELi0EEEvPKT_PKT0_PfPimiiif
	.globl	_ZN5aiter20topk_softplus_kernelI6__half12hip_bfloat16Dv1_fLb1ELi0EEEvPKT_PKT0_PfPimiiif
	.p2align	8
	.type	_ZN5aiter20topk_softplus_kernelI6__half12hip_bfloat16Dv1_fLb1ELi0EEEvPKT_PKT0_PfPimiiif,@function
_ZN5aiter20topk_softplus_kernelI6__half12hip_bfloat16Dv1_fLb1ELi0EEEvPKT_PKT0_PfPimiiif: ; @_ZN5aiter20topk_softplus_kernelI6__half12hip_bfloat16Dv1_fLb1ELi0EEEvPKT_PKT0_PfPimiiif
; %bb.0:
	s_clause 0x1
	s_load_b64 s[12:13], s[0:1], 0x28
	s_load_b256 s[4:11], s[0:1], 0x0
	v_lshl_add_u32 v4, v0, 2, 0
	s_waitcnt lgkmcnt(0)
	s_mul_i32 s16, s15, s12
	v_cmp_gt_i32_e64 s2, s12, v0
	s_ashr_i32 s17, s16, 31
	s_delay_alu instid0(SALU_CYCLE_1) | instskip(NEXT) | instid1(SALU_CYCLE_1)
	s_lshl_b64 s[16:17], s[16:17], 1
	s_add_u32 s4, s4, s16
	s_addc_u32 s5, s5, s17
	s_and_saveexec_b32 s14, s2
	s_cbranch_execz .LBB203_5
; %bb.1:
	s_load_b32 s3, s[0:1], 0x44
	s_cmp_lg_u64 s[6:7], 0
	v_lshl_add_u32 v5, v0, 2, 0
	v_mov_b32_e32 v1, v0
	s_cselect_b32 s16, -1, 0
	s_mov_b32 s18, 0
	s_mov_b32 s20, 0x3fb8aa3b
	s_waitcnt lgkmcnt(0)
	s_and_b32 s17, s3, 0xffff
	s_delay_alu instid0(SALU_CYCLE_1)
	s_lshl_b32 s19, s17, 2
	s_branch .LBB203_3
.LBB203_2:                              ;   in Loop: Header=BB203_3 Depth=1
	v_add_nc_u32_e32 v1, s17, v1
	ds_store_b32 v5, v6
	v_add_nc_u32_e32 v5, s19, v5
	v_cmp_le_i32_e32 vcc_lo, s12, v1
	s_or_b32 s18, vcc_lo, s18
	s_delay_alu instid0(SALU_CYCLE_1)
	s_and_not1_b32 exec_lo, exec_lo, s18
	s_cbranch_execz .LBB203_5
.LBB203_3:                              ; =>This Inner Loop Header: Depth=1
	v_ashrrev_i32_e32 v2, 31, v1
	s_delay_alu instid0(VALU_DEP_1) | instskip(NEXT) | instid1(VALU_DEP_1)
	v_lshlrev_b64 v[2:3], 1, v[1:2]
	v_add_co_u32 v6, vcc_lo, s4, v2
	s_delay_alu instid0(VALU_DEP_2) | instskip(SKIP_3) | instid1(VALU_DEP_1)
	v_add_co_ci_u32_e32 v7, vcc_lo, s5, v3, vcc_lo
	global_load_u16 v6, v[6:7], off
	s_waitcnt vmcnt(0)
	v_cvt_f32_f16_e32 v7, v6
	v_mul_f32_e32 v8, 0x3fb8aa3b, v7
	s_delay_alu instid0(VALU_DEP_1) | instskip(SKIP_2) | instid1(VALU_DEP_2)
	v_cmp_gt_f32_e32 vcc_lo, 0xc2fc0000, v8
	v_cndmask_b32_e64 v8, 0, 0x42800000, vcc_lo
	v_cndmask_b32_e64 v9, 1.0, 0x1f800000, vcc_lo
	v_fma_mix_f32 v8, v6, s20, v8 op_sel_hi:[1,0,0]
	s_delay_alu instid0(VALU_DEP_1) | instskip(SKIP_2) | instid1(VALU_DEP_1)
	v_exp_f32_e32 v8, v8
	s_waitcnt_depctr 0xfff
	v_fma_f32 v8, v8, v9, 1.0
	v_cmp_gt_f32_e32 vcc_lo, 0x800000, v8
	v_cndmask_b32_e64 v9, 1.0, 0x4f800000, vcc_lo
	s_delay_alu instid0(VALU_DEP_1) | instskip(SKIP_2) | instid1(VALU_DEP_3)
	v_mul_f32_e32 v8, v8, v9
	v_cndmask_b32_e64 v9, 0, 0x42000000, vcc_lo
	v_cmp_lt_f16_e32 vcc_lo, 0x4d00, v6
	v_log_f32_e32 v8, v8
	s_waitcnt_depctr 0xfff
	v_sub_f32_e32 v8, v8, v9
	s_delay_alu instid0(VALU_DEP_1) | instskip(NEXT) | instid1(VALU_DEP_1)
	v_mul_f32_e32 v8, 0x3f317218, v8
	v_cndmask_b32_e32 v6, v8, v7, vcc_lo
	s_delay_alu instid0(VALU_DEP_1) | instskip(SKIP_1) | instid1(VALU_DEP_2)
	v_mul_f32_e32 v7, 0x4f800000, v6
	v_cmp_gt_f32_e32 vcc_lo, 0xf800000, v6
	v_cndmask_b32_e32 v6, v6, v7, vcc_lo
	s_delay_alu instid0(VALU_DEP_1) | instskip(SKIP_3) | instid1(VALU_DEP_2)
	v_sqrt_f32_e32 v7, v6
	s_waitcnt_depctr 0xfff
	v_add_nc_u32_e32 v8, -1, v7
	v_add_nc_u32_e32 v9, 1, v7
	v_fma_f32 v10, -v8, v7, v6
	s_delay_alu instid0(VALU_DEP_2) | instskip(NEXT) | instid1(VALU_DEP_2)
	v_fma_f32 v11, -v9, v7, v6
	v_cmp_ge_f32_e64 s3, 0, v10
	s_delay_alu instid0(VALU_DEP_1) | instskip(NEXT) | instid1(VALU_DEP_3)
	v_cndmask_b32_e64 v7, v7, v8, s3
	v_cmp_lt_f32_e64 s3, 0, v11
	s_delay_alu instid0(VALU_DEP_1) | instskip(NEXT) | instid1(VALU_DEP_1)
	v_cndmask_b32_e64 v7, v7, v9, s3
	v_mul_f32_e32 v8, 0x37800000, v7
	s_delay_alu instid0(VALU_DEP_1) | instskip(SKIP_1) | instid1(VALU_DEP_2)
	v_cndmask_b32_e32 v7, v7, v8, vcc_lo
	v_cmp_class_f32_e64 vcc_lo, v6, 0x260
	v_cndmask_b32_e32 v6, v7, v6, vcc_lo
	s_and_not1_b32 vcc_lo, exec_lo, s16
	s_cbranch_vccnz .LBB203_2
; %bb.4:                                ;   in Loop: Header=BB203_3 Depth=1
	v_add_co_u32 v2, vcc_lo, s6, v2
	v_add_co_ci_u32_e32 v3, vcc_lo, s7, v3, vcc_lo
	global_load_u16 v2, v[2:3], off
	s_waitcnt vmcnt(0)
	v_lshlrev_b32_e32 v2, 16, v2
	s_delay_alu instid0(VALU_DEP_1)
	v_add_f32_e32 v6, v6, v2
	s_branch .LBB203_2
.LBB203_5:
	s_or_b32 exec_lo, exec_lo, s14
	v_add_nc_u32_e32 v1, s12, v0
	s_mov_b32 s14, exec_lo
	s_delay_alu instid0(VALU_DEP_1)
	v_cmpx_gt_i32_e64 s12, v1
	s_cbranch_execz .LBB203_10
; %bb.6:
	s_load_b32 s3, s[0:1], 0x44
	s_cmp_lg_u64 s[6:7], 0
	v_lshl_add_u32 v5, v1, 2, 0
	s_cselect_b32 s16, -1, 0
	s_mov_b32 s18, 0
	s_mov_b32 s20, 0x3fb8aa3b
	s_waitcnt lgkmcnt(0)
	s_and_b32 s17, s3, 0xffff
	s_delay_alu instid0(SALU_CYCLE_1)
	s_lshl_b32 s19, s17, 2
	s_branch .LBB203_8
.LBB203_7:                              ;   in Loop: Header=BB203_8 Depth=1
	v_add_nc_u32_e32 v1, s17, v1
	v_add_nc_u32_e32 v5, s19, v5
	s_delay_alu instid0(VALU_DEP_2) | instskip(SKIP_1) | instid1(SALU_CYCLE_1)
	v_cmp_le_i32_e32 vcc_lo, s12, v1
	s_or_b32 s18, vcc_lo, s18
	s_and_not1_b32 exec_lo, exec_lo, s18
	s_cbranch_execz .LBB203_10
.LBB203_8:                              ; =>This Inner Loop Header: Depth=1
	v_ashrrev_i32_e32 v2, 31, v1
	s_delay_alu instid0(VALU_DEP_1) | instskip(NEXT) | instid1(VALU_DEP_1)
	v_lshlrev_b64 v[2:3], 1, v[1:2]
	v_add_co_u32 v6, vcc_lo, s4, v2
	s_delay_alu instid0(VALU_DEP_2) | instskip(SKIP_3) | instid1(VALU_DEP_1)
	v_add_co_ci_u32_e32 v7, vcc_lo, s5, v3, vcc_lo
	global_load_u16 v6, v[6:7], off
	s_waitcnt vmcnt(0)
	v_cvt_f32_f16_e32 v7, v6
	v_mul_f32_e32 v8, 0x3fb8aa3b, v7
	s_delay_alu instid0(VALU_DEP_1) | instskip(SKIP_2) | instid1(VALU_DEP_2)
	v_cmp_gt_f32_e32 vcc_lo, 0xc2fc0000, v8
	v_cndmask_b32_e64 v8, 0, 0x42800000, vcc_lo
	v_cndmask_b32_e64 v9, 1.0, 0x1f800000, vcc_lo
	v_fma_mix_f32 v8, v6, s20, v8 op_sel_hi:[1,0,0]
	s_delay_alu instid0(VALU_DEP_1) | instskip(SKIP_2) | instid1(VALU_DEP_1)
	v_exp_f32_e32 v8, v8
	s_waitcnt_depctr 0xfff
	v_fma_f32 v8, v8, v9, 1.0
	v_cmp_gt_f32_e32 vcc_lo, 0x800000, v8
	v_cndmask_b32_e64 v9, 1.0, 0x4f800000, vcc_lo
	s_delay_alu instid0(VALU_DEP_1) | instskip(SKIP_2) | instid1(VALU_DEP_3)
	v_mul_f32_e32 v8, v8, v9
	v_cndmask_b32_e64 v9, 0, 0x42000000, vcc_lo
	v_cmp_lt_f16_e32 vcc_lo, 0x4d00, v6
	v_log_f32_e32 v8, v8
	s_waitcnt_depctr 0xfff
	v_sub_f32_e32 v8, v8, v9
	s_delay_alu instid0(VALU_DEP_1) | instskip(NEXT) | instid1(VALU_DEP_1)
	v_mul_f32_e32 v8, 0x3f317218, v8
	v_cndmask_b32_e32 v6, v8, v7, vcc_lo
	s_delay_alu instid0(VALU_DEP_1) | instskip(SKIP_1) | instid1(VALU_DEP_2)
	v_mul_f32_e32 v7, 0x4f800000, v6
	v_cmp_gt_f32_e32 vcc_lo, 0xf800000, v6
	v_cndmask_b32_e32 v6, v6, v7, vcc_lo
	s_delay_alu instid0(VALU_DEP_1) | instskip(SKIP_3) | instid1(VALU_DEP_2)
	v_sqrt_f32_e32 v7, v6
	s_waitcnt_depctr 0xfff
	v_add_nc_u32_e32 v8, -1, v7
	v_add_nc_u32_e32 v9, 1, v7
	v_fma_f32 v10, -v8, v7, v6
	s_delay_alu instid0(VALU_DEP_2) | instskip(NEXT) | instid1(VALU_DEP_2)
	v_fma_f32 v11, -v9, v7, v6
	v_cmp_ge_f32_e64 s3, 0, v10
	s_delay_alu instid0(VALU_DEP_1) | instskip(NEXT) | instid1(VALU_DEP_3)
	v_cndmask_b32_e64 v7, v7, v8, s3
	v_cmp_lt_f32_e64 s3, 0, v11
	s_delay_alu instid0(VALU_DEP_1) | instskip(NEXT) | instid1(VALU_DEP_1)
	v_cndmask_b32_e64 v7, v7, v9, s3
	v_mul_f32_e32 v8, 0x37800000, v7
	s_delay_alu instid0(VALU_DEP_1) | instskip(SKIP_1) | instid1(VALU_DEP_2)
	v_cndmask_b32_e32 v7, v7, v8, vcc_lo
	v_cmp_class_f32_e64 vcc_lo, v6, 0x260
	v_cndmask_b32_e32 v6, v7, v6, vcc_lo
	s_and_not1_b32 vcc_lo, exec_lo, s16
	ds_store_b32 v5, v6
	s_cbranch_vccnz .LBB203_7
; %bb.9:                                ;   in Loop: Header=BB203_8 Depth=1
	v_add_co_u32 v2, vcc_lo, s6, v2
	v_add_co_ci_u32_e32 v3, vcc_lo, s7, v3, vcc_lo
	global_load_u16 v2, v[2:3], off
	s_waitcnt vmcnt(0)
	v_lshlrev_b32_e32 v2, 16, v2
	s_delay_alu instid0(VALU_DEP_1)
	v_add_f32_e32 v2, v6, v2
	ds_store_b32 v5, v2
	s_branch .LBB203_7
.LBB203_10:
	s_or_b32 exec_lo, exec_lo, s14
	v_mov_b32_e32 v2, 0
	s_cmp_lt_i32 s13, 1
	s_waitcnt lgkmcnt(0)
	s_barrier
	buffer_gl0_inv
	s_cbranch_scc1 .LBB203_19
; %bb.11:
	s_add_u32 s4, s0, 56
	s_addc_u32 s5, s1, 0
	v_dual_mov_b32 v2, 0 :: v_dual_mov_b32 v5, 0
	v_dual_mov_b32 v6, 0xff800000 :: v_dual_mov_b32 v1, 0
	v_mov_b32_e32 v3, 0
	s_cmp_lg_u64 s[6:7], 0
	s_mov_b32 s14, 0
	s_cselect_b32 s3, -1, 0
	s_mov_b32 s18, 0x76543210
	s_branch .LBB203_13
.LBB203_12:                             ;   in Loop: Header=BB203_13 Depth=1
	v_cmp_eq_u32_e32 vcc_lo, s14, v0
	s_delay_alu instid0(VALU_DEP_2) | instskip(NEXT) | instid1(VALU_DEP_2)
	s_lshl_b32 s17, s16, 2
	v_add_f32_e32 v3, v3, v9
	s_add_i32 s17, s17, 0
	s_add_i32 s14, s14, 1
	v_cndmask_b32_e64 v1, v1, s16, vcc_lo
	v_dual_mov_b32 v7, s17 :: v_dual_cndmask_b32 v2, v2, v9
	s_cmp_eq_u32 s14, s13
	ds_store_b32 v7, v6
	s_cbranch_scc1 .LBB203_20
.LBB203_13:                             ; =>This Loop Header: Depth=1
                                        ;     Child Loop BB203_15 Depth 2
	v_dual_mov_b32 v7, s14 :: v_dual_mov_b32 v8, 0xff800000
	s_and_saveexec_b32 s16, s2
	s_cbranch_execz .LBB203_17
; %bb.14:                               ;   in Loop: Header=BB203_13 Depth=1
	s_load_b32 s17, s[4:5], 0xc
	v_dual_mov_b32 v7, s14 :: v_dual_mov_b32 v8, 0xff800000
	v_mov_b32_e32 v9, v4
	v_mov_b32_e32 v10, v0
	s_mov_b32 s19, 0
	s_waitcnt lgkmcnt(0)
	s_and_b32 s17, s17, 0xffff
	s_delay_alu instid0(SALU_CYCLE_1)
	s_lshl_b32 s20, s17, 2
.LBB203_15:                             ;   Parent Loop BB203_13 Depth=1
                                        ; =>  This Inner Loop Header: Depth=2
	ds_load_b32 v11, v9
	v_add_nc_u32_e32 v9, s20, v9
	s_waitcnt lgkmcnt(0)
	v_cmp_gt_f32_e32 vcc_lo, v11, v8
	v_dual_cndmask_b32 v8, v8, v11 :: v_dual_cndmask_b32 v7, v7, v10
	v_add_nc_u32_e32 v10, s17, v10
	s_delay_alu instid0(VALU_DEP_1) | instskip(SKIP_1) | instid1(SALU_CYCLE_1)
	v_cmp_le_i32_e32 vcc_lo, s12, v10
	s_or_b32 s19, vcc_lo, s19
	s_and_not1_b32 exec_lo, exec_lo, s19
	s_cbranch_execnz .LBB203_15
; %bb.16:                               ;   in Loop: Header=BB203_13 Depth=1
	s_or_b32 exec_lo, exec_lo, s19
.LBB203_17:                             ;   in Loop: Header=BB203_13 Depth=1
	s_delay_alu instid0(SALU_CYCLE_1)
	s_or_b32 exec_lo, exec_lo, s16
	;;#ASMSTART
	v_max_f32 v9, v8, v8 quad_perm:[1,0,3,2] row_mask:0xf bank_mask:0xf bound_ctrl:1
	;;#ASMEND
	;;#ASMSTART
	v_max_f32 v10, v9, v9 quad_perm:[2,3,0,1] row_mask:0xf bank_mask:0xf bound_ctrl:1
	;;#ASMEND
	;;#ASMSTART
	v_max_f32 v9, v10, v10 row_half_mirror row_mask:0xf bank_mask:0xf bound_ctrl:1
	;;#ASMEND
	;;#ASMSTART
	v_max_f32 v10, v9, v9 row_mirror row_mask:0xf bank_mask:0xf bound_ctrl:1
	;;#ASMEND
	v_permlanex16_b32 v9, v10, s18, 0xfedcba98 op_sel:[1,1]
	s_delay_alu instid0(VALU_DEP_1) | instskip(NEXT) | instid1(VALU_DEP_1)
	v_dual_max_f32 v10, v10, v10 :: v_dual_max_f32 v9, v9, v9
	v_max_f32_e32 v9, v10, v9
	s_delay_alu instid0(VALU_DEP_1)
	v_cmp_eq_f32_e32 vcc_lo, v8, v9
	s_ctz_i32_b32 s16, vcc_lo
	s_cmp_lg_u32 vcc_lo, 0
	s_cselect_b32 s16, s16, 0
	s_and_b32 vcc_lo, exec_lo, s3
	v_readlane_b32 s16, v7, s16
	s_cbranch_vccz .LBB203_12
; %bb.18:                               ;   in Loop: Header=BB203_13 Depth=1
	s_delay_alu instid0(VALU_DEP_1) | instskip(NEXT) | instid1(SALU_CYCLE_1)
	s_ashr_i32 s17, s16, 31
	s_lshl_b64 s[20:21], s[16:17], 1
	s_delay_alu instid0(SALU_CYCLE_1) | instskip(SKIP_4) | instid1(VALU_DEP_1)
	s_add_u32 s20, s6, s20
	s_addc_u32 s21, s7, s21
	global_load_u16 v7, v5, s[20:21]
	s_waitcnt vmcnt(0)
	v_lshlrev_b32_e32 v7, 16, v7
	v_sub_f32_e32 v9, v9, v7
	s_branch .LBB203_12
.LBB203_19:
	v_mov_b32_e32 v1, 0
	v_mov_b32_e32 v3, 0
.LBB203_20:
	s_mov_b32 s2, exec_lo
	v_cmpx_gt_i32_e64 s13, v0
	s_cbranch_execz .LBB203_23
; %bb.21:
	s_clause 0x1
	s_load_b32 s2, s[0:1], 0x34
	s_load_b32 s3, s[0:1], 0x44
	v_max_f32_e32 v3, v3, v3
	s_load_b64 s[0:1], s[0:1], 0x20
	s_ashr_i32 s4, s15, 31
	s_delay_alu instid0(VALU_DEP_1) | instskip(SKIP_1) | instid1(VALU_DEP_1)
	v_max_f32_e32 v3, 0x1e3ce508, v3
	s_waitcnt lgkmcnt(0)
	v_div_scale_f32 v4, null, v3, v3, s2
	v_div_scale_f32 v7, vcc_lo, s2, v3, s2
	s_mul_i32 s1, s15, s1
	s_delay_alu instid0(VALU_DEP_2) | instskip(SKIP_4) | instid1(VALU_DEP_1)
	v_rcp_f32_e32 v5, v4
	s_mul_i32 s4, s4, s0
	s_and_b32 s3, s3, 0xffff
	s_waitcnt_depctr 0xfff
	v_fma_f32 v6, -v4, v5, 1.0
	v_fmac_f32_e32 v5, v6, v5
	s_delay_alu instid0(VALU_DEP_1) | instskip(NEXT) | instid1(VALU_DEP_1)
	v_mul_f32_e32 v6, v7, v5
	v_fma_f32 v8, -v4, v6, v7
	s_delay_alu instid0(VALU_DEP_1) | instskip(NEXT) | instid1(VALU_DEP_1)
	v_fmac_f32_e32 v6, v8, v5
	v_fma_f32 v4, -v4, v6, v7
	s_delay_alu instid0(VALU_DEP_1) | instskip(NEXT) | instid1(VALU_DEP_1)
	v_div_fmas_f32 v4, v4, v5, v6
	v_div_fixup_f32 v3, v4, v3, s2
	s_mul_hi_u32 s2, s15, s0
	s_delay_alu instid0(SALU_CYCLE_1) | instskip(SKIP_1) | instid1(VALU_DEP_1)
	s_add_i32 s1, s2, s1
	s_mul_i32 s2, s15, s0
	v_mul_f32_e32 v2, v2, v3
	s_add_i32 s1, s1, s4
	s_mov_b32 s4, 0
	.p2align	6
.LBB203_22:                             ; =>This Inner Loop Header: Depth=1
	v_ashrrev_i32_e32 v4, 31, v0
	v_add_co_u32 v3, vcc_lo, s2, v0
	v_add_nc_u32_e32 v0, s3, v0
	s_delay_alu instid0(VALU_DEP_3) | instskip(NEXT) | instid1(VALU_DEP_2)
	v_add_co_ci_u32_e32 v4, vcc_lo, s1, v4, vcc_lo
	v_cmp_le_i32_e32 vcc_lo, s13, v0
	s_delay_alu instid0(VALU_DEP_2) | instskip(SKIP_1) | instid1(VALU_DEP_1)
	v_lshlrev_b64 v[3:4], 2, v[3:4]
	s_or_b32 s4, vcc_lo, s4
	v_add_co_u32 v5, s0, s8, v3
	s_delay_alu instid0(VALU_DEP_1) | instskip(SKIP_1) | instid1(VALU_DEP_1)
	v_add_co_ci_u32_e64 v6, s0, s9, v4, s0
	v_add_co_u32 v3, s0, s10, v3
	v_add_co_ci_u32_e64 v4, s0, s11, v4, s0
	global_store_b32 v[5:6], v2, off
	global_store_b32 v[3:4], v1, off
	s_and_not1_b32 exec_lo, exec_lo, s4
	s_cbranch_execnz .LBB203_22
.LBB203_23:
	s_nop 0
	s_sendmsg sendmsg(MSG_DEALLOC_VGPRS)
	s_endpgm
	.section	.rodata,"a",@progbits
	.p2align	6, 0x0
	.amdhsa_kernel _ZN5aiter20topk_softplus_kernelI6__half12hip_bfloat16Dv1_fLb1ELi0EEEvPKT_PKT0_PfPimiiif
		.amdhsa_group_segment_fixed_size 0
		.amdhsa_private_segment_fixed_size 0
		.amdhsa_kernarg_size 312
		.amdhsa_user_sgpr_count 15
		.amdhsa_user_sgpr_dispatch_ptr 0
		.amdhsa_user_sgpr_queue_ptr 0
		.amdhsa_user_sgpr_kernarg_segment_ptr 1
		.amdhsa_user_sgpr_dispatch_id 0
		.amdhsa_user_sgpr_private_segment_size 0
		.amdhsa_wavefront_size32 1
		.amdhsa_uses_dynamic_stack 0
		.amdhsa_enable_private_segment 0
		.amdhsa_system_sgpr_workgroup_id_x 1
		.amdhsa_system_sgpr_workgroup_id_y 0
		.amdhsa_system_sgpr_workgroup_id_z 0
		.amdhsa_system_sgpr_workgroup_info 0
		.amdhsa_system_vgpr_workitem_id 0
		.amdhsa_next_free_vgpr 12
		.amdhsa_next_free_sgpr 22
		.amdhsa_reserve_vcc 1
		.amdhsa_float_round_mode_32 0
		.amdhsa_float_round_mode_16_64 0
		.amdhsa_float_denorm_mode_32 3
		.amdhsa_float_denorm_mode_16_64 3
		.amdhsa_dx10_clamp 1
		.amdhsa_ieee_mode 1
		.amdhsa_fp16_overflow 0
		.amdhsa_workgroup_processor_mode 1
		.amdhsa_memory_ordered 1
		.amdhsa_forward_progress 0
		.amdhsa_shared_vgpr_count 0
		.amdhsa_exception_fp_ieee_invalid_op 0
		.amdhsa_exception_fp_denorm_src 0
		.amdhsa_exception_fp_ieee_div_zero 0
		.amdhsa_exception_fp_ieee_overflow 0
		.amdhsa_exception_fp_ieee_underflow 0
		.amdhsa_exception_fp_ieee_inexact 0
		.amdhsa_exception_int_div_zero 0
	.end_amdhsa_kernel
	.section	.text._ZN5aiter20topk_softplus_kernelI6__half12hip_bfloat16Dv1_fLb1ELi0EEEvPKT_PKT0_PfPimiiif,"axG",@progbits,_ZN5aiter20topk_softplus_kernelI6__half12hip_bfloat16Dv1_fLb1ELi0EEEvPKT_PKT0_PfPimiiif,comdat
.Lfunc_end203:
	.size	_ZN5aiter20topk_softplus_kernelI6__half12hip_bfloat16Dv1_fLb1ELi0EEEvPKT_PKT0_PfPimiiif, .Lfunc_end203-_ZN5aiter20topk_softplus_kernelI6__half12hip_bfloat16Dv1_fLb1ELi0EEEvPKT_PKT0_PfPimiiif
                                        ; -- End function
	.section	.AMDGPU.csdata,"",@progbits
; Kernel info:
; codeLenInByte = 1864
; NumSgprs: 24
; NumVgprs: 12
; ScratchSize: 0
; MemoryBound: 0
; FloatMode: 240
; IeeeMode: 1
; LDSByteSize: 0 bytes/workgroup (compile time only)
; SGPRBlocks: 2
; VGPRBlocks: 1
; NumSGPRsForWavesPerEU: 24
; NumVGPRsForWavesPerEU: 12
; Occupancy: 16
; WaveLimiterHint : 0
; COMPUTE_PGM_RSRC2:SCRATCH_EN: 0
; COMPUTE_PGM_RSRC2:USER_SGPR: 15
; COMPUTE_PGM_RSRC2:TRAP_HANDLER: 0
; COMPUTE_PGM_RSRC2:TGID_X_EN: 1
; COMPUTE_PGM_RSRC2:TGID_Y_EN: 0
; COMPUTE_PGM_RSRC2:TGID_Z_EN: 0
; COMPUTE_PGM_RSRC2:TIDIG_COMP_CNT: 0
	.section	.text._ZN5aiter20topk_softplus_kernelI6__half12hip_bfloat16Dv1_fLb0ELi0EEEvPKT_PKT0_PfPimiiif,"axG",@progbits,_ZN5aiter20topk_softplus_kernelI6__half12hip_bfloat16Dv1_fLb0ELi0EEEvPKT_PKT0_PfPimiiif,comdat
	.protected	_ZN5aiter20topk_softplus_kernelI6__half12hip_bfloat16Dv1_fLb0ELi0EEEvPKT_PKT0_PfPimiiif ; -- Begin function _ZN5aiter20topk_softplus_kernelI6__half12hip_bfloat16Dv1_fLb0ELi0EEEvPKT_PKT0_PfPimiiif
	.globl	_ZN5aiter20topk_softplus_kernelI6__half12hip_bfloat16Dv1_fLb0ELi0EEEvPKT_PKT0_PfPimiiif
	.p2align	8
	.type	_ZN5aiter20topk_softplus_kernelI6__half12hip_bfloat16Dv1_fLb0ELi0EEEvPKT_PKT0_PfPimiiif,@function
_ZN5aiter20topk_softplus_kernelI6__half12hip_bfloat16Dv1_fLb0ELi0EEEvPKT_PKT0_PfPimiiif: ; @_ZN5aiter20topk_softplus_kernelI6__half12hip_bfloat16Dv1_fLb0ELi0EEEvPKT_PKT0_PfPimiiif
; %bb.0:
	s_clause 0x1
	s_load_b64 s[12:13], s[0:1], 0x28
	s_load_b256 s[4:11], s[0:1], 0x0
	v_lshl_add_u32 v4, v0, 2, 0
	s_waitcnt lgkmcnt(0)
	s_mul_i32 s16, s15, s12
	v_cmp_gt_i32_e64 s2, s12, v0
	s_ashr_i32 s17, s16, 31
	s_delay_alu instid0(SALU_CYCLE_1) | instskip(NEXT) | instid1(SALU_CYCLE_1)
	s_lshl_b64 s[16:17], s[16:17], 1
	s_add_u32 s4, s4, s16
	s_addc_u32 s5, s5, s17
	s_and_saveexec_b32 s14, s2
	s_cbranch_execz .LBB204_5
; %bb.1:
	s_load_b32 s3, s[0:1], 0x44
	s_cmp_lg_u64 s[6:7], 0
	v_lshl_add_u32 v5, v0, 2, 0
	v_mov_b32_e32 v1, v0
	s_cselect_b32 s16, -1, 0
	s_mov_b32 s18, 0
	s_mov_b32 s20, 0x3fb8aa3b
	s_waitcnt lgkmcnt(0)
	s_and_b32 s17, s3, 0xffff
	s_delay_alu instid0(SALU_CYCLE_1)
	s_lshl_b32 s19, s17, 2
	s_branch .LBB204_3
.LBB204_2:                              ;   in Loop: Header=BB204_3 Depth=1
	v_add_nc_u32_e32 v1, s17, v1
	ds_store_b32 v5, v6
	v_add_nc_u32_e32 v5, s19, v5
	v_cmp_le_i32_e32 vcc_lo, s12, v1
	s_or_b32 s18, vcc_lo, s18
	s_delay_alu instid0(SALU_CYCLE_1)
	s_and_not1_b32 exec_lo, exec_lo, s18
	s_cbranch_execz .LBB204_5
.LBB204_3:                              ; =>This Inner Loop Header: Depth=1
	v_ashrrev_i32_e32 v2, 31, v1
	s_delay_alu instid0(VALU_DEP_1) | instskip(NEXT) | instid1(VALU_DEP_1)
	v_lshlrev_b64 v[2:3], 1, v[1:2]
	v_add_co_u32 v6, vcc_lo, s4, v2
	s_delay_alu instid0(VALU_DEP_2) | instskip(SKIP_3) | instid1(VALU_DEP_1)
	v_add_co_ci_u32_e32 v7, vcc_lo, s5, v3, vcc_lo
	global_load_u16 v6, v[6:7], off
	s_waitcnt vmcnt(0)
	v_cvt_f32_f16_e32 v7, v6
	v_mul_f32_e32 v8, 0x3fb8aa3b, v7
	s_delay_alu instid0(VALU_DEP_1) | instskip(SKIP_2) | instid1(VALU_DEP_2)
	v_cmp_gt_f32_e32 vcc_lo, 0xc2fc0000, v8
	v_cndmask_b32_e64 v8, 0, 0x42800000, vcc_lo
	v_cndmask_b32_e64 v9, 1.0, 0x1f800000, vcc_lo
	v_fma_mix_f32 v8, v6, s20, v8 op_sel_hi:[1,0,0]
	s_delay_alu instid0(VALU_DEP_1) | instskip(SKIP_2) | instid1(VALU_DEP_1)
	v_exp_f32_e32 v8, v8
	s_waitcnt_depctr 0xfff
	v_fma_f32 v8, v8, v9, 1.0
	v_cmp_gt_f32_e32 vcc_lo, 0x800000, v8
	v_cndmask_b32_e64 v9, 1.0, 0x4f800000, vcc_lo
	s_delay_alu instid0(VALU_DEP_1) | instskip(SKIP_2) | instid1(VALU_DEP_3)
	v_mul_f32_e32 v8, v8, v9
	v_cndmask_b32_e64 v9, 0, 0x42000000, vcc_lo
	v_cmp_lt_f16_e32 vcc_lo, 0x4d00, v6
	v_log_f32_e32 v8, v8
	s_waitcnt_depctr 0xfff
	v_sub_f32_e32 v8, v8, v9
	s_delay_alu instid0(VALU_DEP_1) | instskip(NEXT) | instid1(VALU_DEP_1)
	v_mul_f32_e32 v8, 0x3f317218, v8
	v_cndmask_b32_e32 v6, v8, v7, vcc_lo
	s_delay_alu instid0(VALU_DEP_1) | instskip(SKIP_1) | instid1(VALU_DEP_2)
	v_mul_f32_e32 v7, 0x4f800000, v6
	v_cmp_gt_f32_e32 vcc_lo, 0xf800000, v6
	v_cndmask_b32_e32 v6, v6, v7, vcc_lo
	s_delay_alu instid0(VALU_DEP_1) | instskip(SKIP_3) | instid1(VALU_DEP_2)
	v_sqrt_f32_e32 v7, v6
	s_waitcnt_depctr 0xfff
	v_add_nc_u32_e32 v8, -1, v7
	v_add_nc_u32_e32 v9, 1, v7
	v_fma_f32 v10, -v8, v7, v6
	s_delay_alu instid0(VALU_DEP_2) | instskip(NEXT) | instid1(VALU_DEP_2)
	v_fma_f32 v11, -v9, v7, v6
	v_cmp_ge_f32_e64 s3, 0, v10
	s_delay_alu instid0(VALU_DEP_1) | instskip(NEXT) | instid1(VALU_DEP_3)
	v_cndmask_b32_e64 v7, v7, v8, s3
	v_cmp_lt_f32_e64 s3, 0, v11
	s_delay_alu instid0(VALU_DEP_1) | instskip(NEXT) | instid1(VALU_DEP_1)
	v_cndmask_b32_e64 v7, v7, v9, s3
	v_mul_f32_e32 v8, 0x37800000, v7
	s_delay_alu instid0(VALU_DEP_1) | instskip(SKIP_1) | instid1(VALU_DEP_2)
	v_cndmask_b32_e32 v7, v7, v8, vcc_lo
	v_cmp_class_f32_e64 vcc_lo, v6, 0x260
	v_cndmask_b32_e32 v6, v7, v6, vcc_lo
	s_and_not1_b32 vcc_lo, exec_lo, s16
	s_cbranch_vccnz .LBB204_2
; %bb.4:                                ;   in Loop: Header=BB204_3 Depth=1
	v_add_co_u32 v2, vcc_lo, s6, v2
	v_add_co_ci_u32_e32 v3, vcc_lo, s7, v3, vcc_lo
	global_load_u16 v2, v[2:3], off
	s_waitcnt vmcnt(0)
	v_lshlrev_b32_e32 v2, 16, v2
	s_delay_alu instid0(VALU_DEP_1)
	v_add_f32_e32 v6, v6, v2
	s_branch .LBB204_2
.LBB204_5:
	s_or_b32 exec_lo, exec_lo, s14
	v_add_nc_u32_e32 v1, s12, v0
	s_mov_b32 s14, exec_lo
	s_delay_alu instid0(VALU_DEP_1)
	v_cmpx_gt_i32_e64 s12, v1
	s_cbranch_execz .LBB204_10
; %bb.6:
	s_load_b32 s3, s[0:1], 0x44
	s_cmp_lg_u64 s[6:7], 0
	v_lshl_add_u32 v5, v1, 2, 0
	s_cselect_b32 s16, -1, 0
	s_mov_b32 s18, 0
	s_mov_b32 s20, 0x3fb8aa3b
	s_waitcnt lgkmcnt(0)
	s_and_b32 s17, s3, 0xffff
	s_delay_alu instid0(SALU_CYCLE_1)
	s_lshl_b32 s19, s17, 2
	s_branch .LBB204_8
.LBB204_7:                              ;   in Loop: Header=BB204_8 Depth=1
	v_add_nc_u32_e32 v1, s17, v1
	v_add_nc_u32_e32 v5, s19, v5
	s_delay_alu instid0(VALU_DEP_2) | instskip(SKIP_1) | instid1(SALU_CYCLE_1)
	v_cmp_le_i32_e32 vcc_lo, s12, v1
	s_or_b32 s18, vcc_lo, s18
	s_and_not1_b32 exec_lo, exec_lo, s18
	s_cbranch_execz .LBB204_10
.LBB204_8:                              ; =>This Inner Loop Header: Depth=1
	v_ashrrev_i32_e32 v2, 31, v1
	s_delay_alu instid0(VALU_DEP_1) | instskip(NEXT) | instid1(VALU_DEP_1)
	v_lshlrev_b64 v[2:3], 1, v[1:2]
	v_add_co_u32 v6, vcc_lo, s4, v2
	s_delay_alu instid0(VALU_DEP_2) | instskip(SKIP_3) | instid1(VALU_DEP_1)
	v_add_co_ci_u32_e32 v7, vcc_lo, s5, v3, vcc_lo
	global_load_u16 v6, v[6:7], off
	s_waitcnt vmcnt(0)
	v_cvt_f32_f16_e32 v7, v6
	v_mul_f32_e32 v8, 0x3fb8aa3b, v7
	s_delay_alu instid0(VALU_DEP_1) | instskip(SKIP_2) | instid1(VALU_DEP_2)
	v_cmp_gt_f32_e32 vcc_lo, 0xc2fc0000, v8
	v_cndmask_b32_e64 v8, 0, 0x42800000, vcc_lo
	v_cndmask_b32_e64 v9, 1.0, 0x1f800000, vcc_lo
	v_fma_mix_f32 v8, v6, s20, v8 op_sel_hi:[1,0,0]
	s_delay_alu instid0(VALU_DEP_1) | instskip(SKIP_2) | instid1(VALU_DEP_1)
	v_exp_f32_e32 v8, v8
	s_waitcnt_depctr 0xfff
	v_fma_f32 v8, v8, v9, 1.0
	v_cmp_gt_f32_e32 vcc_lo, 0x800000, v8
	v_cndmask_b32_e64 v9, 1.0, 0x4f800000, vcc_lo
	s_delay_alu instid0(VALU_DEP_1) | instskip(SKIP_2) | instid1(VALU_DEP_3)
	v_mul_f32_e32 v8, v8, v9
	v_cndmask_b32_e64 v9, 0, 0x42000000, vcc_lo
	v_cmp_lt_f16_e32 vcc_lo, 0x4d00, v6
	v_log_f32_e32 v8, v8
	s_waitcnt_depctr 0xfff
	v_sub_f32_e32 v8, v8, v9
	s_delay_alu instid0(VALU_DEP_1) | instskip(NEXT) | instid1(VALU_DEP_1)
	v_mul_f32_e32 v8, 0x3f317218, v8
	v_cndmask_b32_e32 v6, v8, v7, vcc_lo
	s_delay_alu instid0(VALU_DEP_1) | instskip(SKIP_1) | instid1(VALU_DEP_2)
	v_mul_f32_e32 v7, 0x4f800000, v6
	v_cmp_gt_f32_e32 vcc_lo, 0xf800000, v6
	v_cndmask_b32_e32 v6, v6, v7, vcc_lo
	s_delay_alu instid0(VALU_DEP_1) | instskip(SKIP_3) | instid1(VALU_DEP_2)
	v_sqrt_f32_e32 v7, v6
	s_waitcnt_depctr 0xfff
	v_add_nc_u32_e32 v8, -1, v7
	v_add_nc_u32_e32 v9, 1, v7
	v_fma_f32 v10, -v8, v7, v6
	s_delay_alu instid0(VALU_DEP_2) | instskip(NEXT) | instid1(VALU_DEP_2)
	v_fma_f32 v11, -v9, v7, v6
	v_cmp_ge_f32_e64 s3, 0, v10
	s_delay_alu instid0(VALU_DEP_1) | instskip(NEXT) | instid1(VALU_DEP_3)
	v_cndmask_b32_e64 v7, v7, v8, s3
	v_cmp_lt_f32_e64 s3, 0, v11
	s_delay_alu instid0(VALU_DEP_1) | instskip(NEXT) | instid1(VALU_DEP_1)
	v_cndmask_b32_e64 v7, v7, v9, s3
	v_mul_f32_e32 v8, 0x37800000, v7
	s_delay_alu instid0(VALU_DEP_1) | instskip(SKIP_1) | instid1(VALU_DEP_2)
	v_cndmask_b32_e32 v7, v7, v8, vcc_lo
	v_cmp_class_f32_e64 vcc_lo, v6, 0x260
	v_cndmask_b32_e32 v6, v7, v6, vcc_lo
	s_and_not1_b32 vcc_lo, exec_lo, s16
	ds_store_b32 v5, v6
	s_cbranch_vccnz .LBB204_7
; %bb.9:                                ;   in Loop: Header=BB204_8 Depth=1
	v_add_co_u32 v2, vcc_lo, s6, v2
	v_add_co_ci_u32_e32 v3, vcc_lo, s7, v3, vcc_lo
	global_load_u16 v2, v[2:3], off
	s_waitcnt vmcnt(0)
	v_lshlrev_b32_e32 v2, 16, v2
	s_delay_alu instid0(VALU_DEP_1)
	v_add_f32_e32 v2, v6, v2
	ds_store_b32 v5, v2
	s_branch .LBB204_7
.LBB204_10:
	s_or_b32 exec_lo, exec_lo, s14
	s_cmp_lt_i32 s13, 1
	s_waitcnt lgkmcnt(0)
	s_barrier
	buffer_gl0_inv
	s_cbranch_scc1 .LBB204_19
; %bb.11:
	s_add_u32 s4, s0, 56
	s_addc_u32 s5, s1, 0
	v_dual_mov_b32 v3, 0 :: v_dual_mov_b32 v2, 0
	v_mov_b32_e32 v1, 0
	v_mov_b32_e32 v5, 0xff800000
	s_cmp_lg_u64 s[6:7], 0
	s_mov_b32 s14, 0
	s_cselect_b32 s3, -1, 0
	s_mov_b32 s18, 0x76543210
	s_branch .LBB204_13
.LBB204_12:                             ;   in Loop: Header=BB204_13 Depth=1
	v_cmp_eq_u32_e32 vcc_lo, s14, v0
	s_delay_alu instid0(VALU_DEP_2)
	s_lshl_b32 s17, s16, 2
	s_add_i32 s14, s14, 1
	s_add_i32 s17, s17, 0
	s_cmp_eq_u32 s14, s13
	v_cndmask_b32_e64 v1, v1, s16, vcc_lo
	v_mov_b32_e32 v6, s17
	v_cndmask_b32_e32 v2, v2, v8, vcc_lo
	ds_store_b32 v6, v5
	s_cbranch_scc1 .LBB204_20
.LBB204_13:                             ; =>This Loop Header: Depth=1
                                        ;     Child Loop BB204_15 Depth 2
	v_dual_mov_b32 v6, s14 :: v_dual_mov_b32 v7, 0xff800000
	s_and_saveexec_b32 s16, s2
	s_cbranch_execz .LBB204_17
; %bb.14:                               ;   in Loop: Header=BB204_13 Depth=1
	s_load_b32 s17, s[4:5], 0xc
	v_dual_mov_b32 v6, s14 :: v_dual_mov_b32 v7, 0xff800000
	v_mov_b32_e32 v8, v4
	v_mov_b32_e32 v9, v0
	s_mov_b32 s19, 0
	s_waitcnt lgkmcnt(0)
	s_and_b32 s17, s17, 0xffff
	s_delay_alu instid0(SALU_CYCLE_1)
	s_lshl_b32 s20, s17, 2
.LBB204_15:                             ;   Parent Loop BB204_13 Depth=1
                                        ; =>  This Inner Loop Header: Depth=2
	ds_load_b32 v10, v8
	v_add_nc_u32_e32 v8, s20, v8
	s_waitcnt lgkmcnt(0)
	v_cmp_gt_f32_e32 vcc_lo, v10, v7
	v_dual_cndmask_b32 v7, v7, v10 :: v_dual_cndmask_b32 v6, v6, v9
	v_add_nc_u32_e32 v9, s17, v9
	s_delay_alu instid0(VALU_DEP_1) | instskip(SKIP_1) | instid1(SALU_CYCLE_1)
	v_cmp_le_i32_e32 vcc_lo, s12, v9
	s_or_b32 s19, vcc_lo, s19
	s_and_not1_b32 exec_lo, exec_lo, s19
	s_cbranch_execnz .LBB204_15
; %bb.16:                               ;   in Loop: Header=BB204_13 Depth=1
	s_or_b32 exec_lo, exec_lo, s19
.LBB204_17:                             ;   in Loop: Header=BB204_13 Depth=1
	s_delay_alu instid0(SALU_CYCLE_1)
	s_or_b32 exec_lo, exec_lo, s16
	;;#ASMSTART
	v_max_f32 v8, v7, v7 quad_perm:[1,0,3,2] row_mask:0xf bank_mask:0xf bound_ctrl:1
	;;#ASMEND
	;;#ASMSTART
	v_max_f32 v9, v8, v8 quad_perm:[2,3,0,1] row_mask:0xf bank_mask:0xf bound_ctrl:1
	;;#ASMEND
	;;#ASMSTART
	v_max_f32 v8, v9, v9 row_half_mirror row_mask:0xf bank_mask:0xf bound_ctrl:1
	;;#ASMEND
	;;#ASMSTART
	v_max_f32 v9, v8, v8 row_mirror row_mask:0xf bank_mask:0xf bound_ctrl:1
	;;#ASMEND
	v_permlanex16_b32 v8, v9, s18, 0xfedcba98 op_sel:[1,1]
	s_delay_alu instid0(VALU_DEP_1) | instskip(NEXT) | instid1(VALU_DEP_1)
	v_dual_max_f32 v9, v9, v9 :: v_dual_max_f32 v8, v8, v8
	v_max_f32_e32 v8, v9, v8
	s_delay_alu instid0(VALU_DEP_1)
	v_cmp_eq_f32_e32 vcc_lo, v7, v8
	s_ctz_i32_b32 s16, vcc_lo
	s_cmp_lg_u32 vcc_lo, 0
	s_cselect_b32 s16, s16, 0
	s_and_b32 vcc_lo, exec_lo, s3
	v_readlane_b32 s16, v6, s16
	s_cbranch_vccz .LBB204_12
; %bb.18:                               ;   in Loop: Header=BB204_13 Depth=1
	s_delay_alu instid0(VALU_DEP_1) | instskip(NEXT) | instid1(SALU_CYCLE_1)
	s_ashr_i32 s17, s16, 31
	s_lshl_b64 s[20:21], s[16:17], 1
	s_delay_alu instid0(SALU_CYCLE_1) | instskip(SKIP_4) | instid1(VALU_DEP_1)
	s_add_u32 s20, s6, s20
	s_addc_u32 s21, s7, s21
	global_load_u16 v6, v3, s[20:21]
	s_waitcnt vmcnt(0)
	v_lshlrev_b32_e32 v6, 16, v6
	v_sub_f32_e32 v8, v8, v6
	s_branch .LBB204_12
.LBB204_19:
	v_dual_mov_b32 v2, 0 :: v_dual_mov_b32 v1, 0
.LBB204_20:
	s_mov_b32 s2, exec_lo
	v_cmpx_gt_i32_e64 s13, v0
	s_cbranch_execz .LBB204_23
; %bb.21:
	s_clause 0x2
	s_load_b32 s4, s[0:1], 0x34
	s_load_b64 s[2:3], s[0:1], 0x20
	s_load_b32 s0, s[0:1], 0x44
	s_ashr_i32 s1, s15, 31
	s_waitcnt lgkmcnt(0)
	v_mul_f32_e32 v2, s4, v2
	s_mul_i32 s3, s15, s3
	s_mul_hi_u32 s4, s15, s2
	s_mul_i32 s5, s1, s2
	s_add_i32 s3, s4, s3
	s_mul_i32 s1, s15, s2
	s_and_b32 s2, s0, 0xffff
	s_add_i32 s3, s3, s5
	s_mov_b32 s4, 0
	.p2align	6
.LBB204_22:                             ; =>This Inner Loop Header: Depth=1
	v_ashrrev_i32_e32 v4, 31, v0
	v_add_co_u32 v3, vcc_lo, s1, v0
	v_add_nc_u32_e32 v0, s2, v0
	s_delay_alu instid0(VALU_DEP_3) | instskip(NEXT) | instid1(VALU_DEP_2)
	v_add_co_ci_u32_e32 v4, vcc_lo, s3, v4, vcc_lo
	v_cmp_le_i32_e32 vcc_lo, s13, v0
	s_delay_alu instid0(VALU_DEP_2) | instskip(SKIP_1) | instid1(VALU_DEP_1)
	v_lshlrev_b64 v[3:4], 2, v[3:4]
	s_or_b32 s4, vcc_lo, s4
	v_add_co_u32 v5, s0, s8, v3
	s_delay_alu instid0(VALU_DEP_1) | instskip(SKIP_1) | instid1(VALU_DEP_1)
	v_add_co_ci_u32_e64 v6, s0, s9, v4, s0
	v_add_co_u32 v3, s0, s10, v3
	v_add_co_ci_u32_e64 v4, s0, s11, v4, s0
	global_store_b32 v[5:6], v2, off
	global_store_b32 v[3:4], v1, off
	s_and_not1_b32 exec_lo, exec_lo, s4
	s_cbranch_execnz .LBB204_22
.LBB204_23:
	s_nop 0
	s_sendmsg sendmsg(MSG_DEALLOC_VGPRS)
	s_endpgm
	.section	.rodata,"a",@progbits
	.p2align	6, 0x0
	.amdhsa_kernel _ZN5aiter20topk_softplus_kernelI6__half12hip_bfloat16Dv1_fLb0ELi0EEEvPKT_PKT0_PfPimiiif
		.amdhsa_group_segment_fixed_size 0
		.amdhsa_private_segment_fixed_size 0
		.amdhsa_kernarg_size 312
		.amdhsa_user_sgpr_count 15
		.amdhsa_user_sgpr_dispatch_ptr 0
		.amdhsa_user_sgpr_queue_ptr 0
		.amdhsa_user_sgpr_kernarg_segment_ptr 1
		.amdhsa_user_sgpr_dispatch_id 0
		.amdhsa_user_sgpr_private_segment_size 0
		.amdhsa_wavefront_size32 1
		.amdhsa_uses_dynamic_stack 0
		.amdhsa_enable_private_segment 0
		.amdhsa_system_sgpr_workgroup_id_x 1
		.amdhsa_system_sgpr_workgroup_id_y 0
		.amdhsa_system_sgpr_workgroup_id_z 0
		.amdhsa_system_sgpr_workgroup_info 0
		.amdhsa_system_vgpr_workitem_id 0
		.amdhsa_next_free_vgpr 12
		.amdhsa_next_free_sgpr 22
		.amdhsa_reserve_vcc 1
		.amdhsa_float_round_mode_32 0
		.amdhsa_float_round_mode_16_64 0
		.amdhsa_float_denorm_mode_32 3
		.amdhsa_float_denorm_mode_16_64 3
		.amdhsa_dx10_clamp 1
		.amdhsa_ieee_mode 1
		.amdhsa_fp16_overflow 0
		.amdhsa_workgroup_processor_mode 1
		.amdhsa_memory_ordered 1
		.amdhsa_forward_progress 0
		.amdhsa_shared_vgpr_count 0
		.amdhsa_exception_fp_ieee_invalid_op 0
		.amdhsa_exception_fp_denorm_src 0
		.amdhsa_exception_fp_ieee_div_zero 0
		.amdhsa_exception_fp_ieee_overflow 0
		.amdhsa_exception_fp_ieee_underflow 0
		.amdhsa_exception_fp_ieee_inexact 0
		.amdhsa_exception_int_div_zero 0
	.end_amdhsa_kernel
	.section	.text._ZN5aiter20topk_softplus_kernelI6__half12hip_bfloat16Dv1_fLb0ELi0EEEvPKT_PKT0_PfPimiiif,"axG",@progbits,_ZN5aiter20topk_softplus_kernelI6__half12hip_bfloat16Dv1_fLb0ELi0EEEvPKT_PKT0_PfPimiiif,comdat
.Lfunc_end204:
	.size	_ZN5aiter20topk_softplus_kernelI6__half12hip_bfloat16Dv1_fLb0ELi0EEEvPKT_PKT0_PfPimiiif, .Lfunc_end204-_ZN5aiter20topk_softplus_kernelI6__half12hip_bfloat16Dv1_fLb0ELi0EEEvPKT_PKT0_PfPimiiif
                                        ; -- End function
	.section	.AMDGPU.csdata,"",@progbits
; Kernel info:
; codeLenInByte = 1740
; NumSgprs: 24
; NumVgprs: 12
; ScratchSize: 0
; MemoryBound: 0
; FloatMode: 240
; IeeeMode: 1
; LDSByteSize: 0 bytes/workgroup (compile time only)
; SGPRBlocks: 2
; VGPRBlocks: 1
; NumSGPRsForWavesPerEU: 24
; NumVGPRsForWavesPerEU: 12
; Occupancy: 16
; WaveLimiterHint : 0
; COMPUTE_PGM_RSRC2:SCRATCH_EN: 0
; COMPUTE_PGM_RSRC2:USER_SGPR: 15
; COMPUTE_PGM_RSRC2:TRAP_HANDLER: 0
; COMPUTE_PGM_RSRC2:TGID_X_EN: 1
; COMPUTE_PGM_RSRC2:TGID_Y_EN: 0
; COMPUTE_PGM_RSRC2:TGID_Z_EN: 0
; COMPUTE_PGM_RSRC2:TIDIG_COMP_CNT: 0
	.section	.text._ZN5aiter24topk_softplus_kernel_optI12hip_bfloat16fLi64ELb1ELi1EEEvPKT_PKT0_PfPimiif,"axG",@progbits,_ZN5aiter24topk_softplus_kernel_optI12hip_bfloat16fLi64ELb1ELi1EEEvPKT_PKT0_PfPimiif,comdat
	.protected	_ZN5aiter24topk_softplus_kernel_optI12hip_bfloat16fLi64ELb1ELi1EEEvPKT_PKT0_PfPimiif ; -- Begin function _ZN5aiter24topk_softplus_kernel_optI12hip_bfloat16fLi64ELb1ELi1EEEvPKT_PKT0_PfPimiif
	.globl	_ZN5aiter24topk_softplus_kernel_optI12hip_bfloat16fLi64ELb1ELi1EEEvPKT_PKT0_PfPimiif
	.p2align	8
	.type	_ZN5aiter24topk_softplus_kernel_optI12hip_bfloat16fLi64ELb1ELi1EEEvPKT_PKT0_PfPimiif,@function
_ZN5aiter24topk_softplus_kernel_optI12hip_bfloat16fLi64ELb1ELi1EEEvPKT_PKT0_PfPimiif: ; @_ZN5aiter24topk_softplus_kernel_optI12hip_bfloat16fLi64ELb1ELi1EEEvPKT_PKT0_PfPimiif
; %bb.0:
	s_load_b128 s[4:7], s[0:1], 0x0
	s_lshl_b32 s2, s15, 6
	v_lshlrev_b32_e32 v1, 1, v0
	s_ashr_i32 s3, s2, 31
	s_delay_alu instid0(SALU_CYCLE_1)
	s_lshl_b64 s[2:3], s[2:3], 1
	s_waitcnt lgkmcnt(0)
	s_add_u32 s4, s4, s2
	s_addc_u32 s5, s5, s3
	s_cmp_lg_u64 s[6:7], 0
	global_load_u16 v2, v1, s[4:5]
	s_cselect_b32 s2, -1, 0
	s_waitcnt vmcnt(0)
	v_lshlrev_b32_e32 v2, 16, v2
	s_delay_alu instid0(VALU_DEP_1) | instskip(NEXT) | instid1(VALU_DEP_1)
	v_mul_f32_e32 v3, 0xbfb8aa3b, v2
	v_cmp_gt_f32_e32 vcc_lo, 0xc2fc0000, v3
	v_cndmask_b32_e64 v3, 0, 0x42800000, vcc_lo
	s_delay_alu instid0(VALU_DEP_1) | instskip(NEXT) | instid1(VALU_DEP_1)
	v_fmac_f32_e32 v3, 0xbfb8aa3b, v2
	v_exp_f32_e32 v2, v3
	v_cndmask_b32_e64 v3, 1.0, 0x1f800000, vcc_lo
	s_and_b32 vcc_lo, exec_lo, s2
	s_waitcnt_depctr 0xfff
	v_fma_f32 v2, v2, v3, 1.0
	v_lshlrev_b32_e32 v3, 2, v0
	s_delay_alu instid0(VALU_DEP_2) | instskip(SKIP_3) | instid1(VALU_DEP_1)
	v_rcp_f32_e32 v10, v2
	s_waitcnt_depctr 0xfff
	v_mov_b32_e32 v8, v10
	v_add_co_u32 v1, s3, s4, v1
	v_add_co_ci_u32_e64 v2, null, s5, 0, s3
	s_cbranch_vccz .LBB205_2
; %bb.1:
	global_load_b32 v4, v3, s[6:7]
	s_waitcnt vmcnt(0)
	v_add_f32_e32 v8, v10, v4
.LBB205_2:
	global_load_u16 v1, v[1:2], off offset:64
	s_waitcnt vmcnt(0)
	v_lshlrev_b32_e32 v1, 16, v1
	s_delay_alu instid0(VALU_DEP_1) | instskip(NEXT) | instid1(VALU_DEP_1)
	v_mul_f32_e32 v2, 0xbfb8aa3b, v1
	v_cmp_gt_f32_e32 vcc_lo, 0xc2fc0000, v2
	v_cndmask_b32_e64 v2, 0, 0x42800000, vcc_lo
	s_delay_alu instid0(VALU_DEP_1) | instskip(NEXT) | instid1(VALU_DEP_1)
	v_fmac_f32_e32 v2, 0xbfb8aa3b, v1
	v_exp_f32_e32 v1, v2
	v_cndmask_b32_e64 v2, 1.0, 0x1f800000, vcc_lo
	s_and_not1_b32 vcc_lo, exec_lo, s2
	s_waitcnt_depctr 0xfff
	v_fma_f32 v1, v1, v2, 1.0
	s_delay_alu instid0(VALU_DEP_1)
	v_rcp_f32_e32 v11, v1
	s_waitcnt_depctr 0xfff
	v_mov_b32_e32 v9, v11
	s_cbranch_vccnz .LBB205_4
; %bb.3:
	global_load_b32 v1, v3, s[6:7] offset:128
	s_waitcnt vmcnt(0)
	v_add_f32_e32 v9, v11, v1
.LBB205_4:
	s_clause 0x1
	s_load_b32 s8, s[0:1], 0x28
	s_load_b128 s[4:7], s[0:1], 0x10
	v_dual_mov_b32 v4, 0 :: v_dual_mov_b32 v1, 0
	v_mov_b32_e32 v2, 0
	s_waitcnt lgkmcnt(0)
	s_cmp_gt_i32 s8, 0
	s_cbranch_scc0 .LBB205_7
; %bb.5:
	v_cmp_lt_f32_e32 vcc_lo, v8, v9
	v_add_nc_u32_e32 v1, 32, v0
	s_mov_b32 s9, 0x76543210
	s_mov_b32 s10, s8
	v_dual_mov_b32 v4, 0 :: v_dual_cndmask_b32 v7, v9, v8
	s_delay_alu instid0(VALU_DEP_2)
	v_dual_cndmask_b32 v8, v8, v9 :: v_dual_cndmask_b32 v5, v1, v0
	v_dual_cndmask_b32 v6, v0, v1 :: v_dual_cndmask_b32 v9, v11, v10
	v_dual_cndmask_b32 v10, v10, v11 :: v_dual_mov_b32 v11, 0
	v_dual_mov_b32 v12, v0 :: v_dual_mov_b32 v1, 0
	v_mov_b32_e32 v2, 0
.LBB205_6:                              ; =>This Inner Loop Header: Depth=1
	s_delay_alu instid0(VALU_DEP_3) | instskip(SKIP_2) | instid1(VALU_DEP_1)
	v_cmp_eq_u32_e32 vcc_lo, 1, v11
	v_cmp_gt_u32_e64 s2, 2, v11
	v_dual_cndmask_b32 v13, v8, v7 :: v_dual_cndmask_b32 v14, v6, v5
	v_cndmask_b32_e64 v13, 0xff800000, v13, s2
	;;#ASMSTART
	v_max_f32 v16, v13, v13 quad_perm:[1,0,3,2] row_mask:0xf bank_mask:0xf bound_ctrl:1
	;;#ASMEND
	;;#ASMSTART
	v_max_f32 v17, v16, v16 quad_perm:[2,3,0,1] row_mask:0xf bank_mask:0xf bound_ctrl:1
	;;#ASMEND
	;;#ASMSTART
	v_max_f32 v16, v17, v17 row_half_mirror row_mask:0xf bank_mask:0xf bound_ctrl:1
	;;#ASMEND
	;;#ASMSTART
	v_max_f32 v17, v16, v16 row_mirror row_mask:0xf bank_mask:0xf bound_ctrl:1
	;;#ASMEND
	v_permlanex16_b32 v16, v17, s9, 0xfedcba98 op_sel:[1,1]
	v_max_f32_e32 v17, v17, v17
	v_cndmask_b32_e64 v15, 0, v14, s2
	s_delay_alu instid0(VALU_DEP_3) | instskip(NEXT) | instid1(VALU_DEP_1)
	v_max_f32_e32 v16, v16, v16
	v_max_f32_e32 v16, v17, v16
	s_delay_alu instid0(VALU_DEP_1) | instskip(SKIP_1) | instid1(VALU_DEP_2)
	v_cmp_eq_f32_e64 s3, v13, v16
	v_cndmask_b32_e32 v13, v10, v9, vcc_lo
	s_ctz_i32_b32 s11, s3
	s_cmp_lg_u32 s3, 0
	s_cselect_b32 s3, s11, 0
	s_add_i32 s10, s10, -1
	v_readlane_b32 s3, v15, s3
	s_delay_alu instid0(VALU_DEP_1)
	v_cmp_eq_u32_e32 vcc_lo, s3, v14
	s_and_b32 vcc_lo, s2, vcc_lo
	s_and_b32 s2, s3, 31
	v_cndmask_b32_e32 v13, 0, v13, vcc_lo
	v_add_co_ci_u32_e32 v11, vcc_lo, 0, v11, vcc_lo
	s_cmp_eq_u32 s10, 0
	s_delay_alu instid0(VALU_DEP_2) | instskip(SKIP_2) | instid1(VALU_DEP_3)
	v_readlane_b32 s11, v13, s2
	v_cmp_eq_u32_e64 s2, 0, v12
	v_add_nc_u32_e32 v12, -1, v12
	v_add_f32_e32 v4, s11, v4
	s_delay_alu instid0(VALU_DEP_3)
	v_cndmask_b32_e64 v2, v2, s11, s2
	v_cndmask_b32_e64 v1, v1, s3, s2
	s_cbranch_scc0 .LBB205_6
.LBB205_7:
	s_mov_b32 s2, exec_lo
	v_cmpx_gt_i32_e64 s8, v0
	s_cbranch_execz .LBB205_9
; %bb.8:
	s_load_b32 s2, s[0:1], 0x30
	v_max_f32_e32 v0, v4, v4
	s_load_b64 s[0:1], s[0:1], 0x20
	s_ashr_i32 s3, s15, 31
	s_delay_alu instid0(VALU_DEP_1) | instskip(SKIP_1) | instid1(VALU_DEP_1)
	v_max_f32_e32 v0, 0x1e3ce508, v0
	s_waitcnt lgkmcnt(0)
	v_div_scale_f32 v4, null, v0, v0, s2
	v_div_scale_f32 v7, vcc_lo, s2, v0, s2
	s_mul_i32 s1, s15, s1
	s_delay_alu instid0(VALU_DEP_2)
	v_rcp_f32_e32 v5, v4
	s_mul_hi_u32 s8, s15, s0
	s_mul_i32 s3, s3, s0
	s_add_i32 s1, s8, s1
	s_mul_i32 s0, s15, s0
	s_add_i32 s1, s1, s3
	s_delay_alu instid0(SALU_CYCLE_1) | instskip(SKIP_2) | instid1(VALU_DEP_1)
	s_lshl_b64 s[0:1], s[0:1], 2
	s_waitcnt_depctr 0xfff
	v_fma_f32 v6, -v4, v5, 1.0
	v_fmac_f32_e32 v5, v6, v5
	s_delay_alu instid0(VALU_DEP_1) | instskip(NEXT) | instid1(VALU_DEP_1)
	v_mul_f32_e32 v6, v7, v5
	v_fma_f32 v8, -v4, v6, v7
	s_delay_alu instid0(VALU_DEP_1) | instskip(NEXT) | instid1(VALU_DEP_1)
	v_fmac_f32_e32 v6, v8, v5
	v_fma_f32 v4, -v4, v6, v7
	s_delay_alu instid0(VALU_DEP_1) | instskip(NEXT) | instid1(VALU_DEP_1)
	v_div_fmas_f32 v4, v4, v5, v6
	v_div_fixup_f32 v0, v4, v0, s2
	s_add_u32 s2, s4, s0
	s_addc_u32 s3, s5, s1
	s_add_u32 s0, s6, s0
	s_addc_u32 s1, s7, s1
	v_mul_f32_e32 v0, v2, v0
	s_clause 0x1
	global_store_b32 v3, v0, s[2:3]
	global_store_b32 v3, v1, s[0:1]
.LBB205_9:
	s_nop 0
	s_sendmsg sendmsg(MSG_DEALLOC_VGPRS)
	s_endpgm
	.section	.rodata,"a",@progbits
	.p2align	6, 0x0
	.amdhsa_kernel _ZN5aiter24topk_softplus_kernel_optI12hip_bfloat16fLi64ELb1ELi1EEEvPKT_PKT0_PfPimiif
		.amdhsa_group_segment_fixed_size 0
		.amdhsa_private_segment_fixed_size 0
		.amdhsa_kernarg_size 52
		.amdhsa_user_sgpr_count 15
		.amdhsa_user_sgpr_dispatch_ptr 0
		.amdhsa_user_sgpr_queue_ptr 0
		.amdhsa_user_sgpr_kernarg_segment_ptr 1
		.amdhsa_user_sgpr_dispatch_id 0
		.amdhsa_user_sgpr_private_segment_size 0
		.amdhsa_wavefront_size32 1
		.amdhsa_uses_dynamic_stack 0
		.amdhsa_enable_private_segment 0
		.amdhsa_system_sgpr_workgroup_id_x 1
		.amdhsa_system_sgpr_workgroup_id_y 0
		.amdhsa_system_sgpr_workgroup_id_z 0
		.amdhsa_system_sgpr_workgroup_info 0
		.amdhsa_system_vgpr_workitem_id 0
		.amdhsa_next_free_vgpr 18
		.amdhsa_next_free_sgpr 16
		.amdhsa_reserve_vcc 1
		.amdhsa_float_round_mode_32 0
		.amdhsa_float_round_mode_16_64 0
		.amdhsa_float_denorm_mode_32 3
		.amdhsa_float_denorm_mode_16_64 3
		.amdhsa_dx10_clamp 1
		.amdhsa_ieee_mode 1
		.amdhsa_fp16_overflow 0
		.amdhsa_workgroup_processor_mode 1
		.amdhsa_memory_ordered 1
		.amdhsa_forward_progress 0
		.amdhsa_shared_vgpr_count 0
		.amdhsa_exception_fp_ieee_invalid_op 0
		.amdhsa_exception_fp_denorm_src 0
		.amdhsa_exception_fp_ieee_div_zero 0
		.amdhsa_exception_fp_ieee_overflow 0
		.amdhsa_exception_fp_ieee_underflow 0
		.amdhsa_exception_fp_ieee_inexact 0
		.amdhsa_exception_int_div_zero 0
	.end_amdhsa_kernel
	.section	.text._ZN5aiter24topk_softplus_kernel_optI12hip_bfloat16fLi64ELb1ELi1EEEvPKT_PKT0_PfPimiif,"axG",@progbits,_ZN5aiter24topk_softplus_kernel_optI12hip_bfloat16fLi64ELb1ELi1EEEvPKT_PKT0_PfPimiif,comdat
.Lfunc_end205:
	.size	_ZN5aiter24topk_softplus_kernel_optI12hip_bfloat16fLi64ELb1ELi1EEEvPKT_PKT0_PfPimiif, .Lfunc_end205-_ZN5aiter24topk_softplus_kernel_optI12hip_bfloat16fLi64ELb1ELi1EEEvPKT_PKT0_PfPimiif
                                        ; -- End function
	.section	.AMDGPU.csdata,"",@progbits
; Kernel info:
; codeLenInByte = 940
; NumSgprs: 18
; NumVgprs: 18
; ScratchSize: 0
; MemoryBound: 0
; FloatMode: 240
; IeeeMode: 1
; LDSByteSize: 0 bytes/workgroup (compile time only)
; SGPRBlocks: 2
; VGPRBlocks: 2
; NumSGPRsForWavesPerEU: 18
; NumVGPRsForWavesPerEU: 18
; Occupancy: 16
; WaveLimiterHint : 0
; COMPUTE_PGM_RSRC2:SCRATCH_EN: 0
; COMPUTE_PGM_RSRC2:USER_SGPR: 15
; COMPUTE_PGM_RSRC2:TRAP_HANDLER: 0
; COMPUTE_PGM_RSRC2:TGID_X_EN: 1
; COMPUTE_PGM_RSRC2:TGID_Y_EN: 0
; COMPUTE_PGM_RSRC2:TGID_Z_EN: 0
; COMPUTE_PGM_RSRC2:TIDIG_COMP_CNT: 0
	.section	.text._ZN5aiter24topk_softplus_kernel_optI12hip_bfloat16fLi64ELb0ELi1EEEvPKT_PKT0_PfPimiif,"axG",@progbits,_ZN5aiter24topk_softplus_kernel_optI12hip_bfloat16fLi64ELb0ELi1EEEvPKT_PKT0_PfPimiif,comdat
	.protected	_ZN5aiter24topk_softplus_kernel_optI12hip_bfloat16fLi64ELb0ELi1EEEvPKT_PKT0_PfPimiif ; -- Begin function _ZN5aiter24topk_softplus_kernel_optI12hip_bfloat16fLi64ELb0ELi1EEEvPKT_PKT0_PfPimiif
	.globl	_ZN5aiter24topk_softplus_kernel_optI12hip_bfloat16fLi64ELb0ELi1EEEvPKT_PKT0_PfPimiif
	.p2align	8
	.type	_ZN5aiter24topk_softplus_kernel_optI12hip_bfloat16fLi64ELb0ELi1EEEvPKT_PKT0_PfPimiif,@function
_ZN5aiter24topk_softplus_kernel_optI12hip_bfloat16fLi64ELb0ELi1EEEvPKT_PKT0_PfPimiif: ; @_ZN5aiter24topk_softplus_kernel_optI12hip_bfloat16fLi64ELb0ELi1EEEvPKT_PKT0_PfPimiif
; %bb.0:
	s_load_b128 s[4:7], s[0:1], 0x0
	s_lshl_b32 s2, s15, 6
	v_lshlrev_b32_e32 v1, 1, v0
	s_ashr_i32 s3, s2, 31
	s_delay_alu instid0(SALU_CYCLE_1)
	s_lshl_b64 s[2:3], s[2:3], 1
	s_waitcnt lgkmcnt(0)
	s_add_u32 s4, s4, s2
	s_addc_u32 s5, s5, s3
	s_cmp_lg_u64 s[6:7], 0
	global_load_u16 v2, v1, s[4:5]
	v_add_co_u32 v1, s3, s4, v1
	s_cselect_b32 s2, -1, 0
	s_waitcnt vmcnt(0)
	v_lshlrev_b32_e32 v2, 16, v2
	s_delay_alu instid0(VALU_DEP_1) | instskip(NEXT) | instid1(VALU_DEP_1)
	v_mul_f32_e32 v3, 0xbfb8aa3b, v2
	v_cmp_gt_f32_e32 vcc_lo, 0xc2fc0000, v3
	v_cndmask_b32_e64 v3, 0, 0x42800000, vcc_lo
	s_delay_alu instid0(VALU_DEP_1) | instskip(NEXT) | instid1(VALU_DEP_1)
	v_fmac_f32_e32 v3, 0xbfb8aa3b, v2
	v_exp_f32_e32 v2, v3
	v_cndmask_b32_e64 v3, 1.0, 0x1f800000, vcc_lo
	s_and_b32 vcc_lo, exec_lo, s2
	s_waitcnt_depctr 0xfff
	v_fma_f32 v2, v2, v3, 1.0
	v_lshlrev_b32_e32 v3, 2, v0
	s_delay_alu instid0(VALU_DEP_2)
	v_rcp_f32_e32 v9, v2
	v_add_co_ci_u32_e64 v2, null, s5, 0, s3
	s_waitcnt_depctr 0xfff
	v_mov_b32_e32 v7, v9
	s_cbranch_vccz .LBB206_2
; %bb.1:
	global_load_b32 v4, v3, s[6:7]
	s_waitcnt vmcnt(0)
	v_add_f32_e32 v7, v9, v4
.LBB206_2:
	global_load_u16 v1, v[1:2], off offset:64
	s_waitcnt vmcnt(0)
	v_lshlrev_b32_e32 v1, 16, v1
	s_delay_alu instid0(VALU_DEP_1) | instskip(NEXT) | instid1(VALU_DEP_1)
	v_mul_f32_e32 v2, 0xbfb8aa3b, v1
	v_cmp_gt_f32_e32 vcc_lo, 0xc2fc0000, v2
	v_cndmask_b32_e64 v2, 0, 0x42800000, vcc_lo
	s_delay_alu instid0(VALU_DEP_1) | instskip(NEXT) | instid1(VALU_DEP_1)
	v_fmac_f32_e32 v2, 0xbfb8aa3b, v1
	v_exp_f32_e32 v1, v2
	v_cndmask_b32_e64 v2, 1.0, 0x1f800000, vcc_lo
	s_and_not1_b32 vcc_lo, exec_lo, s2
	s_waitcnt_depctr 0xfff
	v_fma_f32 v1, v1, v2, 1.0
	s_delay_alu instid0(VALU_DEP_1)
	v_rcp_f32_e32 v2, v1
	s_waitcnt_depctr 0xfff
	v_mov_b32_e32 v8, v2
	s_cbranch_vccnz .LBB206_4
; %bb.3:
	global_load_b32 v1, v3, s[6:7] offset:128
	s_waitcnt vmcnt(0)
	v_add_f32_e32 v8, v2, v1
.LBB206_4:
	s_clause 0x1
	s_load_b32 s8, s[0:1], 0x28
	s_load_b128 s[4:7], s[0:1], 0x10
	v_mov_b32_e32 v1, 0
	s_waitcnt lgkmcnt(0)
	s_cmp_gt_i32 s8, 0
	s_cbranch_scc0 .LBB206_10
; %bb.5:
	v_cmp_lt_f32_e32 vcc_lo, v7, v8
	v_add_nc_u32_e32 v1, 32, v0
	s_mov_b32 s9, 0x76543210
	s_mov_b32 s10, s8
	v_mov_b32_e32 v10, 0
	v_cndmask_b32_e32 v6, v8, v7, vcc_lo
	v_dual_cndmask_b32 v4, v1, v0 :: v_dual_cndmask_b32 v5, v0, v1
	v_dual_cndmask_b32 v7, v7, v8 :: v_dual_cndmask_b32 v8, v2, v9
	v_dual_cndmask_b32 v9, v9, v2 :: v_dual_mov_b32 v2, 0
	v_mov_b32_e32 v11, v0
	v_mov_b32_e32 v1, 0
.LBB206_6:                              ; =>This Inner Loop Header: Depth=1
	v_cmp_eq_u32_e32 vcc_lo, 1, v10
	v_cmp_gt_u32_e64 s2, 2, v10
	v_cndmask_b32_e32 v12, v7, v6, vcc_lo
	s_delay_alu instid0(VALU_DEP_1)
	v_cndmask_b32_e64 v12, 0xff800000, v12, s2
	;;#ASMSTART
	v_max_f32 v13, v12, v12 quad_perm:[1,0,3,2] row_mask:0xf bank_mask:0xf bound_ctrl:1
	;;#ASMEND
	;;#ASMSTART
	v_max_f32 v14, v13, v13 quad_perm:[2,3,0,1] row_mask:0xf bank_mask:0xf bound_ctrl:1
	;;#ASMEND
	;;#ASMSTART
	v_max_f32 v13, v14, v14 row_half_mirror row_mask:0xf bank_mask:0xf bound_ctrl:1
	;;#ASMEND
	;;#ASMSTART
	v_max_f32 v14, v13, v13 row_mirror row_mask:0xf bank_mask:0xf bound_ctrl:1
	;;#ASMEND
	v_permlanex16_b32 v13, v14, s9, 0xfedcba98 op_sel:[1,1]
	s_delay_alu instid0(VALU_DEP_1) | instskip(NEXT) | instid1(VALU_DEP_1)
	v_dual_max_f32 v14, v14, v14 :: v_dual_max_f32 v13, v13, v13
	v_dual_max_f32 v13, v14, v13 :: v_dual_cndmask_b32 v14, v5, v4
	s_delay_alu instid0(VALU_DEP_1) | instskip(NEXT) | instid1(VALU_DEP_2)
	v_cmp_eq_f32_e64 s3, v12, v13
	v_cndmask_b32_e64 v12, 0, v14, s2
	s_delay_alu instid0(VALU_DEP_2)
	s_ctz_i32_b32 s11, s3
	s_cmp_lg_u32 s3, 0
	s_cselect_b32 s3, s11, 0
	s_add_i32 s10, s10, -1
	v_readlane_b32 s3, v12, s3
	v_cndmask_b32_e32 v12, v9, v8, vcc_lo
	s_delay_alu instid0(VALU_DEP_2) | instskip(SKIP_2) | instid1(VALU_DEP_2)
	v_cmp_eq_u32_e32 vcc_lo, s3, v14
	s_and_b32 vcc_lo, s2, vcc_lo
	s_and_b32 s2, s3, 31
	v_cndmask_b32_e32 v12, 0, v12, vcc_lo
	v_add_co_ci_u32_e32 v10, vcc_lo, 0, v10, vcc_lo
	s_cmp_eq_u32 s10, 0
	s_delay_alu instid0(VALU_DEP_2) | instskip(SKIP_2) | instid1(VALU_DEP_2)
	v_readlane_b32 s11, v12, s2
	v_cmp_eq_u32_e64 s2, 0, v11
	v_add_nc_u32_e32 v11, -1, v11
	v_cndmask_b32_e64 v2, v2, s11, s2
	v_cndmask_b32_e64 v1, v1, s3, s2
	s_cbranch_scc0 .LBB206_6
; %bb.7:
	s_mov_b32 s2, exec_lo
	v_cmpx_gt_i32_e64 s8, v0
	s_cbranch_execz .LBB206_9
.LBB206_8:
	s_clause 0x1
	s_load_b64 s[2:3], s[0:1], 0x20
	s_load_b32 s8, s[0:1], 0x30
	s_ashr_i32 s0, s15, 31
	s_waitcnt lgkmcnt(0)
	s_mul_i32 s1, s15, s3
	s_mul_hi_u32 s3, s15, s2
	s_mul_i32 s0, s0, s2
	s_add_i32 s1, s3, s1
	v_mul_f32_e32 v0, s8, v2
	s_add_i32 s1, s1, s0
	s_mul_i32 s0, s15, s2
	s_delay_alu instid0(SALU_CYCLE_1) | instskip(NEXT) | instid1(SALU_CYCLE_1)
	s_lshl_b64 s[0:1], s[0:1], 2
	s_add_u32 s2, s4, s0
	s_addc_u32 s3, s5, s1
	s_add_u32 s0, s6, s0
	s_addc_u32 s1, s7, s1
	s_clause 0x1
	global_store_b32 v3, v0, s[2:3]
	global_store_b32 v3, v1, s[0:1]
.LBB206_9:
	s_nop 0
	s_sendmsg sendmsg(MSG_DEALLOC_VGPRS)
	s_endpgm
.LBB206_10:
	v_mov_b32_e32 v2, 0
	s_mov_b32 s2, exec_lo
	v_cmpx_gt_i32_e64 s8, v0
	s_cbranch_execnz .LBB206_8
	s_branch .LBB206_9
	.section	.rodata,"a",@progbits
	.p2align	6, 0x0
	.amdhsa_kernel _ZN5aiter24topk_softplus_kernel_optI12hip_bfloat16fLi64ELb0ELi1EEEvPKT_PKT0_PfPimiif
		.amdhsa_group_segment_fixed_size 0
		.amdhsa_private_segment_fixed_size 0
		.amdhsa_kernarg_size 52
		.amdhsa_user_sgpr_count 15
		.amdhsa_user_sgpr_dispatch_ptr 0
		.amdhsa_user_sgpr_queue_ptr 0
		.amdhsa_user_sgpr_kernarg_segment_ptr 1
		.amdhsa_user_sgpr_dispatch_id 0
		.amdhsa_user_sgpr_private_segment_size 0
		.amdhsa_wavefront_size32 1
		.amdhsa_uses_dynamic_stack 0
		.amdhsa_enable_private_segment 0
		.amdhsa_system_sgpr_workgroup_id_x 1
		.amdhsa_system_sgpr_workgroup_id_y 0
		.amdhsa_system_sgpr_workgroup_id_z 0
		.amdhsa_system_sgpr_workgroup_info 0
		.amdhsa_system_vgpr_workitem_id 0
		.amdhsa_next_free_vgpr 15
		.amdhsa_next_free_sgpr 16
		.amdhsa_reserve_vcc 1
		.amdhsa_float_round_mode_32 0
		.amdhsa_float_round_mode_16_64 0
		.amdhsa_float_denorm_mode_32 3
		.amdhsa_float_denorm_mode_16_64 3
		.amdhsa_dx10_clamp 1
		.amdhsa_ieee_mode 1
		.amdhsa_fp16_overflow 0
		.amdhsa_workgroup_processor_mode 1
		.amdhsa_memory_ordered 1
		.amdhsa_forward_progress 0
		.amdhsa_shared_vgpr_count 0
		.amdhsa_exception_fp_ieee_invalid_op 0
		.amdhsa_exception_fp_denorm_src 0
		.amdhsa_exception_fp_ieee_div_zero 0
		.amdhsa_exception_fp_ieee_overflow 0
		.amdhsa_exception_fp_ieee_underflow 0
		.amdhsa_exception_fp_ieee_inexact 0
		.amdhsa_exception_int_div_zero 0
	.end_amdhsa_kernel
	.section	.text._ZN5aiter24topk_softplus_kernel_optI12hip_bfloat16fLi64ELb0ELi1EEEvPKT_PKT0_PfPimiif,"axG",@progbits,_ZN5aiter24topk_softplus_kernel_optI12hip_bfloat16fLi64ELb0ELi1EEEvPKT_PKT0_PfPimiif,comdat
.Lfunc_end206:
	.size	_ZN5aiter24topk_softplus_kernel_optI12hip_bfloat16fLi64ELb0ELi1EEEvPKT_PKT0_PfPimiif, .Lfunc_end206-_ZN5aiter24topk_softplus_kernel_optI12hip_bfloat16fLi64ELb0ELi1EEEvPKT_PKT0_PfPimiif
                                        ; -- End function
	.section	.AMDGPU.csdata,"",@progbits
; Kernel info:
; codeLenInByte = 840
; NumSgprs: 18
; NumVgprs: 15
; ScratchSize: 0
; MemoryBound: 0
; FloatMode: 240
; IeeeMode: 1
; LDSByteSize: 0 bytes/workgroup (compile time only)
; SGPRBlocks: 2
; VGPRBlocks: 1
; NumSGPRsForWavesPerEU: 18
; NumVGPRsForWavesPerEU: 15
; Occupancy: 16
; WaveLimiterHint : 0
; COMPUTE_PGM_RSRC2:SCRATCH_EN: 0
; COMPUTE_PGM_RSRC2:USER_SGPR: 15
; COMPUTE_PGM_RSRC2:TRAP_HANDLER: 0
; COMPUTE_PGM_RSRC2:TGID_X_EN: 1
; COMPUTE_PGM_RSRC2:TGID_Y_EN: 0
; COMPUTE_PGM_RSRC2:TGID_Z_EN: 0
; COMPUTE_PGM_RSRC2:TIDIG_COMP_CNT: 0
	.section	.text._ZN5aiter24topk_softplus_kernel_optI12hip_bfloat16fLi128ELb1ELi1EEEvPKT_PKT0_PfPimiif,"axG",@progbits,_ZN5aiter24topk_softplus_kernel_optI12hip_bfloat16fLi128ELb1ELi1EEEvPKT_PKT0_PfPimiif,comdat
	.protected	_ZN5aiter24topk_softplus_kernel_optI12hip_bfloat16fLi128ELb1ELi1EEEvPKT_PKT0_PfPimiif ; -- Begin function _ZN5aiter24topk_softplus_kernel_optI12hip_bfloat16fLi128ELb1ELi1EEEvPKT_PKT0_PfPimiif
	.globl	_ZN5aiter24topk_softplus_kernel_optI12hip_bfloat16fLi128ELb1ELi1EEEvPKT_PKT0_PfPimiif
	.p2align	8
	.type	_ZN5aiter24topk_softplus_kernel_optI12hip_bfloat16fLi128ELb1ELi1EEEvPKT_PKT0_PfPimiif,@function
_ZN5aiter24topk_softplus_kernel_optI12hip_bfloat16fLi128ELb1ELi1EEEvPKT_PKT0_PfPimiif: ; @_ZN5aiter24topk_softplus_kernel_optI12hip_bfloat16fLi128ELb1ELi1EEEvPKT_PKT0_PfPimiif
; %bb.0:
	s_load_b128 s[4:7], s[0:1], 0x0
	s_lshl_b32 s2, s15, 7
	v_lshlrev_b32_e32 v1, 1, v0
	s_ashr_i32 s3, s2, 31
	s_delay_alu instid0(SALU_CYCLE_1)
	s_lshl_b64 s[2:3], s[2:3], 1
	s_waitcnt lgkmcnt(0)
	s_add_u32 s4, s4, s2
	s_addc_u32 s5, s5, s3
	s_cmp_lg_u64 s[6:7], 0
	global_load_u16 v2, v1, s[4:5]
	v_add_co_u32 v1, s3, s4, v1
	s_cselect_b32 s2, -1, 0
	s_waitcnt vmcnt(0)
	v_lshlrev_b32_e32 v2, 16, v2
	s_delay_alu instid0(VALU_DEP_1) | instskip(NEXT) | instid1(VALU_DEP_1)
	v_mul_f32_e32 v3, 0xbfb8aa3b, v2
	v_cmp_gt_f32_e32 vcc_lo, 0xc2fc0000, v3
	v_cndmask_b32_e64 v3, 0, 0x42800000, vcc_lo
	s_delay_alu instid0(VALU_DEP_1) | instskip(NEXT) | instid1(VALU_DEP_1)
	v_fmac_f32_e32 v3, 0xbfb8aa3b, v2
	v_exp_f32_e32 v2, v3
	v_cndmask_b32_e64 v3, 1.0, 0x1f800000, vcc_lo
	s_and_b32 vcc_lo, exec_lo, s2
	s_waitcnt_depctr 0xfff
	v_fma_f32 v2, v2, v3, 1.0
	v_lshlrev_b32_e32 v3, 2, v0
	s_delay_alu instid0(VALU_DEP_2)
	v_rcp_f32_e32 v6, v2
	v_add_co_ci_u32_e64 v2, null, s5, 0, s3
	s_waitcnt_depctr 0xfff
	v_mov_b32_e32 v11, v6
	s_cbranch_vccz .LBB207_2
; %bb.1:
	global_load_b32 v4, v3, s[6:7]
	s_waitcnt vmcnt(0)
	v_add_f32_e32 v11, v6, v4
.LBB207_2:
	global_load_u16 v4, v[1:2], off offset:64
	s_waitcnt vmcnt(0)
	v_lshlrev_b32_e32 v4, 16, v4
	s_delay_alu instid0(VALU_DEP_1) | instskip(NEXT) | instid1(VALU_DEP_1)
	v_mul_f32_e32 v5, 0xbfb8aa3b, v4
	v_cmp_gt_f32_e32 vcc_lo, 0xc2fc0000, v5
	v_cndmask_b32_e64 v5, 0, 0x42800000, vcc_lo
	s_delay_alu instid0(VALU_DEP_1) | instskip(NEXT) | instid1(VALU_DEP_1)
	v_fmac_f32_e32 v5, 0xbfb8aa3b, v4
	v_exp_f32_e32 v4, v5
	v_cndmask_b32_e64 v5, 1.0, 0x1f800000, vcc_lo
	s_and_not1_b32 vcc_lo, exec_lo, s2
	s_waitcnt_depctr 0xfff
	v_fma_f32 v4, v4, v5, 1.0
	s_delay_alu instid0(VALU_DEP_1)
	v_rcp_f32_e32 v9, v4
	v_cndmask_b32_e64 v4, 0, 1, s2
	s_waitcnt_depctr 0xfff
	v_mov_b32_e32 v13, v9
	s_cbranch_vccnz .LBB207_4
; %bb.3:
	global_load_b32 v5, v3, s[6:7] offset:128
	s_waitcnt vmcnt(0)
	v_add_f32_e32 v13, v9, v5
.LBB207_4:
	global_load_u16 v5, v[1:2], off offset:128
	s_waitcnt vmcnt(0)
	v_lshlrev_b32_e32 v5, 16, v5
	s_delay_alu instid0(VALU_DEP_1) | instskip(NEXT) | instid1(VALU_DEP_1)
	v_mul_f32_e32 v7, 0xbfb8aa3b, v5
	v_cmp_gt_f32_e32 vcc_lo, 0xc2fc0000, v7
	v_cndmask_b32_e64 v7, 0, 0x42800000, vcc_lo
	s_delay_alu instid0(VALU_DEP_1) | instskip(NEXT) | instid1(VALU_DEP_1)
	v_fmac_f32_e32 v7, 0xbfb8aa3b, v5
	v_exp_f32_e32 v5, v7
	v_cndmask_b32_e64 v7, 1.0, 0x1f800000, vcc_lo
	v_cmp_ne_u32_e32 vcc_lo, 1, v4
	s_waitcnt_depctr 0xfff
	v_fma_f32 v5, v5, v7, 1.0
	s_delay_alu instid0(VALU_DEP_1)
	v_rcp_f32_e32 v5, v5
	s_waitcnt_depctr 0xfff
	v_mov_b32_e32 v7, v5
	s_cbranch_vccnz .LBB207_6
; %bb.5:
	global_load_b32 v7, v3, s[6:7] offset:256
	s_waitcnt vmcnt(0)
	v_add_f32_e32 v7, v5, v7
.LBB207_6:
	global_load_u16 v1, v[1:2], off offset:192
	s_waitcnt vmcnt(0)
	v_lshlrev_b32_e32 v1, 16, v1
	s_delay_alu instid0(VALU_DEP_1) | instskip(NEXT) | instid1(VALU_DEP_1)
	v_mul_f32_e32 v2, 0xbfb8aa3b, v1
	v_cmp_gt_f32_e32 vcc_lo, 0xc2fc0000, v2
	v_cndmask_b32_e64 v2, 0, 0x42800000, vcc_lo
	s_delay_alu instid0(VALU_DEP_1) | instskip(NEXT) | instid1(VALU_DEP_1)
	v_fmac_f32_e32 v2, 0xbfb8aa3b, v1
	v_exp_f32_e32 v1, v2
	v_cndmask_b32_e64 v2, 1.0, 0x1f800000, vcc_lo
	v_cmp_ne_u32_e32 vcc_lo, 1, v4
	s_waitcnt_depctr 0xfff
	v_fma_f32 v1, v1, v2, 1.0
	s_delay_alu instid0(VALU_DEP_1)
	v_rcp_f32_e32 v1, v1
	s_waitcnt_depctr 0xfff
	v_mov_b32_e32 v2, v1
	s_cbranch_vccnz .LBB207_8
; %bb.7:
	global_load_b32 v2, v3, s[6:7] offset:384
	s_waitcnt vmcnt(0)
	v_add_f32_e32 v2, v1, v2
.LBB207_8:
	v_cmp_lt_f32_e32 vcc_lo, v11, v13
	v_add_nc_u32_e32 v12, 32, v0
	v_add_nc_u32_e32 v14, 64, v0
	v_dual_mov_b32 v15, v7 :: v_dual_add_nc_u32 v4, 0x60, v0
	v_cndmask_b32_e32 v8, v9, v6, vcc_lo
	v_dual_cndmask_b32 v6, v6, v9 :: v_dual_cndmask_b32 v9, v13, v11
	v_cndmask_b32_e32 v10, v12, v0, vcc_lo
	v_dual_cndmask_b32 v12, v0, v12 :: v_dual_cndmask_b32 v11, v11, v13
	s_mov_b32 s2, exec_lo
	v_cmpx_lt_f32_e32 v7, v2
	s_xor_b32 s2, exec_lo, s2
; %bb.9:
	v_dual_mov_b32 v13, v5 :: v_dual_mov_b32 v16, v7
	v_mov_b32_e32 v15, v14
	v_swap_b32 v5, v1
	v_swap_b32 v14, v4
	v_mov_b32_e32 v7, v2
	v_dual_mov_b32 v15, v2 :: v_dual_mov_b32 v2, v16
; %bb.10:
	s_or_b32 exec_lo, exec_lo, s2
	s_delay_alu instid0(VALU_DEP_2)
	v_cmp_lt_f32_e32 vcc_lo, v11, v7
	s_mov_b32 s2, exec_lo
	v_dual_cndmask_b32 v16, v5, v6 :: v_dual_cndmask_b32 v5, v6, v5
	v_dual_cndmask_b32 v13, v14, v12 :: v_dual_cndmask_b32 v6, v12, v14
	v_dual_cndmask_b32 v14, v15, v11 :: v_dual_mov_b32 v15, v9
	v_cndmask_b32_e32 v7, v11, v7, vcc_lo
	v_cmpx_lt_f32_e32 v9, v2
; %bb.11:
	v_mov_b32_e32 v17, v9
	v_dual_mov_b32 v11, v8 :: v_dual_mov_b32 v12, v10
	v_swap_b32 v8, v1
	v_swap_b32 v10, v4
	v_mov_b32_e32 v9, v2
	v_dual_mov_b32 v15, v2 :: v_dual_mov_b32 v2, v17
; %bb.12:
	s_or_b32 exec_lo, exec_lo, s2
	s_clause 0x1
	s_load_b32 s8, s[0:1], 0x28
	s_load_b128 s[4:7], s[0:1], 0x10
	v_mov_b32_e32 v11, 0
	s_waitcnt lgkmcnt(0)
	s_cmp_lt_i32 s8, 1
	s_cbranch_scc1 .LBB207_18
; %bb.13:
	v_cmp_lt_f32_e32 vcc_lo, v9, v14
	v_mov_b32_e32 v18, v0
	s_mov_b32 s9, 0x76543210
	s_mov_b32 s10, s8
	v_dual_mov_b32 v11, 0 :: v_dual_cndmask_b32 v12, v13, v10
	v_cndmask_b32_e32 v10, v10, v13, vcc_lo
	v_dual_cndmask_b32 v13, v14, v9 :: v_dual_cndmask_b32 v14, v15, v14
	v_cndmask_b32_e32 v15, v16, v8, vcc_lo
	v_dual_cndmask_b32 v16, v8, v16 :: v_dual_mov_b32 v17, 0
	v_dual_mov_b32 v8, 0 :: v_dual_mov_b32 v9, 0
.LBB207_14:                             ; =>This Inner Loop Header: Depth=1
	s_delay_alu instid0(VALU_DEP_2) | instskip(SKIP_1) | instid1(VALU_DEP_4)
	v_cmp_eq_u32_e32 vcc_lo, 1, v17
	v_cmp_eq_u32_e64 s2, 2, v17
	v_dual_cndmask_b32 v20, v6, v10 :: v_dual_cndmask_b32 v21, v5, v16
	s_delay_alu instid0(VALU_DEP_1) | instskip(SKIP_2) | instid1(VALU_DEP_4)
	v_cndmask_b32_e64 v20, v20, v12, s2
	v_cndmask_b32_e32 v19, v7, v14, vcc_lo
	v_cmp_eq_u32_e32 vcc_lo, 3, v17
	v_cndmask_b32_e64 v21, v21, v15, s2
	s_delay_alu instid0(VALU_DEP_4) | instskip(NEXT) | instid1(VALU_DEP_4)
	v_cndmask_b32_e32 v20, v20, v4, vcc_lo
	v_cndmask_b32_e64 v19, v19, v13, s2
	v_cmp_gt_u32_e64 s2, 4, v17
	s_delay_alu instid0(VALU_DEP_2) | instskip(NEXT) | instid1(VALU_DEP_2)
	v_cndmask_b32_e32 v19, v19, v2, vcc_lo
	v_cndmask_b32_e64 v22, 0, v20, s2
	s_delay_alu instid0(VALU_DEP_2)
	v_cndmask_b32_e64 v19, 0xff800000, v19, s2
	;;#ASMSTART
	v_max_f32 v23, v19, v19 quad_perm:[1,0,3,2] row_mask:0xf bank_mask:0xf bound_ctrl:1
	;;#ASMEND
	;;#ASMSTART
	v_max_f32 v24, v23, v23 quad_perm:[2,3,0,1] row_mask:0xf bank_mask:0xf bound_ctrl:1
	;;#ASMEND
	;;#ASMSTART
	v_max_f32 v23, v24, v24 row_half_mirror row_mask:0xf bank_mask:0xf bound_ctrl:1
	;;#ASMEND
	;;#ASMSTART
	v_max_f32 v24, v23, v23 row_mirror row_mask:0xf bank_mask:0xf bound_ctrl:1
	;;#ASMEND
	v_permlanex16_b32 v23, v24, s9, 0xfedcba98 op_sel:[1,1]
	s_delay_alu instid0(VALU_DEP_1) | instskip(NEXT) | instid1(VALU_DEP_1)
	v_dual_max_f32 v24, v24, v24 :: v_dual_max_f32 v23, v23, v23
	v_max_f32_e32 v23, v24, v23
	s_delay_alu instid0(VALU_DEP_1) | instskip(SKIP_1) | instid1(VALU_DEP_2)
	v_cmp_eq_f32_e64 s3, v19, v23
	v_cndmask_b32_e32 v19, v21, v1, vcc_lo
	s_ctz_i32_b32 s11, s3
	s_cmp_lg_u32 s3, 0
	s_cselect_b32 s3, s11, 0
	s_add_i32 s10, s10, -1
	v_readlane_b32 s3, v22, s3
	s_delay_alu instid0(VALU_DEP_1)
	v_cmp_eq_u32_e32 vcc_lo, s3, v20
	s_and_b32 vcc_lo, s2, vcc_lo
	s_and_b32 s2, s3, 31
	v_cndmask_b32_e32 v19, 0, v19, vcc_lo
	v_add_co_ci_u32_e32 v17, vcc_lo, 0, v17, vcc_lo
	s_cmp_eq_u32 s10, 0
	s_delay_alu instid0(VALU_DEP_2) | instskip(SKIP_1) | instid1(VALU_DEP_2)
	v_readlane_b32 s11, v19, s2
	v_cmp_eq_u32_e64 s2, 0, v18
	v_dual_add_f32 v11, s11, v11 :: v_dual_add_nc_u32 v18, -1, v18
	s_delay_alu instid0(VALU_DEP_2)
	v_cndmask_b32_e64 v9, v9, s11, s2
	v_cndmask_b32_e64 v8, v8, s3, s2
	s_cbranch_scc0 .LBB207_14
; %bb.15:
	s_mov_b32 s2, exec_lo
	v_cmpx_gt_i32_e64 s8, v0
	s_cbranch_execz .LBB207_17
.LBB207_16:
	s_load_b32 s2, s[0:1], 0x30
	v_max_f32_e32 v0, v11, v11
	s_load_b64 s[0:1], s[0:1], 0x20
	s_ashr_i32 s3, s15, 31
	s_delay_alu instid0(VALU_DEP_1) | instskip(SKIP_1) | instid1(VALU_DEP_1)
	v_max_f32_e32 v0, 0x1e3ce508, v0
	s_waitcnt lgkmcnt(0)
	v_div_scale_f32 v1, null, v0, v0, s2
	v_div_scale_f32 v5, vcc_lo, s2, v0, s2
	s_mul_i32 s1, s15, s1
	s_delay_alu instid0(VALU_DEP_2)
	v_rcp_f32_e32 v2, v1
	s_mul_hi_u32 s8, s15, s0
	s_mul_i32 s3, s3, s0
	s_add_i32 s1, s8, s1
	s_mul_i32 s0, s15, s0
	s_add_i32 s1, s1, s3
	s_delay_alu instid0(SALU_CYCLE_1) | instskip(SKIP_2) | instid1(VALU_DEP_1)
	s_lshl_b64 s[0:1], s[0:1], 2
	s_waitcnt_depctr 0xfff
	v_fma_f32 v4, -v1, v2, 1.0
	v_fmac_f32_e32 v2, v4, v2
	s_delay_alu instid0(VALU_DEP_1) | instskip(NEXT) | instid1(VALU_DEP_1)
	v_mul_f32_e32 v4, v5, v2
	v_fma_f32 v6, -v1, v4, v5
	s_delay_alu instid0(VALU_DEP_1) | instskip(NEXT) | instid1(VALU_DEP_1)
	v_fmac_f32_e32 v4, v6, v2
	v_fma_f32 v1, -v1, v4, v5
	s_delay_alu instid0(VALU_DEP_1) | instskip(NEXT) | instid1(VALU_DEP_1)
	v_div_fmas_f32 v1, v1, v2, v4
	v_div_fixup_f32 v0, v1, v0, s2
	s_add_u32 s2, s4, s0
	s_addc_u32 s3, s5, s1
	s_add_u32 s0, s6, s0
	s_addc_u32 s1, s7, s1
	v_mul_f32_e32 v0, v9, v0
	s_clause 0x1
	global_store_b32 v3, v0, s[2:3]
	global_store_b32 v3, v8, s[0:1]
.LBB207_17:
	s_nop 0
	s_sendmsg sendmsg(MSG_DEALLOC_VGPRS)
	s_endpgm
.LBB207_18:
	v_dual_mov_b32 v8, 0 :: v_dual_mov_b32 v9, 0
	s_mov_b32 s2, exec_lo
	v_cmpx_gt_i32_e64 s8, v0
	s_cbranch_execnz .LBB207_16
	s_branch .LBB207_17
	.section	.rodata,"a",@progbits
	.p2align	6, 0x0
	.amdhsa_kernel _ZN5aiter24topk_softplus_kernel_optI12hip_bfloat16fLi128ELb1ELi1EEEvPKT_PKT0_PfPimiif
		.amdhsa_group_segment_fixed_size 0
		.amdhsa_private_segment_fixed_size 0
		.amdhsa_kernarg_size 52
		.amdhsa_user_sgpr_count 15
		.amdhsa_user_sgpr_dispatch_ptr 0
		.amdhsa_user_sgpr_queue_ptr 0
		.amdhsa_user_sgpr_kernarg_segment_ptr 1
		.amdhsa_user_sgpr_dispatch_id 0
		.amdhsa_user_sgpr_private_segment_size 0
		.amdhsa_wavefront_size32 1
		.amdhsa_uses_dynamic_stack 0
		.amdhsa_enable_private_segment 0
		.amdhsa_system_sgpr_workgroup_id_x 1
		.amdhsa_system_sgpr_workgroup_id_y 0
		.amdhsa_system_sgpr_workgroup_id_z 0
		.amdhsa_system_sgpr_workgroup_info 0
		.amdhsa_system_vgpr_workitem_id 0
		.amdhsa_next_free_vgpr 25
		.amdhsa_next_free_sgpr 16
		.amdhsa_reserve_vcc 1
		.amdhsa_float_round_mode_32 0
		.amdhsa_float_round_mode_16_64 0
		.amdhsa_float_denorm_mode_32 3
		.amdhsa_float_denorm_mode_16_64 3
		.amdhsa_dx10_clamp 1
		.amdhsa_ieee_mode 1
		.amdhsa_fp16_overflow 0
		.amdhsa_workgroup_processor_mode 1
		.amdhsa_memory_ordered 1
		.amdhsa_forward_progress 0
		.amdhsa_shared_vgpr_count 0
		.amdhsa_exception_fp_ieee_invalid_op 0
		.amdhsa_exception_fp_denorm_src 0
		.amdhsa_exception_fp_ieee_div_zero 0
		.amdhsa_exception_fp_ieee_overflow 0
		.amdhsa_exception_fp_ieee_underflow 0
		.amdhsa_exception_fp_ieee_inexact 0
		.amdhsa_exception_int_div_zero 0
	.end_amdhsa_kernel
	.section	.text._ZN5aiter24topk_softplus_kernel_optI12hip_bfloat16fLi128ELb1ELi1EEEvPKT_PKT0_PfPimiif,"axG",@progbits,_ZN5aiter24topk_softplus_kernel_optI12hip_bfloat16fLi128ELb1ELi1EEEvPKT_PKT0_PfPimiif,comdat
.Lfunc_end207:
	.size	_ZN5aiter24topk_softplus_kernel_optI12hip_bfloat16fLi128ELb1ELi1EEEvPKT_PKT0_PfPimiif, .Lfunc_end207-_ZN5aiter24topk_softplus_kernel_optI12hip_bfloat16fLi128ELb1ELi1EEEvPKT_PKT0_PfPimiif
                                        ; -- End function
	.section	.AMDGPU.csdata,"",@progbits
; Kernel info:
; codeLenInByte = 1456
; NumSgprs: 18
; NumVgprs: 25
; ScratchSize: 0
; MemoryBound: 0
; FloatMode: 240
; IeeeMode: 1
; LDSByteSize: 0 bytes/workgroup (compile time only)
; SGPRBlocks: 2
; VGPRBlocks: 3
; NumSGPRsForWavesPerEU: 18
; NumVGPRsForWavesPerEU: 25
; Occupancy: 16
; WaveLimiterHint : 0
; COMPUTE_PGM_RSRC2:SCRATCH_EN: 0
; COMPUTE_PGM_RSRC2:USER_SGPR: 15
; COMPUTE_PGM_RSRC2:TRAP_HANDLER: 0
; COMPUTE_PGM_RSRC2:TGID_X_EN: 1
; COMPUTE_PGM_RSRC2:TGID_Y_EN: 0
; COMPUTE_PGM_RSRC2:TGID_Z_EN: 0
; COMPUTE_PGM_RSRC2:TIDIG_COMP_CNT: 0
	.section	.text._ZN5aiter24topk_softplus_kernel_optI12hip_bfloat16fLi128ELb0ELi1EEEvPKT_PKT0_PfPimiif,"axG",@progbits,_ZN5aiter24topk_softplus_kernel_optI12hip_bfloat16fLi128ELb0ELi1EEEvPKT_PKT0_PfPimiif,comdat
	.protected	_ZN5aiter24topk_softplus_kernel_optI12hip_bfloat16fLi128ELb0ELi1EEEvPKT_PKT0_PfPimiif ; -- Begin function _ZN5aiter24topk_softplus_kernel_optI12hip_bfloat16fLi128ELb0ELi1EEEvPKT_PKT0_PfPimiif
	.globl	_ZN5aiter24topk_softplus_kernel_optI12hip_bfloat16fLi128ELb0ELi1EEEvPKT_PKT0_PfPimiif
	.p2align	8
	.type	_ZN5aiter24topk_softplus_kernel_optI12hip_bfloat16fLi128ELb0ELi1EEEvPKT_PKT0_PfPimiif,@function
_ZN5aiter24topk_softplus_kernel_optI12hip_bfloat16fLi128ELb0ELi1EEEvPKT_PKT0_PfPimiif: ; @_ZN5aiter24topk_softplus_kernel_optI12hip_bfloat16fLi128ELb0ELi1EEEvPKT_PKT0_PfPimiif
; %bb.0:
	s_load_b128 s[4:7], s[0:1], 0x0
	s_lshl_b32 s2, s15, 7
	v_lshlrev_b32_e32 v1, 1, v0
	s_ashr_i32 s3, s2, 31
	s_delay_alu instid0(SALU_CYCLE_1)
	s_lshl_b64 s[2:3], s[2:3], 1
	s_waitcnt lgkmcnt(0)
	s_add_u32 s4, s4, s2
	s_addc_u32 s5, s5, s3
	s_cmp_lg_u64 s[6:7], 0
	global_load_u16 v2, v1, s[4:5]
	v_add_co_u32 v1, s3, s4, v1
	s_cselect_b32 s2, -1, 0
	s_waitcnt vmcnt(0)
	v_lshlrev_b32_e32 v2, 16, v2
	s_delay_alu instid0(VALU_DEP_1) | instskip(NEXT) | instid1(VALU_DEP_1)
	v_mul_f32_e32 v3, 0xbfb8aa3b, v2
	v_cmp_gt_f32_e32 vcc_lo, 0xc2fc0000, v3
	v_cndmask_b32_e64 v3, 0, 0x42800000, vcc_lo
	s_delay_alu instid0(VALU_DEP_1) | instskip(NEXT) | instid1(VALU_DEP_1)
	v_fmac_f32_e32 v3, 0xbfb8aa3b, v2
	v_exp_f32_e32 v2, v3
	v_cndmask_b32_e64 v3, 1.0, 0x1f800000, vcc_lo
	s_and_b32 vcc_lo, exec_lo, s2
	s_waitcnt_depctr 0xfff
	v_fma_f32 v2, v2, v3, 1.0
	v_lshlrev_b32_e32 v3, 2, v0
	s_delay_alu instid0(VALU_DEP_2)
	v_rcp_f32_e32 v6, v2
	v_add_co_ci_u32_e64 v2, null, s5, 0, s3
	s_waitcnt_depctr 0xfff
	v_mov_b32_e32 v11, v6
	s_cbranch_vccz .LBB208_2
; %bb.1:
	global_load_b32 v4, v3, s[6:7]
	s_waitcnt vmcnt(0)
	v_add_f32_e32 v11, v6, v4
.LBB208_2:
	global_load_u16 v4, v[1:2], off offset:64
	s_waitcnt vmcnt(0)
	v_lshlrev_b32_e32 v4, 16, v4
	s_delay_alu instid0(VALU_DEP_1) | instskip(NEXT) | instid1(VALU_DEP_1)
	v_mul_f32_e32 v5, 0xbfb8aa3b, v4
	v_cmp_gt_f32_e32 vcc_lo, 0xc2fc0000, v5
	v_cndmask_b32_e64 v5, 0, 0x42800000, vcc_lo
	s_delay_alu instid0(VALU_DEP_1) | instskip(NEXT) | instid1(VALU_DEP_1)
	v_fmac_f32_e32 v5, 0xbfb8aa3b, v4
	v_exp_f32_e32 v4, v5
	v_cndmask_b32_e64 v5, 1.0, 0x1f800000, vcc_lo
	s_and_not1_b32 vcc_lo, exec_lo, s2
	s_waitcnt_depctr 0xfff
	v_fma_f32 v4, v4, v5, 1.0
	s_delay_alu instid0(VALU_DEP_1)
	v_rcp_f32_e32 v9, v4
	v_cndmask_b32_e64 v4, 0, 1, s2
	s_waitcnt_depctr 0xfff
	v_mov_b32_e32 v12, v9
	s_cbranch_vccnz .LBB208_4
; %bb.3:
	global_load_b32 v5, v3, s[6:7] offset:128
	s_waitcnt vmcnt(0)
	v_add_f32_e32 v12, v9, v5
.LBB208_4:
	global_load_u16 v5, v[1:2], off offset:128
	s_waitcnt vmcnt(0)
	v_lshlrev_b32_e32 v5, 16, v5
	s_delay_alu instid0(VALU_DEP_1) | instskip(NEXT) | instid1(VALU_DEP_1)
	v_mul_f32_e32 v7, 0xbfb8aa3b, v5
	v_cmp_gt_f32_e32 vcc_lo, 0xc2fc0000, v7
	v_cndmask_b32_e64 v7, 0, 0x42800000, vcc_lo
	s_delay_alu instid0(VALU_DEP_1) | instskip(NEXT) | instid1(VALU_DEP_1)
	v_fmac_f32_e32 v7, 0xbfb8aa3b, v5
	v_exp_f32_e32 v5, v7
	v_cndmask_b32_e64 v7, 1.0, 0x1f800000, vcc_lo
	v_cmp_ne_u32_e32 vcc_lo, 1, v4
	s_waitcnt_depctr 0xfff
	v_fma_f32 v5, v5, v7, 1.0
	s_delay_alu instid0(VALU_DEP_1)
	v_rcp_f32_e32 v5, v5
	s_waitcnt_depctr 0xfff
	v_mov_b32_e32 v7, v5
	s_cbranch_vccnz .LBB208_6
; %bb.5:
	global_load_b32 v7, v3, s[6:7] offset:256
	s_waitcnt vmcnt(0)
	v_add_f32_e32 v7, v5, v7
.LBB208_6:
	global_load_u16 v1, v[1:2], off offset:192
	s_waitcnt vmcnt(0)
	v_lshlrev_b32_e32 v1, 16, v1
	s_delay_alu instid0(VALU_DEP_1) | instskip(NEXT) | instid1(VALU_DEP_1)
	v_mul_f32_e32 v2, 0xbfb8aa3b, v1
	v_cmp_gt_f32_e32 vcc_lo, 0xc2fc0000, v2
	v_cndmask_b32_e64 v2, 0, 0x42800000, vcc_lo
	s_delay_alu instid0(VALU_DEP_1) | instskip(NEXT) | instid1(VALU_DEP_1)
	v_fmac_f32_e32 v2, 0xbfb8aa3b, v1
	v_exp_f32_e32 v1, v2
	v_cndmask_b32_e64 v2, 1.0, 0x1f800000, vcc_lo
	v_cmp_ne_u32_e32 vcc_lo, 1, v4
	s_waitcnt_depctr 0xfff
	v_fma_f32 v1, v1, v2, 1.0
	s_delay_alu instid0(VALU_DEP_1)
	v_rcp_f32_e32 v1, v1
	s_waitcnt_depctr 0xfff
	v_mov_b32_e32 v2, v1
	s_cbranch_vccnz .LBB208_8
; %bb.7:
	global_load_b32 v2, v3, s[6:7] offset:384
	s_waitcnt vmcnt(0)
	v_add_f32_e32 v2, v1, v2
.LBB208_8:
	v_cmp_lt_f32_e32 vcc_lo, v11, v12
	v_add_nc_u32_e32 v13, 32, v0
	v_add_nc_u32_e32 v4, 0x60, v0
	v_mov_b32_e32 v16, v7
	s_mov_b32 s2, exec_lo
	v_cndmask_b32_e32 v8, v9, v6, vcc_lo
	v_add_nc_u32_e32 v14, 64, v0
	v_cndmask_b32_e32 v6, v6, v9, vcc_lo
	v_dual_cndmask_b32 v10, v13, v0 :: v_dual_cndmask_b32 v13, v0, v13
	v_cndmask_b32_e32 v9, v12, v11, vcc_lo
	v_cndmask_b32_e32 v11, v11, v12, vcc_lo
	v_cmpx_lt_f32_e32 v7, v2
	s_xor_b32 s2, exec_lo, s2
; %bb.9:
	v_dual_mov_b32 v17, v7 :: v_dual_mov_b32 v16, v2
	v_dual_mov_b32 v12, v5 :: v_dual_mov_b32 v15, v14
	v_swap_b32 v5, v1
	v_swap_b32 v14, v4
	s_delay_alu instid0(VALU_DEP_4)
	v_dual_mov_b32 v7, v2 :: v_dual_mov_b32 v2, v17
; %bb.10:
	s_or_b32 exec_lo, exec_lo, s2
	s_delay_alu instid0(VALU_DEP_1) | instskip(SKIP_1) | instid1(VALU_DEP_3)
	v_cmp_lt_f32_e32 vcc_lo, v11, v7
	s_mov_b32 s2, exec_lo
	v_dual_cndmask_b32 v15, v5, v6 :: v_dual_cndmask_b32 v12, v14, v13
	v_dual_cndmask_b32 v5, v6, v5 :: v_dual_cndmask_b32 v6, v13, v14
	v_dual_cndmask_b32 v13, v16, v11 :: v_dual_mov_b32 v14, v9
	v_cndmask_b32_e32 v7, v11, v7, vcc_lo
	v_cmpx_lt_f32_e32 v9, v2
; %bb.11:
	v_dual_mov_b32 v16, v9 :: v_dual_mov_b32 v9, v2
	v_dual_mov_b32 v11, v8 :: v_dual_mov_b32 v14, v10
	v_swap_b32 v8, v1
	v_swap_b32 v10, v4
	v_mov_b32_e32 v14, v2
	v_mov_b32_e32 v2, v16
; %bb.12:
	s_or_b32 exec_lo, exec_lo, s2
	s_clause 0x1
	s_load_b32 s8, s[0:1], 0x28
	s_load_b128 s[4:7], s[0:1], 0x10
	s_waitcnt lgkmcnt(0)
	s_cmp_lt_i32 s8, 1
	s_cbranch_scc1 .LBB208_18
; %bb.13:
	v_cmp_lt_f32_e32 vcc_lo, v9, v13
	v_dual_mov_b32 v16, 0 :: v_dual_mov_b32 v17, v0
	s_mov_b32 s9, 0x76543210
	s_mov_b32 s10, s8
	v_dual_cndmask_b32 v11, v12, v10 :: v_dual_cndmask_b32 v10, v10, v12
	v_cndmask_b32_e32 v12, v13, v9, vcc_lo
	v_dual_cndmask_b32 v13, v14, v13 :: v_dual_cndmask_b32 v14, v15, v8
	v_cndmask_b32_e32 v15, v8, v15, vcc_lo
	v_dual_mov_b32 v9, 0 :: v_dual_mov_b32 v8, 0
.LBB208_14:                             ; =>This Inner Loop Header: Depth=1
	v_cmp_eq_u32_e32 vcc_lo, 1, v16
	v_cmp_eq_u32_e64 s2, 2, v16
	v_cmp_gt_u32_e64 s3, 4, v16
	v_dual_cndmask_b32 v18, v7, v13 :: v_dual_cndmask_b32 v19, v6, v10
	v_cndmask_b32_e32 v20, v5, v15, vcc_lo
	v_cmp_eq_u32_e32 vcc_lo, 3, v16
	s_delay_alu instid0(VALU_DEP_3) | instskip(NEXT) | instid1(VALU_DEP_4)
	v_cndmask_b32_e64 v18, v18, v12, s2
	v_cndmask_b32_e64 v19, v19, v11, s2
	s_delay_alu instid0(VALU_DEP_1) | instskip(NEXT) | instid1(VALU_DEP_1)
	v_dual_cndmask_b32 v18, v18, v2 :: v_dual_cndmask_b32 v19, v19, v4
	v_cndmask_b32_e64 v18, 0xff800000, v18, s3
	;;#ASMSTART
	v_max_f32 v21, v18, v18 quad_perm:[1,0,3,2] row_mask:0xf bank_mask:0xf bound_ctrl:1
	;;#ASMEND
	;;#ASMSTART
	v_max_f32 v22, v21, v21 quad_perm:[2,3,0,1] row_mask:0xf bank_mask:0xf bound_ctrl:1
	;;#ASMEND
	;;#ASMSTART
	v_max_f32 v21, v22, v22 row_half_mirror row_mask:0xf bank_mask:0xf bound_ctrl:1
	;;#ASMEND
	;;#ASMSTART
	v_max_f32 v22, v21, v21 row_mirror row_mask:0xf bank_mask:0xf bound_ctrl:1
	;;#ASMEND
	v_permlanex16_b32 v21, v22, s9, 0xfedcba98 op_sel:[1,1]
	s_delay_alu instid0(VALU_DEP_1) | instskip(NEXT) | instid1(VALU_DEP_1)
	v_dual_max_f32 v22, v22, v22 :: v_dual_max_f32 v21, v21, v21
	v_max_f32_e32 v21, v22, v21
	v_cndmask_b32_e64 v20, v20, v14, s2
	s_delay_alu instid0(VALU_DEP_2) | instskip(SKIP_1) | instid1(VALU_DEP_2)
	v_cmp_eq_f32_e64 s2, v18, v21
	v_cndmask_b32_e64 v18, 0, v19, s3
	s_ctz_i32_b32 s11, s2
	s_cmp_lg_u32 s2, 0
	s_cselect_b32 s2, s11, 0
	s_add_i32 s10, s10, -1
	v_readlane_b32 s11, v18, s2
	v_cndmask_b32_e32 v18, v20, v1, vcc_lo
	s_delay_alu instid0(VALU_DEP_2)
	v_cmp_eq_u32_e32 vcc_lo, s11, v19
	s_and_b32 s2, s11, 31
	s_and_b32 vcc_lo, s3, vcc_lo
	s_cmp_eq_u32 s10, 0
	v_cndmask_b32_e32 v18, 0, v18, vcc_lo
	v_add_co_ci_u32_e32 v16, vcc_lo, 0, v16, vcc_lo
	s_delay_alu instid0(VALU_DEP_2) | instskip(SKIP_2) | instid1(VALU_DEP_2)
	v_readlane_b32 s3, v18, s2
	v_cmp_eq_u32_e64 s2, 0, v17
	v_add_nc_u32_e32 v17, -1, v17
	v_cndmask_b32_e64 v9, v9, s3, s2
	v_cndmask_b32_e64 v8, v8, s11, s2
	s_cbranch_scc0 .LBB208_14
; %bb.15:
	s_mov_b32 s2, exec_lo
	v_cmpx_gt_i32_e64 s8, v0
	s_cbranch_execz .LBB208_17
.LBB208_16:
	s_clause 0x1
	s_load_b64 s[2:3], s[0:1], 0x20
	s_load_b32 s8, s[0:1], 0x30
	s_ashr_i32 s0, s15, 31
	s_waitcnt lgkmcnt(0)
	s_mul_i32 s1, s15, s3
	s_mul_hi_u32 s3, s15, s2
	s_mul_i32 s0, s0, s2
	s_add_i32 s1, s3, s1
	v_mul_f32_e32 v0, s8, v9
	s_add_i32 s1, s1, s0
	s_mul_i32 s0, s15, s2
	s_delay_alu instid0(SALU_CYCLE_1) | instskip(NEXT) | instid1(SALU_CYCLE_1)
	s_lshl_b64 s[0:1], s[0:1], 2
	s_add_u32 s2, s4, s0
	s_addc_u32 s3, s5, s1
	s_add_u32 s0, s6, s0
	s_addc_u32 s1, s7, s1
	s_clause 0x1
	global_store_b32 v3, v0, s[2:3]
	global_store_b32 v3, v8, s[0:1]
.LBB208_17:
	s_nop 0
	s_sendmsg sendmsg(MSG_DEALLOC_VGPRS)
	s_endpgm
.LBB208_18:
	v_dual_mov_b32 v8, 0 :: v_dual_mov_b32 v9, 0
	s_mov_b32 s2, exec_lo
	v_cmpx_gt_i32_e64 s8, v0
	s_cbranch_execnz .LBB208_16
	s_branch .LBB208_17
	.section	.rodata,"a",@progbits
	.p2align	6, 0x0
	.amdhsa_kernel _ZN5aiter24topk_softplus_kernel_optI12hip_bfloat16fLi128ELb0ELi1EEEvPKT_PKT0_PfPimiif
		.amdhsa_group_segment_fixed_size 0
		.amdhsa_private_segment_fixed_size 0
		.amdhsa_kernarg_size 52
		.amdhsa_user_sgpr_count 15
		.amdhsa_user_sgpr_dispatch_ptr 0
		.amdhsa_user_sgpr_queue_ptr 0
		.amdhsa_user_sgpr_kernarg_segment_ptr 1
		.amdhsa_user_sgpr_dispatch_id 0
		.amdhsa_user_sgpr_private_segment_size 0
		.amdhsa_wavefront_size32 1
		.amdhsa_uses_dynamic_stack 0
		.amdhsa_enable_private_segment 0
		.amdhsa_system_sgpr_workgroup_id_x 1
		.amdhsa_system_sgpr_workgroup_id_y 0
		.amdhsa_system_sgpr_workgroup_id_z 0
		.amdhsa_system_sgpr_workgroup_info 0
		.amdhsa_system_vgpr_workitem_id 0
		.amdhsa_next_free_vgpr 23
		.amdhsa_next_free_sgpr 16
		.amdhsa_reserve_vcc 1
		.amdhsa_float_round_mode_32 0
		.amdhsa_float_round_mode_16_64 0
		.amdhsa_float_denorm_mode_32 3
		.amdhsa_float_denorm_mode_16_64 3
		.amdhsa_dx10_clamp 1
		.amdhsa_ieee_mode 1
		.amdhsa_fp16_overflow 0
		.amdhsa_workgroup_processor_mode 1
		.amdhsa_memory_ordered 1
		.amdhsa_forward_progress 0
		.amdhsa_shared_vgpr_count 0
		.amdhsa_exception_fp_ieee_invalid_op 0
		.amdhsa_exception_fp_denorm_src 0
		.amdhsa_exception_fp_ieee_div_zero 0
		.amdhsa_exception_fp_ieee_overflow 0
		.amdhsa_exception_fp_ieee_underflow 0
		.amdhsa_exception_fp_ieee_inexact 0
		.amdhsa_exception_int_div_zero 0
	.end_amdhsa_kernel
	.section	.text._ZN5aiter24topk_softplus_kernel_optI12hip_bfloat16fLi128ELb0ELi1EEEvPKT_PKT0_PfPimiif,"axG",@progbits,_ZN5aiter24topk_softplus_kernel_optI12hip_bfloat16fLi128ELb0ELi1EEEvPKT_PKT0_PfPimiif,comdat
.Lfunc_end208:
	.size	_ZN5aiter24topk_softplus_kernel_optI12hip_bfloat16fLi128ELb0ELi1EEEvPKT_PKT0_PfPimiif, .Lfunc_end208-_ZN5aiter24topk_softplus_kernel_optI12hip_bfloat16fLi128ELb0ELi1EEEvPKT_PKT0_PfPimiif
                                        ; -- End function
	.section	.AMDGPU.csdata,"",@progbits
; Kernel info:
; codeLenInByte = 1328
; NumSgprs: 18
; NumVgprs: 23
; ScratchSize: 0
; MemoryBound: 0
; FloatMode: 240
; IeeeMode: 1
; LDSByteSize: 0 bytes/workgroup (compile time only)
; SGPRBlocks: 2
; VGPRBlocks: 2
; NumSGPRsForWavesPerEU: 18
; NumVGPRsForWavesPerEU: 23
; Occupancy: 16
; WaveLimiterHint : 0
; COMPUTE_PGM_RSRC2:SCRATCH_EN: 0
; COMPUTE_PGM_RSRC2:USER_SGPR: 15
; COMPUTE_PGM_RSRC2:TRAP_HANDLER: 0
; COMPUTE_PGM_RSRC2:TGID_X_EN: 1
; COMPUTE_PGM_RSRC2:TGID_Y_EN: 0
; COMPUTE_PGM_RSRC2:TGID_Z_EN: 0
; COMPUTE_PGM_RSRC2:TIDIG_COMP_CNT: 0
	.section	.text._ZN5aiter24topk_softplus_kernel_optI12hip_bfloat16fLi256ELb1ELi1EEEvPKT_PKT0_PfPimiif,"axG",@progbits,_ZN5aiter24topk_softplus_kernel_optI12hip_bfloat16fLi256ELb1ELi1EEEvPKT_PKT0_PfPimiif,comdat
	.protected	_ZN5aiter24topk_softplus_kernel_optI12hip_bfloat16fLi256ELb1ELi1EEEvPKT_PKT0_PfPimiif ; -- Begin function _ZN5aiter24topk_softplus_kernel_optI12hip_bfloat16fLi256ELb1ELi1EEEvPKT_PKT0_PfPimiif
	.globl	_ZN5aiter24topk_softplus_kernel_optI12hip_bfloat16fLi256ELb1ELi1EEEvPKT_PKT0_PfPimiif
	.p2align	8
	.type	_ZN5aiter24topk_softplus_kernel_optI12hip_bfloat16fLi256ELb1ELi1EEEvPKT_PKT0_PfPimiif,@function
_ZN5aiter24topk_softplus_kernel_optI12hip_bfloat16fLi256ELb1ELi1EEEvPKT_PKT0_PfPimiif: ; @_ZN5aiter24topk_softplus_kernel_optI12hip_bfloat16fLi256ELb1ELi1EEEvPKT_PKT0_PfPimiif
; %bb.0:
	s_load_b128 s[4:7], s[0:1], 0x0
	s_lshl_b32 s2, s15, 8
	v_lshlrev_b32_e32 v1, 1, v0
	s_ashr_i32 s3, s2, 31
	v_lshlrev_b32_e32 v103, 2, v0
	s_lshl_b64 s[2:3], s[2:3], 1
	s_waitcnt lgkmcnt(0)
	s_add_u32 s4, s4, s2
	s_addc_u32 s5, s5, s3
	s_cmp_lg_u64 s[6:7], 0
	global_load_u16 v2, v1, s[4:5]
	s_cselect_b32 s2, -1, 0
	s_waitcnt vmcnt(0)
	v_lshlrev_b32_e32 v2, 16, v2
	s_delay_alu instid0(VALU_DEP_1) | instskip(NEXT) | instid1(VALU_DEP_1)
	v_mul_f32_e32 v3, 0xbfb8aa3b, v2
	v_cmp_gt_f32_e32 vcc_lo, 0xc2fc0000, v3
	v_cndmask_b32_e64 v3, 0, 0x42800000, vcc_lo
	s_delay_alu instid0(VALU_DEP_1) | instskip(NEXT) | instid1(VALU_DEP_1)
	v_fmac_f32_e32 v3, 0xbfb8aa3b, v2
	v_exp_f32_e32 v2, v3
	v_cndmask_b32_e64 v3, 1.0, 0x1f800000, vcc_lo
	s_and_b32 vcc_lo, exec_lo, s2
	s_waitcnt_depctr 0xfff
	v_fma_f32 v2, v2, v3, 1.0
	s_delay_alu instid0(VALU_DEP_1) | instskip(SKIP_3) | instid1(VALU_DEP_1)
	v_rcp_f32_e32 v48, v2
	s_waitcnt_depctr 0xfff
	v_mov_b32_e32 v32, v48
	v_add_co_u32 v1, s3, s4, v1
	v_add_co_ci_u32_e64 v2, null, s5, 0, s3
	s_cbranch_vccz .LBB209_2
; %bb.1:
	global_load_b32 v3, v103, s[6:7]
	s_waitcnt vmcnt(0)
	v_add_f32_e32 v32, v48, v3
.LBB209_2:
	global_load_u16 v3, v[1:2], off offset:64
	s_waitcnt vmcnt(0)
	v_lshlrev_b32_e32 v3, 16, v3
	s_delay_alu instid0(VALU_DEP_1) | instskip(NEXT) | instid1(VALU_DEP_1)
	v_mul_f32_e32 v4, 0xbfb8aa3b, v3
	v_cmp_gt_f32_e32 vcc_lo, 0xc2fc0000, v4
	v_cndmask_b32_e64 v4, 0, 0x42800000, vcc_lo
	s_delay_alu instid0(VALU_DEP_1) | instskip(NEXT) | instid1(VALU_DEP_1)
	v_fmac_f32_e32 v4, 0xbfb8aa3b, v3
	v_exp_f32_e32 v3, v4
	v_cndmask_b32_e64 v4, 1.0, 0x1f800000, vcc_lo
	s_and_not1_b32 vcc_lo, exec_lo, s2
	s_waitcnt_depctr 0xfff
	v_fma_f32 v3, v3, v4, 1.0
	s_delay_alu instid0(VALU_DEP_1)
	v_rcp_f32_e32 v17, v3
	v_cndmask_b32_e64 v3, 0, 1, s2
	s_waitcnt_depctr 0xfff
	v_mov_b32_e32 v33, v17
	s_cbranch_vccnz .LBB209_4
; %bb.3:
	global_load_b32 v4, v103, s[6:7] offset:128
	s_waitcnt vmcnt(0)
	v_add_f32_e32 v33, v17, v4
.LBB209_4:
	global_load_u16 v4, v[1:2], off offset:128
	s_waitcnt vmcnt(0)
	v_lshlrev_b32_e32 v4, 16, v4
	s_delay_alu instid0(VALU_DEP_1) | instskip(NEXT) | instid1(VALU_DEP_1)
	v_mul_f32_e32 v5, 0xbfb8aa3b, v4
	v_cmp_gt_f32_e32 vcc_lo, 0xc2fc0000, v5
	v_cndmask_b32_e64 v5, 0, 0x42800000, vcc_lo
	s_delay_alu instid0(VALU_DEP_1) | instskip(NEXT) | instid1(VALU_DEP_1)
	v_fmac_f32_e32 v5, 0xbfb8aa3b, v4
	v_exp_f32_e32 v4, v5
	v_cndmask_b32_e64 v5, 1.0, 0x1f800000, vcc_lo
	v_cmp_ne_u32_e32 vcc_lo, 1, v3
	s_waitcnt_depctr 0xfff
	v_fma_f32 v4, v4, v5, 1.0
	s_delay_alu instid0(VALU_DEP_1)
	v_rcp_f32_e32 v18, v4
	s_waitcnt_depctr 0xfff
	v_mov_b32_e32 v34, v18
	s_cbranch_vccnz .LBB209_6
; %bb.5:
	global_load_b32 v4, v103, s[6:7] offset:256
	s_waitcnt vmcnt(0)
	v_add_f32_e32 v34, v18, v4
.LBB209_6:
	global_load_u16 v4, v[1:2], off offset:192
	s_waitcnt vmcnt(0)
	v_lshlrev_b32_e32 v4, 16, v4
	s_delay_alu instid0(VALU_DEP_1) | instskip(NEXT) | instid1(VALU_DEP_1)
	v_mul_f32_e32 v5, 0xbfb8aa3b, v4
	v_cmp_gt_f32_e32 vcc_lo, 0xc2fc0000, v5
	v_cndmask_b32_e64 v5, 0, 0x42800000, vcc_lo
	s_delay_alu instid0(VALU_DEP_1) | instskip(NEXT) | instid1(VALU_DEP_1)
	v_fmac_f32_e32 v5, 0xbfb8aa3b, v4
	v_exp_f32_e32 v4, v5
	v_cndmask_b32_e64 v5, 1.0, 0x1f800000, vcc_lo
	v_cmp_ne_u32_e32 vcc_lo, 1, v3
	s_waitcnt_depctr 0xfff
	v_fma_f32 v4, v4, v5, 1.0
	s_delay_alu instid0(VALU_DEP_1)
	v_rcp_f32_e32 v19, v4
	s_waitcnt_depctr 0xfff
	v_mov_b32_e32 v35, v19
	s_cbranch_vccnz .LBB209_8
; %bb.7:
	global_load_b32 v4, v103, s[6:7] offset:384
	s_waitcnt vmcnt(0)
	v_add_f32_e32 v35, v19, v4
.LBB209_8:
	global_load_u16 v4, v[1:2], off offset:256
	s_waitcnt vmcnt(0)
	v_lshlrev_b32_e32 v4, 16, v4
	s_delay_alu instid0(VALU_DEP_1) | instskip(NEXT) | instid1(VALU_DEP_1)
	v_mul_f32_e32 v5, 0xbfb8aa3b, v4
	v_cmp_gt_f32_e32 vcc_lo, 0xc2fc0000, v5
	v_cndmask_b32_e64 v5, 0, 0x42800000, vcc_lo
	s_delay_alu instid0(VALU_DEP_1) | instskip(NEXT) | instid1(VALU_DEP_1)
	v_fmac_f32_e32 v5, 0xbfb8aa3b, v4
	v_exp_f32_e32 v4, v5
	v_cndmask_b32_e64 v5, 1.0, 0x1f800000, vcc_lo
	v_cmp_ne_u32_e32 vcc_lo, 1, v3
	s_waitcnt_depctr 0xfff
	v_fma_f32 v4, v4, v5, 1.0
	s_delay_alu instid0(VALU_DEP_1)
	v_rcp_f32_e32 v20, v4
	s_waitcnt_depctr 0xfff
	v_mov_b32_e32 v36, v20
	s_cbranch_vccnz .LBB209_10
; %bb.9:
	global_load_b32 v4, v103, s[6:7] offset:512
	s_waitcnt vmcnt(0)
	v_add_f32_e32 v36, v20, v4
.LBB209_10:
	global_load_u16 v4, v[1:2], off offset:320
	s_waitcnt vmcnt(0)
	v_lshlrev_b32_e32 v4, 16, v4
	s_delay_alu instid0(VALU_DEP_1) | instskip(NEXT) | instid1(VALU_DEP_1)
	v_mul_f32_e32 v5, 0xbfb8aa3b, v4
	v_cmp_gt_f32_e32 vcc_lo, 0xc2fc0000, v5
	v_cndmask_b32_e64 v5, 0, 0x42800000, vcc_lo
	s_delay_alu instid0(VALU_DEP_1) | instskip(NEXT) | instid1(VALU_DEP_1)
	v_fmac_f32_e32 v5, 0xbfb8aa3b, v4
	v_exp_f32_e32 v4, v5
	v_cndmask_b32_e64 v5, 1.0, 0x1f800000, vcc_lo
	v_cmp_ne_u32_e32 vcc_lo, 1, v3
	s_waitcnt_depctr 0xfff
	v_fma_f32 v4, v4, v5, 1.0
	s_delay_alu instid0(VALU_DEP_1)
	v_rcp_f32_e32 v21, v4
	s_waitcnt_depctr 0xfff
	v_mov_b32_e32 v37, v21
	s_cbranch_vccnz .LBB209_12
; %bb.11:
	global_load_b32 v4, v103, s[6:7] offset:640
	s_waitcnt vmcnt(0)
	v_add_f32_e32 v37, v21, v4
.LBB209_12:
	global_load_u16 v4, v[1:2], off offset:384
	s_waitcnt vmcnt(0)
	v_lshlrev_b32_e32 v4, 16, v4
	s_delay_alu instid0(VALU_DEP_1) | instskip(NEXT) | instid1(VALU_DEP_1)
	v_mul_f32_e32 v5, 0xbfb8aa3b, v4
	v_cmp_gt_f32_e32 vcc_lo, 0xc2fc0000, v5
	v_cndmask_b32_e64 v5, 0, 0x42800000, vcc_lo
	s_delay_alu instid0(VALU_DEP_1) | instskip(NEXT) | instid1(VALU_DEP_1)
	v_fmac_f32_e32 v5, 0xbfb8aa3b, v4
	v_exp_f32_e32 v4, v5
	v_cndmask_b32_e64 v5, 1.0, 0x1f800000, vcc_lo
	v_cmp_ne_u32_e32 vcc_lo, 1, v3
	s_waitcnt_depctr 0xfff
	v_fma_f32 v4, v4, v5, 1.0
	s_delay_alu instid0(VALU_DEP_1)
	v_rcp_f32_e32 v22, v4
	s_waitcnt_depctr 0xfff
	v_mov_b32_e32 v38, v22
	s_cbranch_vccnz .LBB209_14
; %bb.13:
	global_load_b32 v4, v103, s[6:7] offset:768
	s_waitcnt vmcnt(0)
	v_add_f32_e32 v38, v22, v4
.LBB209_14:
	global_load_u16 v1, v[1:2], off offset:448
	s_waitcnt vmcnt(0)
	v_lshlrev_b32_e32 v1, 16, v1
	s_delay_alu instid0(VALU_DEP_1) | instskip(NEXT) | instid1(VALU_DEP_1)
	v_mul_f32_e32 v2, 0xbfb8aa3b, v1
	v_cmp_gt_f32_e32 vcc_lo, 0xc2fc0000, v2
	v_cndmask_b32_e64 v2, 0, 0x42800000, vcc_lo
	s_delay_alu instid0(VALU_DEP_1) | instskip(NEXT) | instid1(VALU_DEP_1)
	v_fmac_f32_e32 v2, 0xbfb8aa3b, v1
	v_exp_f32_e32 v1, v2
	v_cndmask_b32_e64 v2, 1.0, 0x1f800000, vcc_lo
	v_cmp_ne_u32_e32 vcc_lo, 1, v3
	s_waitcnt_depctr 0xfff
	v_fma_f32 v1, v1, v2, 1.0
	s_delay_alu instid0(VALU_DEP_1)
	v_rcp_f32_e32 v23, v1
	s_cbranch_vccnz .LBB209_16
; %bb.15:
	global_load_b32 v1, v103, s[6:7] offset:896
	s_waitcnt vmcnt(0)
	v_add_f32_e32 v39, v23, v1
	s_branch .LBB209_17
.LBB209_16:
	s_waitcnt_depctr 0xfff
	v_mov_b32_e32 v39, v23
.LBB209_17:
	v_add_nc_u32_e32 v7, 0xe0, v0
	v_dual_mov_b32 v8, v32 :: v_dual_add_nc_u32 v1, 32, v0
	v_dual_mov_b32 v9, v33 :: v_dual_add_nc_u32 v2, 64, v0
	;; [unrolled: 1-line block ×6, first 2 shown]
	v_dual_mov_b32 v14, v38 :: v_dual_mov_b32 v31, v7
	s_delay_alu instid0(VALU_DEP_2)
	v_dual_mov_b32 v47, v7 :: v_dual_mov_b32 v46, v6
	v_dual_mov_b32 v78, v7 :: v_dual_mov_b32 v77, v6
	;; [unrolled: 1-line block ×9, first 2 shown]
	v_mov_b32_e32 v40, v0
	v_dual_mov_b32 v76, v5 :: v_dual_mov_b32 v75, v4
	v_dual_mov_b32 v74, v3 :: v_dual_mov_b32 v73, v2
	;; [unrolled: 1-line block ×7, first 2 shown]
	s_mov_b32 s2, exec_lo
	v_cmpx_lt_f32_e32 v32, v33
	s_xor_b32 s2, exec_lo, s2
	s_cbranch_execz .LBB209_19
; %bb.18:
	v_dual_mov_b32 v30, v6 :: v_dual_mov_b32 v31, v7
	v_dual_mov_b32 v24, v1 :: v_dual_mov_b32 v25, v0
	;; [unrolled: 1-line block ×4, first 2 shown]
	s_delay_alu instid0(VALU_DEP_4)
	v_dual_mov_b32 v47, v31 :: v_dual_mov_b32 v46, v30
	v_dual_mov_b32 v78, v31 :: v_dual_mov_b32 v77, v30
	;; [unrolled: 1-line block ×17, first 2 shown]
	v_mov_b32_e32 v17, v48
	v_mov_b32_e32 v1, v0
.LBB209_19:
	s_or_b32 exec_lo, exec_lo, s2
	v_dual_mov_b32 v62, v23 :: v_dual_mov_b32 v61, v22
	v_dual_mov_b32 v86, v23 :: v_dual_mov_b32 v85, v22
	;; [unrolled: 1-line block ×16, first 2 shown]
	v_mov_b32_e32 v32, v10
	s_mov_b32 s2, exec_lo
	v_cmpx_lt_f32_e32 v33, v10
	s_cbranch_execz .LBB209_21
; %bb.20:
	v_dual_mov_b32 v70, v31 :: v_dual_mov_b32 v69, v30
	v_dual_mov_b32 v64, v25 :: v_dual_mov_b32 v63, v24
	;; [unrolled: 1-line block ×13, first 2 shown]
	v_mov_b32_e32 v74, v3
	v_dual_mov_b32 v87, v95 :: v_dual_mov_b32 v88, v96
	v_dual_mov_b32 v76, v68 :: v_dual_mov_b32 v75, v67
	;; [unrolled: 1-line block ×5, first 2 shown]
	v_mov_b32_e32 v90, v19
	v_dual_mov_b32 v40, v71 :: v_dual_mov_b32 v45, v76
	v_mov_b32_e32 v41, v72
	v_dual_mov_b32 v43, v74 :: v_dual_mov_b32 v46, v77
	;; [unrolled: 2-line block ×3, first 2 shown]
	v_dual_mov_b32 v42, v73 :: v_dual_mov_b32 v47, v78
	v_dual_mov_b32 v44, v4 :: v_dual_mov_b32 v81, v89
	;; [unrolled: 1-line block ×5, first 2 shown]
	v_mov_b32_e32 v84, v92
	v_mov_b32_e32 v86, v94
	v_dual_mov_b32 v24, v40 :: v_dual_mov_b32 v29, v45
	v_dual_mov_b32 v30, v46 :: v_dual_mov_b32 v25, v41
	;; [unrolled: 1-line block ×6, first 2 shown]
	v_mov_b32_e32 v61, v22
	v_mov_b32_e32 v62, v86
	v_dual_mov_b32 v28, v44 :: v_dual_mov_b32 v29, v5
	v_dual_mov_b32 v31, v7 :: v_dual_mov_b32 v32, v33
	v_dual_mov_b32 v59, v83 :: v_dual_mov_b32 v56, v80
	v_mov_b32_e32 v57, v81
	v_mov_b32_e32 v60, v21
	;; [unrolled: 1-line block ×5, first 2 shown]
.LBB209_21:
	s_or_b32 exec_lo, exec_lo, s2
	v_mov_b32_e32 v1, v11
	s_mov_b32 s2, exec_lo
	v_cmpx_lt_f32_e32 v32, v11
	s_cbranch_execz .LBB209_23
; %bb.22:
	v_mov_b32_e32 v97, v19
	v_mov_b32_e32 v65, v3
	v_dual_mov_b32 v87, v95 :: v_dual_mov_b32 v88, v96
	v_mov_b32_e32 v78, v70
	v_dual_mov_b32 v92, v100 :: v_dual_mov_b32 v71, v63
	v_dual_mov_b32 v90, v98 :: v_dual_mov_b32 v91, v99
	;; [unrolled: 1-line block ×8, first 2 shown]
	v_mov_b32_e32 v80, v88
	s_delay_alu instid0(VALU_DEP_3)
	v_dual_mov_b32 v40, v71 :: v_dual_mov_b32 v41, v72
	v_dual_mov_b32 v83, v91 :: v_dual_mov_b32 v84, v92
	;; [unrolled: 1-line block ×20, first 2 shown]
	v_mov_b32_e32 v1, v32
	v_mov_b32_e32 v19, v18
	;; [unrolled: 1-line block ×3, first 2 shown]
.LBB209_23:
	s_or_b32 exec_lo, exec_lo, s2
	v_mov_b32_e32 v2, v12
	s_mov_b32 s2, exec_lo
	v_cmpx_lt_f32_e32 v1, v12
	s_cbranch_execz .LBB209_25
; %bb.24:
	v_mov_b32_e32 v98, v20
	v_dual_mov_b32 v66, v4 :: v_dual_mov_b32 v79, v95
	v_dual_mov_b32 v40, v63 :: v_dual_mov_b32 v41, v64
	;; [unrolled: 1-line block ×3, first 2 shown]
	s_delay_alu instid0(VALU_DEP_3)
	v_dual_mov_b32 v43, v66 :: v_dual_mov_b32 v80, v96
	v_mov_b32_e32 v81, v97
	v_dual_mov_b32 v46, v69 :: v_dual_mov_b32 v83, v99
	v_dual_mov_b32 v42, v65 :: v_dual_mov_b32 v45, v68
	;; [unrolled: 1-line block ×5, first 2 shown]
	v_mov_b32_e32 v44, v3
	v_dual_mov_b32 v55, v79 :: v_dual_mov_b32 v56, v80
	v_dual_mov_b32 v57, v81 :: v_dual_mov_b32 v24, v40
	;; [unrolled: 1-line block ×10, first 2 shown]
	v_mov_b32_e32 v73, v65
	v_dual_mov_b32 v12, v1 :: v_dual_mov_b32 v27, v43
	v_dual_mov_b32 v60, v21 :: v_dual_mov_b32 v61, v22
	;; [unrolled: 1-line block ×8, first 2 shown]
	v_mov_b32_e32 v74, v66
	v_mov_b32_e32 v72, v64
	;; [unrolled: 1-line block ×5, first 2 shown]
.LBB209_25:
	s_or_b32 exec_lo, exec_lo, s2
	v_mov_b32_e32 v1, v13
	s_mov_b32 s2, exec_lo
	v_cmpx_lt_f32_e32 v2, v13
	s_cbranch_execz .LBB209_27
; %bb.26:
	v_mov_b32_e32 v75, v5
	v_dual_mov_b32 v91, v21 :: v_dual_mov_b32 v24, v71
	v_mov_b32_e32 v30, v77
	v_mov_b32_e32 v30, v6
	;; [unrolled: 1-line block ×4, first 2 shown]
	v_dual_mov_b32 v55, v87 :: v_dual_mov_b32 v60, v92
	v_dual_mov_b32 v79, v87 :: v_dual_mov_b32 v82, v90
	;; [unrolled: 1-line block ×17, first 2 shown]
	v_mov_b32_e32 v21, v20
	v_mov_b32_e32 v5, v4
	;; [unrolled: 1-line block ×4, first 2 shown]
.LBB209_27:
	s_or_b32 exec_lo, exec_lo, s2
	v_mov_b32_e32 v2, v14
	s_mov_b32 s2, exec_lo
	v_cmpx_lt_f32_e32 v1, v14
	s_cbranch_execz .LBB209_29
; %bb.28:
	v_dual_mov_b32 v45, v6 :: v_dual_mov_b32 v46, v5
	v_dual_mov_b32 v84, v22 :: v_dual_mov_b32 v85, v21
	;; [unrolled: 1-line block ×12, first 2 shown]
	v_mov_b32_e32 v2, v1
.LBB209_29:
	s_or_b32 exec_lo, exec_lo, s2
	s_delay_alu instid0(VALU_DEP_1)
	v_cmp_lt_f32_e32 vcc_lo, v2, v15
	v_dual_mov_b32 v40, v56 :: v_dual_mov_b32 v43, v59
	v_cmp_lt_f32_e64 s2, v8, v9
	v_dual_mov_b32 v41, v57 :: v_dual_mov_b32 v42, v58
	v_dual_cndmask_b32 v23, v15, v2 :: v_dual_cndmask_b32 v14, v14, v15
	v_dual_cndmask_b32 v46, v62, v61 :: v_dual_mov_b32 v39, v55
	s_delay_alu instid0(VALU_DEP_2) | instskip(SKIP_3) | instid1(VALU_DEP_4)
	v_dual_mov_b32 v44, v60 :: v_dual_mov_b32 v15, v23
	v_cndmask_b32_e32 v45, v61, v62, vcc_lo
	v_dual_cndmask_b32 v54, v31, v30 :: v_dual_cndmask_b32 v53, v30, v31
	v_dual_mov_b32 v47, v24 :: v_dual_mov_b32 v50, v27
	v_mov_b32_e32 v22, v15
	v_dual_mov_b32 v21, v14 :: v_dual_mov_b32 v20, v13
	v_dual_mov_b32 v19, v12 :: v_dual_mov_b32 v18, v11
	;; [unrolled: 1-line block ×5, first 2 shown]
	v_mov_b32_e32 v51, v28
	s_and_saveexec_b32 s3, s2
	s_delay_alu instid0(SALU_CYCLE_1)
	s_xor_b32 s2, exec_lo, s3
	s_cbranch_execz .LBB209_31
; %bb.30:
	v_dual_mov_b32 v16, v9 :: v_dual_mov_b32 v17, v8
	v_dual_mov_b32 v18, v10 :: v_dual_mov_b32 v19, v11
	;; [unrolled: 1-line block ×4, first 2 shown]
	s_delay_alu instid0(VALU_DEP_4)
	v_dual_mov_b32 v15, v16 :: v_dual_mov_b32 v40, v55
	v_dual_mov_b32 v16, v17 :: v_dual_mov_b32 v39, v56
	;; [unrolled: 1-line block ×10, first 2 shown]
.LBB209_31:
	s_or_b32 exec_lo, exec_lo, s2
	v_dual_mov_b32 v31, v39 :: v_dual_mov_b32 v32, v40
	v_dual_mov_b32 v78, v46 :: v_dual_mov_b32 v77, v45
	;; [unrolled: 1-line block ×22, first 2 shown]
	v_mov_b32_e32 v10, v17
	s_mov_b32 s2, exec_lo
	v_dual_mov_b32 v76, v44 :: v_dual_mov_b32 v75, v43
	v_dual_mov_b32 v68, v52 :: v_dual_mov_b32 v67, v51
	v_cmpx_lt_f32_e32 v9, v17
	s_cbranch_execz .LBB209_33
; %bb.32:
	v_dual_mov_b32 v1, v47 :: v_dual_mov_b32 v2, v48
	v_dual_mov_b32 v7, v53 :: v_dual_mov_b32 v8, v54
	v_mov_b32_e32 v2, v49
	v_dual_mov_b32 v3, v49 :: v_dual_mov_b32 v4, v50
	v_dual_mov_b32 v5, v51 :: v_dual_mov_b32 v6, v52
	;; [unrolled: 1-line block ×7, first 2 shown]
	v_mov_b32_e32 v57, v40
	v_dual_mov_b32 v70, v8 :: v_dual_mov_b32 v69, v7
	v_dual_mov_b32 v64, v2 :: v_dual_mov_b32 v63, v1
	;; [unrolled: 1-line block ×6, first 2 shown]
	v_mov_b32_e32 v66, v50
	v_dual_mov_b32 v16, v17 :: v_dual_mov_b32 v75, v59
	v_dual_mov_b32 v17, v9 :: v_dual_mov_b32 v76, v60
	;; [unrolled: 1-line block ×17, first 2 shown]
.LBB209_33:
	s_or_b32 exec_lo, exec_lo, s2
	v_mov_b32_e32 v9, v18
	s_mov_b32 s2, exec_lo
	s_delay_alu instid0(VALU_DEP_2)
	v_cmpx_lt_f32_e32 v10, v18
	s_cbranch_execz .LBB209_35
; %bb.34:
	v_mov_b32_e32 v3, v50
	v_dual_mov_b32 v57, v42 :: v_dual_mov_b32 v70, v8
	v_mov_b32_e32 v66, v4
	v_dual_mov_b32 v78, v62 :: v_dual_mov_b32 v77, v61
	v_mov_b32_e32 v66, v49
	v_mov_b32_e32 v63, v1
	;; [unrolled: 1-line block ×3, first 2 shown]
	v_dual_mov_b32 v69, v7 :: v_dual_mov_b32 v68, v6
	v_dual_mov_b32 v67, v5 :: v_dual_mov_b32 v64, v2
	;; [unrolled: 1-line block ×4, first 2 shown]
	v_mov_b32_e32 v65, v3
	v_dual_mov_b32 v73, v57 :: v_dual_mov_b32 v72, v56
	v_mov_b32_e32 v74, v41
	v_dual_mov_b32 v18, v10 :: v_dual_mov_b32 v23, v63
	v_dual_mov_b32 v24, v64 :: v_dual_mov_b32 v31, v71
	s_delay_alu instid0(VALU_DEP_4)
	v_dual_mov_b32 v32, v72 :: v_dual_mov_b32 v27, v67
	v_dual_mov_b32 v28, v68 :: v_dual_mov_b32 v29, v69
	;; [unrolled: 1-line block ×10, first 2 shown]
	v_mov_b32_e32 v38, v46
	v_dual_mov_b32 v9, v10 :: v_dual_mov_b32 v42, v41
	v_mov_b32_e32 v50, v49
.LBB209_35:
	s_or_b32 exec_lo, exec_lo, s2
	v_mov_b32_e32 v4, v19
	s_mov_b32 s2, exec_lo
	v_cmpx_lt_f32_e32 v9, v19
	s_cbranch_execz .LBB209_37
; %bb.36:
	v_mov_b32_e32 v4, v51
	v_dual_mov_b32 v18, v19 :: v_dual_mov_b32 v19, v9
	v_mov_b32_e32 v58, v43
	v_dual_mov_b32 v30, v8 :: v_dual_mov_b32 v29, v7
	v_dual_mov_b32 v28, v6 :: v_dual_mov_b32 v25, v3
	v_dual_mov_b32 v23, v1 :: v_dual_mov_b32 v28, v52
	v_mov_b32_e32 v31, v55
	v_dual_mov_b32 v27, v5 :: v_dual_mov_b32 v32, v56
	v_dual_mov_b32 v35, v59 :: v_dual_mov_b32 v34, v58
	;; [unrolled: 4-line block ×3, first 2 shown]
	v_dual_mov_b32 v70, v8 :: v_dual_mov_b32 v65, v3
	v_dual_mov_b32 v26, v4 :: v_dual_mov_b32 v27, v50
	;; [unrolled: 1-line block ×11, first 2 shown]
	v_mov_b32_e32 v64, v2
	v_dual_mov_b32 v4, v9 :: v_dual_mov_b32 v51, v50
.LBB209_37:
	s_or_b32 exec_lo, exec_lo, s2
	v_mov_b32_e32 v1, v20
	s_mov_b32 s2, exec_lo
	s_delay_alu instid0(VALU_DEP_2)
	v_cmpx_lt_f32_e32 v4, v20
	s_cbranch_execz .LBB209_39
; %bb.38:
	v_dual_mov_b32 v67, v52 :: v_dual_mov_b32 v68, v51
	v_dual_mov_b32 v69, v53 :: v_dual_mov_b32 v76, v43
	;; [unrolled: 1-line block ×4, first 2 shown]
	v_mov_b32_e32 v19, v20
	v_dual_mov_b32 v20, v4 :: v_dual_mov_b32 v31, v71
	v_dual_mov_b32 v23, v63 :: v_dual_mov_b32 v24, v64
	v_dual_mov_b32 v32, v72 :: v_dual_mov_b32 v33, v73
	v_dual_mov_b32 v34, v74 :: v_dual_mov_b32 v35, v75
	v_dual_mov_b32 v36, v76 :: v_dual_mov_b32 v37, v77
	v_dual_mov_b32 v38, v78 :: v_dual_mov_b32 v25, v65
	v_dual_mov_b32 v26, v66 :: v_dual_mov_b32 v27, v67
	v_dual_mov_b32 v28, v68 :: v_dual_mov_b32 v29, v69
	v_dual_mov_b32 v30, v70 :: v_dual_mov_b32 v1, v4
.LBB209_39:
	s_or_b32 exec_lo, exec_lo, s2
	s_delay_alu instid0(VALU_DEP_1)
	v_cmp_lt_f32_e32 vcc_lo, v1, v21
	v_mov_b32_e32 v4, v18
	v_mov_b32_e32 v8, v22
	s_mov_b32 s2, exec_lo
	v_dual_mov_b32 v2, v16 :: v_dual_cndmask_b32 v9, v37, v36
	v_cndmask_b32_e32 v36, v36, v37, vcc_lo
	v_cndmask_b32_e32 v10, v29, v28, vcc_lo
	v_dual_cndmask_b32 v28, v28, v29 :: v_dual_mov_b32 v3, v17
	v_cndmask_b32_e32 v7, v21, v1, vcc_lo
	v_dual_cndmask_b32 v6, v20, v21 :: v_dual_mov_b32 v5, v19
	v_mov_b32_e32 v1, v15
	v_cmpx_lt_f32_e32 v15, v16
	s_cbranch_execz .LBB209_41
; %bb.40:
	s_delay_alu instid0(VALU_DEP_2)
	v_dual_mov_b32 v39, v2 :: v_dual_mov_b32 v40, v1
	v_dual_mov_b32 v41, v3 :: v_dual_mov_b32 v42, v4
	;; [unrolled: 1-line block ×4, first 2 shown]
	v_mov_b32_e32 v11, v31
	v_mov_b32_e32 v12, v23
	v_dual_mov_b32 v1, v39 :: v_dual_mov_b32 v4, v42
	v_swap_b32 v31, v32
	v_swap_b32 v23, v24
	v_dual_mov_b32 v2, v40 :: v_dual_mov_b32 v3, v41
	v_dual_mov_b32 v5, v43 :: v_dual_mov_b32 v6, v44
	;; [unrolled: 1-line block ×3, first 2 shown]
	v_mov_b32_e32 v16, v15
.LBB209_41:
	s_or_b32 exec_lo, exec_lo, s2
	v_mov_b32_e32 v29, v10
	v_dual_mov_b32 v37, v9 :: v_dual_mov_b32 v54, v30
	v_mov_b32_e32 v46, v38
	v_dual_mov_b32 v44, v36 :: v_dual_mov_b32 v39, v31
	v_dual_mov_b32 v70, v38 :: v_dual_mov_b32 v49, v25
	s_delay_alu instid0(VALU_DEP_4)
	v_dual_mov_b32 v62, v30 :: v_dual_mov_b32 v45, v37
	v_dual_mov_b32 v43, v35 :: v_dual_mov_b32 v42, v34
	v_dual_mov_b32 v41, v33 :: v_dual_mov_b32 v40, v32
	v_dual_mov_b32 v69, v37 :: v_dual_mov_b32 v68, v36
	v_dual_mov_b32 v67, v35 :: v_dual_mov_b32 v66, v34
	v_dual_mov_b32 v65, v33 :: v_dual_mov_b32 v64, v32
	v_dual_mov_b32 v63, v31 :: v_dual_mov_b32 v52, v28
	v_dual_mov_b32 v53, v29 :: v_dual_mov_b32 v50, v26
	v_dual_mov_b32 v51, v27 :: v_dual_mov_b32 v48, v24
	v_dual_mov_b32 v47, v23 :: v_dual_mov_b32 v60, v28
	v_dual_mov_b32 v61, v29 :: v_dual_mov_b32 v58, v26
	v_dual_mov_b32 v59, v27 :: v_dual_mov_b32 v56, v24
	v_mov_b32_e32 v57, v25
	v_mov_b32_e32 v55, v23
	;; [unrolled: 1-line block ×3, first 2 shown]
	s_mov_b32 s2, exec_lo
	v_cmpx_lt_f32_e32 v16, v3
	s_cbranch_execz .LBB209_43
; %bb.42:
	v_dual_mov_b32 v62, v30 :: v_dual_mov_b32 v61, v29
	v_dual_mov_b32 v58, v26 :: v_dual_mov_b32 v57, v25
	;; [unrolled: 1-line block ×7, first 2 shown]
	s_delay_alu instid0(VALU_DEP_4)
	v_dual_mov_b32 v47, v55 :: v_dual_mov_b32 v48, v56
	v_dual_mov_b32 v68, v36 :: v_dual_mov_b32 v67, v35
	v_dual_mov_b32 v66, v34 :: v_dual_mov_b32 v65, v33
	v_dual_mov_b32 v49, v57 :: v_dual_mov_b32 v50, v58
	v_dual_mov_b32 v50, v26 :: v_dual_mov_b32 v65, v32
	v_dual_mov_b32 v64, v33 :: v_dual_mov_b32 v51, v59
	v_dual_mov_b32 v52, v60 :: v_dual_mov_b32 v53, v61
	v_dual_mov_b32 v54, v62 :: v_dual_mov_b32 v51, v27
	v_dual_mov_b32 v54, v30 :: v_dual_mov_b32 v39, v63
	v_dual_mov_b32 v42, v66 :: v_dual_mov_b32 v43, v67
	v_dual_mov_b32 v44, v68 :: v_dual_mov_b32 v45, v69
	v_dual_mov_b32 v46, v70 :: v_dual_mov_b32 v43, v35
	v_dual_mov_b32 v2, v3 :: v_dual_mov_b32 v3, v16
	v_dual_mov_b32 v52, v28 :: v_dual_mov_b32 v53, v10
	v_dual_mov_b32 v40, v64 :: v_dual_mov_b32 v41, v65
	v_dual_mov_b32 v42, v34 :: v_dual_mov_b32 v45, v9
	v_mov_b32_e32 v44, v36
	v_dual_mov_b32 v46, v38 :: v_dual_mov_b32 v11, v16
	v_mov_b32_e32 v33, v32
	v_mov_b32_e32 v25, v24
.LBB209_43:
	s_or_b32 exec_lo, exec_lo, s2
	v_mov_b32_e32 v12, v4
	s_mov_b32 s2, exec_lo
	v_cmpx_lt_f32_e32 v11, v4
	s_cbranch_execz .LBB209_45
; %bb.44:
	v_mov_b32_e32 v57, v26
	v_dual_mov_b32 v3, v4 :: v_dual_mov_b32 v4, v11
	v_mov_b32_e32 v65, v34
	v_dual_mov_b32 v47, v55 :: v_dual_mov_b32 v52, v60
	v_dual_mov_b32 v48, v56 :: v_dual_mov_b32 v39, v63
	;; [unrolled: 1-line block ×3, first 2 shown]
	v_mov_b32_e32 v54, v62
	v_dual_mov_b32 v50, v58 :: v_dual_mov_b32 v51, v59
	v_mov_b32_e32 v50, v25
	v_dual_mov_b32 v53, v61 :: v_dual_mov_b32 v52, v28
	v_dual_mov_b32 v41, v65 :: v_dual_mov_b32 v44, v68
	;; [unrolled: 1-line block ×8, first 2 shown]
	v_mov_b32_e32 v12, v11
	v_mov_b32_e32 v34, v33
	;; [unrolled: 1-line block ×3, first 2 shown]
.LBB209_45:
	s_or_b32 exec_lo, exec_lo, s2
	v_mov_b32_e32 v11, v5
	s_mov_b32 s2, exec_lo
	v_cmpx_lt_f32_e32 v12, v5
	s_cbranch_execz .LBB209_47
; %bb.46:
	v_dual_mov_b32 v68, v36 :: v_dual_mov_b32 v69, v9
	v_dual_mov_b32 v58, v27 :: v_dual_mov_b32 v59, v26
	;; [unrolled: 1-line block ×4, first 2 shown]
	v_mov_b32_e32 v70, v38
	v_dual_mov_b32 v4, v5 :: v_dual_mov_b32 v5, v12
	v_dual_mov_b32 v62, v30 :: v_dual_mov_b32 v39, v63
	;; [unrolled: 1-line block ×10, first 2 shown]
.LBB209_47:
	s_or_b32 exec_lo, exec_lo, s2
	s_delay_alu instid0(VALU_DEP_1)
	v_cmp_lt_f32_e32 vcc_lo, v11, v6
	v_dual_mov_b32 v19, v1 :: v_dual_mov_b32 v26, v8
	v_mov_b32_e32 v21, v3
	v_mov_b32_e32 v25, v7
	v_dual_cndmask_b32 v27, v44, v43 :: v_dual_mov_b32 v20, v2
	v_dual_cndmask_b32 v43, v43, v44 :: v_dual_cndmask_b32 v28, v52, v51
	v_dual_cndmask_b32 v51, v51, v52 :: v_dual_cndmask_b32 v24, v6, v11
	v_dual_cndmask_b32 v23, v5, v6 :: v_dual_mov_b32 v22, v4
	s_mov_b32 s2, exec_lo
	v_cmpx_lt_f32_e32 v1, v2
	s_cbranch_execz .LBB209_49
; %bb.48:
	v_dual_mov_b32 v8, v25 :: v_dual_mov_b32 v9, v26
	v_dual_mov_b32 v2, v20 :: v_dual_mov_b32 v3, v19
	;; [unrolled: 1-line block ×4, first 2 shown]
	v_mov_b32_e32 v10, v39
	v_dual_mov_b32 v11, v47 :: v_dual_mov_b32 v26, v9
	v_swap_b32 v39, v40
	v_swap_b32 v47, v48
	v_dual_mov_b32 v25, v8 :: v_dual_mov_b32 v24, v7
	v_dual_mov_b32 v23, v6 :: v_dual_mov_b32 v22, v5
	;; [unrolled: 1-line block ×4, first 2 shown]
.LBB209_49:
	s_or_b32 exec_lo, exec_lo, s2
	v_mov_b32_e32 v52, v28
	v_mov_b32_e32 v44, v27
	v_mov_b32_e32 v3, v47
	v_mov_b32_e32 v5, v49
	v_dual_mov_b32 v11, v39 :: v_dual_mov_b32 v4, v48
	v_dual_mov_b32 v12, v40 :: v_dual_mov_b32 v13, v41
	v_dual_mov_b32 v14, v42 :: v_dual_mov_b32 v15, v43
	v_dual_mov_b32 v16, v44 :: v_dual_mov_b32 v17, v45
	v_dual_mov_b32 v18, v46 :: v_dual_mov_b32 v7, v51
	v_dual_mov_b32 v6, v50 :: v_dual_mov_b32 v9, v53
	v_dual_mov_b32 v8, v52 :: v_dual_mov_b32 v1, v21
	v_mov_b32_e32 v10, v54
	s_mov_b32 s2, exec_lo
	v_cmpx_lt_f32_e32 v2, v21
	s_cbranch_execz .LBB209_51
; %bb.50:
	v_dual_mov_b32 v3, v47 :: v_dual_mov_b32 v4, v48
	v_dual_mov_b32 v9, v53 :: v_dual_mov_b32 v10, v54
	;; [unrolled: 1-line block ×17, first 2 shown]
	v_mov_b32_e32 v49, v48
.LBB209_51:
	s_or_b32 exec_lo, exec_lo, s2
	v_mov_b32_e32 v29, v22
	s_mov_b32 s2, exec_lo
	v_cmpx_lt_f32_e32 v1, v22
; %bb.52:
	v_dual_mov_b32 v21, v22 :: v_dual_mov_b32 v22, v1
	v_dual_mov_b32 v5, v50 :: v_dual_mov_b32 v6, v49
	;; [unrolled: 1-line block ×7, first 2 shown]
	v_mov_b32_e32 v29, v1
; %bb.53:
	s_or_b32 exec_lo, exec_lo, s2
	s_delay_alu instid0(VALU_DEP_1)
	v_cmp_lt_f32_e32 vcc_lo, v29, v23
	v_dual_mov_b32 v28, v20 :: v_dual_mov_b32 v33, v25
	v_mov_b32_e32 v32, v24
	v_dual_mov_b32 v34, v26 :: v_dual_cndmask_b32 v1, v15, v14
	v_cndmask_b32_e32 v14, v14, v15, vcc_lo
	v_cndmask_b32_e32 v2, v7, v6, vcc_lo
	v_dual_cndmask_b32 v6, v6, v7 :: v_dual_cndmask_b32 v31, v23, v29
	v_dual_cndmask_b32 v30, v22, v23 :: v_dual_mov_b32 v27, v19
	v_mov_b32_e32 v29, v21
	s_mov_b32 s2, exec_lo
	v_cmpx_lt_f32_e32 v19, v20
	s_cbranch_execz .LBB209_55
; %bb.54:
	v_dual_mov_b32 v20, v28 :: v_dual_mov_b32 v21, v27
	v_dual_mov_b32 v26, v33 :: v_dual_mov_b32 v27, v34
	;; [unrolled: 1-line block ×4, first 2 shown]
	s_delay_alu instid0(VALU_DEP_3)
	v_mov_b32_e32 v34, v27
	v_mov_b32_e32 v7, v11
	v_dual_mov_b32 v15, v3 :: v_dual_mov_b32 v28, v21
	v_swap_b32 v11, v12
	v_swap_b32 v3, v4
	v_dual_mov_b32 v33, v26 :: v_dual_mov_b32 v30, v23
	v_dual_mov_b32 v32, v25 :: v_dual_mov_b32 v31, v24
	v_mov_b32_e32 v29, v22
	v_dual_mov_b32 v27, v20 :: v_dual_mov_b32 v20, v19
.LBB209_55:
	s_or_b32 exec_lo, exec_lo, s2
	v_mov_b32_e32 v7, v2
	v_mov_b32_e32 v15, v1
	;; [unrolled: 1-line block ×3, first 2 shown]
	s_mov_b32 s2, exec_lo
	v_cmpx_lt_f32_e32 v20, v29
	s_cbranch_execz .LBB209_57
; %bb.56:
	v_dual_mov_b32 v42, v10 :: v_dual_mov_b32 v41, v9
	v_dual_mov_b32 v40, v8 :: v_dual_mov_b32 v39, v7
	;; [unrolled: 1-line block ×16, first 2 shown]
	v_mov_b32_e32 v18, v9
	s_delay_alu instid0(VALU_DEP_3) | instskip(NEXT) | instid1(VALU_DEP_4)
	v_dual_mov_b32 v16, v7 :: v_dual_mov_b32 v15, v6
	v_dual_mov_b32 v17, v8 :: v_dual_mov_b32 v14, v5
	v_dual_mov_b32 v13, v4 :: v_dual_mov_b32 v12, v3
	v_mov_b32_e32 v11, v2
	v_dual_mov_b32 v3, v35 :: v_dual_mov_b32 v4, v36
	v_dual_mov_b32 v5, v37 :: v_dual_mov_b32 v6, v38
	;; [unrolled: 1-line block ×4, first 2 shown]
	v_mov_b32_e32 v19, v20
.LBB209_57:
	s_or_b32 exec_lo, exec_lo, s2
	s_delay_alu instid0(VALU_DEP_1)
	v_cmp_lt_f32_e32 vcc_lo, v19, v30
	v_dual_mov_b32 v20, v7 :: v_dual_mov_b32 v21, v8
	v_dual_mov_b32 v22, v9 :: v_dual_mov_b32 v23, v10
	v_dual_cndmask_b32 v1, v14, v13 :: v_dual_cndmask_b32 v36, v5, v6
	v_dual_cndmask_b32 v35, v13, v14 :: v_dual_cndmask_b32 v2, v6, v5
	v_dual_cndmask_b32 v5, v30, v19 :: v_dual_cndmask_b32 v30, v29, v30
	v_dual_mov_b32 v6, v15 :: v_dual_mov_b32 v13, v16
	v_dual_mov_b32 v14, v17 :: v_dual_mov_b32 v19, v18
	;; [unrolled: 1-line block ×4, first 2 shown]
	v_mov_b32_e32 v29, v34
	s_mov_b32 s2, exec_lo
	v_cmpx_lt_f32_e32 v27, v28
	s_cbranch_execz .LBB209_59
; %bb.58:
	v_dual_mov_b32 v24, v28 :: v_dual_mov_b32 v37, v27
	v_dual_mov_b32 v6, v11 :: v_dual_mov_b32 v13, v16
	;; [unrolled: 1-line block ×3, first 2 shown]
	v_swap_b32 v11, v12
	v_swap_b32 v3, v4
	v_dual_mov_b32 v28, v27 :: v_dual_mov_b32 v21, v8
	v_dual_mov_b32 v6, v15 :: v_dual_mov_b32 v23, v10
	;; [unrolled: 1-line block ×5, first 2 shown]
	v_mov_b32_e32 v24, v31
	v_mov_b32_e32 v26, v33
.LBB209_59:
	s_or_b32 exec_lo, exec_lo, s2
	s_clause 0x1
	s_load_b32 s8, s[0:1], 0x28
	s_load_b128 s[4:7], s[0:1], 0x10
	v_mov_b32_e32 v8, 0
	s_waitcnt lgkmcnt(0)
	s_cmp_lt_i32 s8, 1
	s_cbranch_scc1 .LBB209_65
; %bb.60:
	v_cmp_lt_f32_e32 vcc_lo, v28, v30
	v_dual_mov_b32 v8, 0 :: v_dual_mov_b32 v9, 0
	s_mov_b32 s9, 0x76543210
	s_mov_b32 s10, s8
	v_dual_cndmask_b32 v7, v36, v4 :: v_dual_cndmask_b32 v18, v37, v30
	v_cndmask_b32_e32 v4, v4, v36, vcc_lo
	v_cndmask_b32_e32 v10, v30, v28, vcc_lo
	v_dual_cndmask_b32 v15, v35, v12 :: v_dual_cndmask_b32 v28, v12, v35
	s_delay_alu instid0(VALU_DEP_4) | instskip(NEXT) | instid1(VALU_DEP_1)
	v_cmp_lt_f32_e64 s2, v27, v18
	v_cndmask_b32_e64 v12, v4, v3, s2
	v_cndmask_b32_e64 v16, v3, v4, s2
	;; [unrolled: 1-line block ×6, first 2 shown]
	v_dual_mov_b32 v28, v0 :: v_dual_mov_b32 v3, 0
	v_mov_b32_e32 v4, 0
.LBB209_61:                             ; =>This Inner Loop Header: Depth=1
	v_cmp_eq_u32_e32 vcc_lo, 1, v9
	v_cmp_eq_u32_e64 s2, 2, v9
	v_dual_cndmask_b32 v30, v18, v17 :: v_dual_cndmask_b32 v31, v16, v12
	v_cndmask_b32_e32 v32, v11, v27, vcc_lo
	v_cmp_eq_u32_e32 vcc_lo, 3, v9
	s_delay_alu instid0(VALU_DEP_3) | instskip(NEXT) | instid1(VALU_DEP_4)
	v_cndmask_b32_e64 v30, v30, v10, s2
	v_cndmask_b32_e64 v31, v31, v7, s2
	s_delay_alu instid0(VALU_DEP_4) | instskip(SKIP_1) | instid1(VALU_DEP_3)
	v_cndmask_b32_e64 v32, v32, v15, s2
	v_cmp_eq_u32_e64 s2, 4, v9
	v_dual_cndmask_b32 v30, v30, v5 :: v_dual_cndmask_b32 v31, v31, v2
	s_delay_alu instid0(VALU_DEP_3) | instskip(SKIP_1) | instid1(VALU_DEP_3)
	v_cndmask_b32_e32 v32, v32, v1, vcc_lo
	v_cmp_eq_u32_e32 vcc_lo, 5, v9
	v_cndmask_b32_e64 v30, v30, v24, s2
	s_delay_alu instid0(VALU_DEP_4) | instskip(NEXT) | instid1(VALU_DEP_4)
	v_cndmask_b32_e64 v31, v31, v20, s2
	v_cndmask_b32_e64 v32, v32, v6, s2
	v_cmp_eq_u32_e64 s2, 6, v9
	s_delay_alu instid0(VALU_DEP_4) | instskip(NEXT) | instid1(VALU_DEP_4)
	v_cndmask_b32_e32 v30, v30, v25, vcc_lo
	v_cndmask_b32_e32 v31, v31, v21, vcc_lo
	s_delay_alu instid0(VALU_DEP_4) | instskip(SKIP_1) | instid1(VALU_DEP_4)
	v_cndmask_b32_e32 v32, v32, v13, vcc_lo
	v_cmp_eq_u32_e32 vcc_lo, 7, v9
	v_cndmask_b32_e64 v30, v30, v26, s2
	s_delay_alu instid0(VALU_DEP_4) | instskip(NEXT) | instid1(VALU_DEP_4)
	v_cndmask_b32_e64 v31, v31, v22, s2
	v_cndmask_b32_e64 v32, v32, v14, s2
	v_cmp_gt_u32_e64 s2, 8, v9
	s_delay_alu instid0(VALU_DEP_3) | instskip(NEXT) | instid1(VALU_DEP_1)
	v_dual_cndmask_b32 v30, v30, v29 :: v_dual_cndmask_b32 v31, v31, v23
	v_cndmask_b32_e64 v30, 0xff800000, v30, s2
	;;#ASMSTART
	v_max_f32 v34, v30, v30 quad_perm:[1,0,3,2] row_mask:0xf bank_mask:0xf bound_ctrl:1
	;;#ASMEND
	;;#ASMSTART
	v_max_f32 v35, v34, v34 quad_perm:[2,3,0,1] row_mask:0xf bank_mask:0xf bound_ctrl:1
	;;#ASMEND
	;;#ASMSTART
	v_max_f32 v34, v35, v35 row_half_mirror row_mask:0xf bank_mask:0xf bound_ctrl:1
	;;#ASMEND
	;;#ASMSTART
	v_max_f32 v35, v34, v34 row_mirror row_mask:0xf bank_mask:0xf bound_ctrl:1
	;;#ASMEND
	v_permlanex16_b32 v34, v35, s9, 0xfedcba98 op_sel:[1,1]
	v_max_f32_e32 v35, v35, v35
	v_cndmask_b32_e64 v33, 0, v31, s2
	s_delay_alu instid0(VALU_DEP_3) | instskip(NEXT) | instid1(VALU_DEP_1)
	v_max_f32_e32 v34, v34, v34
	v_max_f32_e32 v34, v35, v34
	s_delay_alu instid0(VALU_DEP_1) | instskip(SKIP_1) | instid1(VALU_DEP_2)
	v_cmp_eq_f32_e64 s3, v30, v34
	v_cndmask_b32_e32 v30, v32, v19, vcc_lo
	s_ctz_i32_b32 s11, s3
	s_cmp_lg_u32 s3, 0
	s_cselect_b32 s3, s11, 0
	s_add_i32 s10, s10, -1
	v_readlane_b32 s3, v33, s3
	s_delay_alu instid0(VALU_DEP_1)
	v_cmp_eq_u32_e32 vcc_lo, s3, v31
	s_and_b32 vcc_lo, s2, vcc_lo
	s_and_b32 s2, s3, 31
	v_cndmask_b32_e32 v30, 0, v30, vcc_lo
	v_add_co_ci_u32_e32 v9, vcc_lo, 0, v9, vcc_lo
	s_cmp_eq_u32 s10, 0
	s_delay_alu instid0(VALU_DEP_2) | instskip(SKIP_2) | instid1(VALU_DEP_3)
	v_readlane_b32 s11, v30, s2
	v_cmp_eq_u32_e64 s2, 0, v28
	v_add_nc_u32_e32 v28, -1, v28
	v_add_f32_e32 v8, s11, v8
	s_delay_alu instid0(VALU_DEP_3)
	v_cndmask_b32_e64 v4, v4, s11, s2
	v_cndmask_b32_e64 v3, v3, s3, s2
	s_cbranch_scc0 .LBB209_61
; %bb.62:
	s_mov_b32 s2, exec_lo
	v_cmpx_gt_i32_e64 s8, v0
	s_cbranch_execz .LBB209_64
.LBB209_63:
	s_load_b32 s2, s[0:1], 0x30
	v_max_f32_e32 v0, v8, v8
	s_load_b64 s[0:1], s[0:1], 0x20
	s_ashr_i32 s3, s15, 31
	s_delay_alu instid0(VALU_DEP_1) | instskip(SKIP_1) | instid1(VALU_DEP_1)
	v_max_f32_e32 v0, 0x1e3ce508, v0
	s_waitcnt lgkmcnt(0)
	v_div_scale_f32 v1, null, v0, v0, s2
	v_div_scale_f32 v6, vcc_lo, s2, v0, s2
	s_mul_i32 s1, s15, s1
	s_delay_alu instid0(VALU_DEP_2)
	v_rcp_f32_e32 v2, v1
	s_mul_hi_u32 s8, s15, s0
	s_mul_i32 s3, s3, s0
	s_add_i32 s1, s8, s1
	s_mul_i32 s0, s15, s0
	s_add_i32 s1, s1, s3
	s_delay_alu instid0(SALU_CYCLE_1) | instskip(SKIP_2) | instid1(VALU_DEP_1)
	s_lshl_b64 s[0:1], s[0:1], 2
	s_waitcnt_depctr 0xfff
	v_fma_f32 v5, -v1, v2, 1.0
	v_fmac_f32_e32 v2, v5, v2
	s_delay_alu instid0(VALU_DEP_1) | instskip(NEXT) | instid1(VALU_DEP_1)
	v_mul_f32_e32 v5, v6, v2
	v_fma_f32 v7, -v1, v5, v6
	s_delay_alu instid0(VALU_DEP_1) | instskip(NEXT) | instid1(VALU_DEP_1)
	v_fmac_f32_e32 v5, v7, v2
	v_fma_f32 v1, -v1, v5, v6
	s_delay_alu instid0(VALU_DEP_1) | instskip(NEXT) | instid1(VALU_DEP_1)
	v_div_fmas_f32 v1, v1, v2, v5
	v_div_fixup_f32 v0, v1, v0, s2
	s_add_u32 s2, s4, s0
	s_addc_u32 s3, s5, s1
	s_add_u32 s0, s6, s0
	s_addc_u32 s1, s7, s1
	v_mul_f32_e32 v0, v4, v0
	s_clause 0x1
	global_store_b32 v103, v0, s[2:3]
	global_store_b32 v103, v3, s[0:1]
.LBB209_64:
	s_nop 0
	s_sendmsg sendmsg(MSG_DEALLOC_VGPRS)
	s_endpgm
.LBB209_65:
	v_dual_mov_b32 v3, 0 :: v_dual_mov_b32 v4, 0
	s_mov_b32 s2, exec_lo
	v_cmpx_gt_i32_e64 s8, v0
	s_cbranch_execnz .LBB209_63
	s_branch .LBB209_64
	.section	.rodata,"a",@progbits
	.p2align	6, 0x0
	.amdhsa_kernel _ZN5aiter24topk_softplus_kernel_optI12hip_bfloat16fLi256ELb1ELi1EEEvPKT_PKT0_PfPimiif
		.amdhsa_group_segment_fixed_size 0
		.amdhsa_private_segment_fixed_size 0
		.amdhsa_kernarg_size 52
		.amdhsa_user_sgpr_count 15
		.amdhsa_user_sgpr_dispatch_ptr 0
		.amdhsa_user_sgpr_queue_ptr 0
		.amdhsa_user_sgpr_kernarg_segment_ptr 1
		.amdhsa_user_sgpr_dispatch_id 0
		.amdhsa_user_sgpr_private_segment_size 0
		.amdhsa_wavefront_size32 1
		.amdhsa_uses_dynamic_stack 0
		.amdhsa_enable_private_segment 0
		.amdhsa_system_sgpr_workgroup_id_x 1
		.amdhsa_system_sgpr_workgroup_id_y 0
		.amdhsa_system_sgpr_workgroup_id_z 0
		.amdhsa_system_sgpr_workgroup_info 0
		.amdhsa_system_vgpr_workitem_id 0
		.amdhsa_next_free_vgpr 104
		.amdhsa_next_free_sgpr 16
		.amdhsa_reserve_vcc 1
		.amdhsa_float_round_mode_32 0
		.amdhsa_float_round_mode_16_64 0
		.amdhsa_float_denorm_mode_32 3
		.amdhsa_float_denorm_mode_16_64 3
		.amdhsa_dx10_clamp 1
		.amdhsa_ieee_mode 1
		.amdhsa_fp16_overflow 0
		.amdhsa_workgroup_processor_mode 1
		.amdhsa_memory_ordered 1
		.amdhsa_forward_progress 0
		.amdhsa_shared_vgpr_count 0
		.amdhsa_exception_fp_ieee_invalid_op 0
		.amdhsa_exception_fp_denorm_src 0
		.amdhsa_exception_fp_ieee_div_zero 0
		.amdhsa_exception_fp_ieee_overflow 0
		.amdhsa_exception_fp_ieee_underflow 0
		.amdhsa_exception_fp_ieee_inexact 0
		.amdhsa_exception_int_div_zero 0
	.end_amdhsa_kernel
	.section	.text._ZN5aiter24topk_softplus_kernel_optI12hip_bfloat16fLi256ELb1ELi1EEEvPKT_PKT0_PfPimiif,"axG",@progbits,_ZN5aiter24topk_softplus_kernel_optI12hip_bfloat16fLi256ELb1ELi1EEEvPKT_PKT0_PfPimiif,comdat
.Lfunc_end209:
	.size	_ZN5aiter24topk_softplus_kernel_optI12hip_bfloat16fLi256ELb1ELi1EEEvPKT_PKT0_PfPimiif, .Lfunc_end209-_ZN5aiter24topk_softplus_kernel_optI12hip_bfloat16fLi256ELb1ELi1EEEvPKT_PKT0_PfPimiif
                                        ; -- End function
	.section	.AMDGPU.csdata,"",@progbits
; Kernel info:
; codeLenInByte = 6892
; NumSgprs: 18
; NumVgprs: 104
; ScratchSize: 0
; MemoryBound: 0
; FloatMode: 240
; IeeeMode: 1
; LDSByteSize: 0 bytes/workgroup (compile time only)
; SGPRBlocks: 2
; VGPRBlocks: 12
; NumSGPRsForWavesPerEU: 18
; NumVGPRsForWavesPerEU: 104
; Occupancy: 12
; WaveLimiterHint : 0
; COMPUTE_PGM_RSRC2:SCRATCH_EN: 0
; COMPUTE_PGM_RSRC2:USER_SGPR: 15
; COMPUTE_PGM_RSRC2:TRAP_HANDLER: 0
; COMPUTE_PGM_RSRC2:TGID_X_EN: 1
; COMPUTE_PGM_RSRC2:TGID_Y_EN: 0
; COMPUTE_PGM_RSRC2:TGID_Z_EN: 0
; COMPUTE_PGM_RSRC2:TIDIG_COMP_CNT: 0
	.section	.text._ZN5aiter24topk_softplus_kernel_optI12hip_bfloat16fLi256ELb0ELi1EEEvPKT_PKT0_PfPimiif,"axG",@progbits,_ZN5aiter24topk_softplus_kernel_optI12hip_bfloat16fLi256ELb0ELi1EEEvPKT_PKT0_PfPimiif,comdat
	.protected	_ZN5aiter24topk_softplus_kernel_optI12hip_bfloat16fLi256ELb0ELi1EEEvPKT_PKT0_PfPimiif ; -- Begin function _ZN5aiter24topk_softplus_kernel_optI12hip_bfloat16fLi256ELb0ELi1EEEvPKT_PKT0_PfPimiif
	.globl	_ZN5aiter24topk_softplus_kernel_optI12hip_bfloat16fLi256ELb0ELi1EEEvPKT_PKT0_PfPimiif
	.p2align	8
	.type	_ZN5aiter24topk_softplus_kernel_optI12hip_bfloat16fLi256ELb0ELi1EEEvPKT_PKT0_PfPimiif,@function
_ZN5aiter24topk_softplus_kernel_optI12hip_bfloat16fLi256ELb0ELi1EEEvPKT_PKT0_PfPimiif: ; @_ZN5aiter24topk_softplus_kernel_optI12hip_bfloat16fLi256ELb0ELi1EEEvPKT_PKT0_PfPimiif
; %bb.0:
	s_load_b128 s[4:7], s[0:1], 0x0
	s_lshl_b32 s2, s15, 8
	v_lshlrev_b32_e32 v1, 1, v0
	s_ashr_i32 s3, s2, 31
	v_lshlrev_b32_e32 v103, 2, v0
	s_lshl_b64 s[2:3], s[2:3], 1
	s_waitcnt lgkmcnt(0)
	s_add_u32 s4, s4, s2
	s_addc_u32 s5, s5, s3
	s_cmp_lg_u64 s[6:7], 0
	global_load_u16 v2, v1, s[4:5]
	s_cselect_b32 s2, -1, 0
	s_waitcnt vmcnt(0)
	v_lshlrev_b32_e32 v2, 16, v2
	s_delay_alu instid0(VALU_DEP_1) | instskip(NEXT) | instid1(VALU_DEP_1)
	v_mul_f32_e32 v3, 0xbfb8aa3b, v2
	v_cmp_gt_f32_e32 vcc_lo, 0xc2fc0000, v3
	v_cndmask_b32_e64 v3, 0, 0x42800000, vcc_lo
	s_delay_alu instid0(VALU_DEP_1) | instskip(NEXT) | instid1(VALU_DEP_1)
	v_fmac_f32_e32 v3, 0xbfb8aa3b, v2
	v_exp_f32_e32 v2, v3
	v_cndmask_b32_e64 v3, 1.0, 0x1f800000, vcc_lo
	s_and_b32 vcc_lo, exec_lo, s2
	s_waitcnt_depctr 0xfff
	v_fma_f32 v2, v2, v3, 1.0
	s_delay_alu instid0(VALU_DEP_1) | instskip(SKIP_3) | instid1(VALU_DEP_1)
	v_rcp_f32_e32 v48, v2
	s_waitcnt_depctr 0xfff
	v_mov_b32_e32 v32, v48
	v_add_co_u32 v1, s3, s4, v1
	v_add_co_ci_u32_e64 v2, null, s5, 0, s3
	s_cbranch_vccz .LBB210_2
; %bb.1:
	global_load_b32 v3, v103, s[6:7]
	s_waitcnt vmcnt(0)
	v_add_f32_e32 v32, v48, v3
.LBB210_2:
	global_load_u16 v3, v[1:2], off offset:64
	s_waitcnt vmcnt(0)
	v_lshlrev_b32_e32 v3, 16, v3
	s_delay_alu instid0(VALU_DEP_1) | instskip(NEXT) | instid1(VALU_DEP_1)
	v_mul_f32_e32 v4, 0xbfb8aa3b, v3
	v_cmp_gt_f32_e32 vcc_lo, 0xc2fc0000, v4
	v_cndmask_b32_e64 v4, 0, 0x42800000, vcc_lo
	s_delay_alu instid0(VALU_DEP_1) | instskip(NEXT) | instid1(VALU_DEP_1)
	v_fmac_f32_e32 v4, 0xbfb8aa3b, v3
	v_exp_f32_e32 v3, v4
	v_cndmask_b32_e64 v4, 1.0, 0x1f800000, vcc_lo
	s_and_not1_b32 vcc_lo, exec_lo, s2
	s_waitcnt_depctr 0xfff
	v_fma_f32 v3, v3, v4, 1.0
	s_delay_alu instid0(VALU_DEP_1)
	v_rcp_f32_e32 v17, v3
	v_cndmask_b32_e64 v3, 0, 1, s2
	s_waitcnt_depctr 0xfff
	v_mov_b32_e32 v33, v17
	s_cbranch_vccnz .LBB210_4
; %bb.3:
	global_load_b32 v4, v103, s[6:7] offset:128
	s_waitcnt vmcnt(0)
	v_add_f32_e32 v33, v17, v4
.LBB210_4:
	global_load_u16 v4, v[1:2], off offset:128
	s_waitcnt vmcnt(0)
	v_lshlrev_b32_e32 v4, 16, v4
	s_delay_alu instid0(VALU_DEP_1) | instskip(NEXT) | instid1(VALU_DEP_1)
	v_mul_f32_e32 v5, 0xbfb8aa3b, v4
	v_cmp_gt_f32_e32 vcc_lo, 0xc2fc0000, v5
	v_cndmask_b32_e64 v5, 0, 0x42800000, vcc_lo
	s_delay_alu instid0(VALU_DEP_1) | instskip(NEXT) | instid1(VALU_DEP_1)
	v_fmac_f32_e32 v5, 0xbfb8aa3b, v4
	v_exp_f32_e32 v4, v5
	v_cndmask_b32_e64 v5, 1.0, 0x1f800000, vcc_lo
	v_cmp_ne_u32_e32 vcc_lo, 1, v3
	s_waitcnt_depctr 0xfff
	v_fma_f32 v4, v4, v5, 1.0
	s_delay_alu instid0(VALU_DEP_1)
	v_rcp_f32_e32 v18, v4
	s_waitcnt_depctr 0xfff
	v_mov_b32_e32 v34, v18
	s_cbranch_vccnz .LBB210_6
; %bb.5:
	global_load_b32 v4, v103, s[6:7] offset:256
	s_waitcnt vmcnt(0)
	v_add_f32_e32 v34, v18, v4
.LBB210_6:
	global_load_u16 v4, v[1:2], off offset:192
	s_waitcnt vmcnt(0)
	v_lshlrev_b32_e32 v4, 16, v4
	s_delay_alu instid0(VALU_DEP_1) | instskip(NEXT) | instid1(VALU_DEP_1)
	v_mul_f32_e32 v5, 0xbfb8aa3b, v4
	v_cmp_gt_f32_e32 vcc_lo, 0xc2fc0000, v5
	v_cndmask_b32_e64 v5, 0, 0x42800000, vcc_lo
	s_delay_alu instid0(VALU_DEP_1) | instskip(NEXT) | instid1(VALU_DEP_1)
	v_fmac_f32_e32 v5, 0xbfb8aa3b, v4
	v_exp_f32_e32 v4, v5
	v_cndmask_b32_e64 v5, 1.0, 0x1f800000, vcc_lo
	v_cmp_ne_u32_e32 vcc_lo, 1, v3
	s_waitcnt_depctr 0xfff
	v_fma_f32 v4, v4, v5, 1.0
	s_delay_alu instid0(VALU_DEP_1)
	v_rcp_f32_e32 v19, v4
	;; [unrolled: 24-line block ×6, first 2 shown]
	s_cbranch_vccnz .LBB210_16
; %bb.15:
	global_load_b32 v1, v103, s[6:7] offset:896
	s_waitcnt vmcnt(0)
	v_add_f32_e32 v39, v23, v1
	s_branch .LBB210_17
.LBB210_16:
	s_waitcnt_depctr 0xfff
	v_mov_b32_e32 v39, v23
.LBB210_17:
	v_add_nc_u32_e32 v7, 0xe0, v0
	v_dual_mov_b32 v8, v32 :: v_dual_add_nc_u32 v1, 32, v0
	v_dual_mov_b32 v9, v33 :: v_dual_add_nc_u32 v2, 64, v0
	;; [unrolled: 1-line block ×6, first 2 shown]
	v_dual_mov_b32 v14, v38 :: v_dual_mov_b32 v31, v7
	s_delay_alu instid0(VALU_DEP_2)
	v_dual_mov_b32 v47, v7 :: v_dual_mov_b32 v46, v6
	v_dual_mov_b32 v78, v7 :: v_dual_mov_b32 v77, v6
	;; [unrolled: 1-line block ×9, first 2 shown]
	v_mov_b32_e32 v40, v0
	v_dual_mov_b32 v76, v5 :: v_dual_mov_b32 v75, v4
	v_dual_mov_b32 v74, v3 :: v_dual_mov_b32 v73, v2
	;; [unrolled: 1-line block ×7, first 2 shown]
	s_mov_b32 s2, exec_lo
	v_cmpx_lt_f32_e32 v32, v33
	s_xor_b32 s2, exec_lo, s2
	s_cbranch_execz .LBB210_19
; %bb.18:
	v_dual_mov_b32 v30, v6 :: v_dual_mov_b32 v31, v7
	v_dual_mov_b32 v24, v1 :: v_dual_mov_b32 v25, v0
	;; [unrolled: 1-line block ×4, first 2 shown]
	s_delay_alu instid0(VALU_DEP_4)
	v_dual_mov_b32 v47, v31 :: v_dual_mov_b32 v46, v30
	v_dual_mov_b32 v78, v31 :: v_dual_mov_b32 v77, v30
	;; [unrolled: 1-line block ×17, first 2 shown]
	v_mov_b32_e32 v17, v48
	v_mov_b32_e32 v1, v0
.LBB210_19:
	s_or_b32 exec_lo, exec_lo, s2
	v_dual_mov_b32 v62, v23 :: v_dual_mov_b32 v61, v22
	v_dual_mov_b32 v86, v23 :: v_dual_mov_b32 v85, v22
	;; [unrolled: 1-line block ×16, first 2 shown]
	v_mov_b32_e32 v32, v10
	s_mov_b32 s2, exec_lo
	v_cmpx_lt_f32_e32 v33, v10
	s_cbranch_execz .LBB210_21
; %bb.20:
	v_dual_mov_b32 v70, v31 :: v_dual_mov_b32 v69, v30
	v_dual_mov_b32 v64, v25 :: v_dual_mov_b32 v63, v24
	;; [unrolled: 1-line block ×13, first 2 shown]
	v_mov_b32_e32 v74, v3
	v_dual_mov_b32 v87, v95 :: v_dual_mov_b32 v88, v96
	v_dual_mov_b32 v76, v68 :: v_dual_mov_b32 v75, v67
	;; [unrolled: 1-line block ×5, first 2 shown]
	v_mov_b32_e32 v90, v19
	v_dual_mov_b32 v40, v71 :: v_dual_mov_b32 v45, v76
	v_mov_b32_e32 v41, v72
	v_dual_mov_b32 v43, v74 :: v_dual_mov_b32 v46, v77
	;; [unrolled: 2-line block ×3, first 2 shown]
	v_dual_mov_b32 v42, v73 :: v_dual_mov_b32 v47, v78
	v_dual_mov_b32 v44, v4 :: v_dual_mov_b32 v81, v89
	;; [unrolled: 1-line block ×5, first 2 shown]
	v_mov_b32_e32 v84, v92
	v_mov_b32_e32 v86, v94
	v_dual_mov_b32 v24, v40 :: v_dual_mov_b32 v29, v45
	v_dual_mov_b32 v30, v46 :: v_dual_mov_b32 v25, v41
	;; [unrolled: 1-line block ×6, first 2 shown]
	v_mov_b32_e32 v61, v22
	v_mov_b32_e32 v62, v86
	v_dual_mov_b32 v28, v44 :: v_dual_mov_b32 v29, v5
	v_dual_mov_b32 v31, v7 :: v_dual_mov_b32 v32, v33
	v_dual_mov_b32 v59, v83 :: v_dual_mov_b32 v56, v80
	v_mov_b32_e32 v57, v81
	v_mov_b32_e32 v60, v21
	;; [unrolled: 1-line block ×5, first 2 shown]
.LBB210_21:
	s_or_b32 exec_lo, exec_lo, s2
	v_mov_b32_e32 v1, v11
	s_mov_b32 s2, exec_lo
	v_cmpx_lt_f32_e32 v32, v11
	s_cbranch_execz .LBB210_23
; %bb.22:
	v_mov_b32_e32 v97, v19
	v_mov_b32_e32 v65, v3
	v_dual_mov_b32 v87, v95 :: v_dual_mov_b32 v88, v96
	v_mov_b32_e32 v78, v70
	v_dual_mov_b32 v92, v100 :: v_dual_mov_b32 v71, v63
	v_dual_mov_b32 v90, v98 :: v_dual_mov_b32 v91, v99
	;; [unrolled: 1-line block ×8, first 2 shown]
	v_mov_b32_e32 v80, v88
	s_delay_alu instid0(VALU_DEP_3)
	v_dual_mov_b32 v40, v71 :: v_dual_mov_b32 v41, v72
	v_dual_mov_b32 v83, v91 :: v_dual_mov_b32 v84, v92
	;; [unrolled: 1-line block ×20, first 2 shown]
	v_mov_b32_e32 v1, v32
	v_mov_b32_e32 v19, v18
	;; [unrolled: 1-line block ×3, first 2 shown]
.LBB210_23:
	s_or_b32 exec_lo, exec_lo, s2
	v_mov_b32_e32 v2, v12
	s_mov_b32 s2, exec_lo
	v_cmpx_lt_f32_e32 v1, v12
	s_cbranch_execz .LBB210_25
; %bb.24:
	v_mov_b32_e32 v98, v20
	v_dual_mov_b32 v66, v4 :: v_dual_mov_b32 v79, v95
	v_dual_mov_b32 v40, v63 :: v_dual_mov_b32 v41, v64
	;; [unrolled: 1-line block ×3, first 2 shown]
	s_delay_alu instid0(VALU_DEP_3)
	v_dual_mov_b32 v43, v66 :: v_dual_mov_b32 v80, v96
	v_mov_b32_e32 v81, v97
	v_dual_mov_b32 v46, v69 :: v_dual_mov_b32 v83, v99
	v_dual_mov_b32 v42, v65 :: v_dual_mov_b32 v45, v68
	;; [unrolled: 1-line block ×5, first 2 shown]
	v_mov_b32_e32 v44, v3
	v_dual_mov_b32 v55, v79 :: v_dual_mov_b32 v56, v80
	v_dual_mov_b32 v57, v81 :: v_dual_mov_b32 v24, v40
	;; [unrolled: 1-line block ×10, first 2 shown]
	v_mov_b32_e32 v73, v65
	v_dual_mov_b32 v12, v1 :: v_dual_mov_b32 v27, v43
	v_dual_mov_b32 v60, v21 :: v_dual_mov_b32 v61, v22
	;; [unrolled: 1-line block ×8, first 2 shown]
	v_mov_b32_e32 v74, v66
	v_mov_b32_e32 v72, v64
	;; [unrolled: 1-line block ×5, first 2 shown]
.LBB210_25:
	s_or_b32 exec_lo, exec_lo, s2
	v_mov_b32_e32 v1, v13
	s_mov_b32 s2, exec_lo
	v_cmpx_lt_f32_e32 v2, v13
	s_cbranch_execz .LBB210_27
; %bb.26:
	v_mov_b32_e32 v75, v5
	v_dual_mov_b32 v91, v21 :: v_dual_mov_b32 v24, v71
	v_mov_b32_e32 v30, v77
	v_mov_b32_e32 v30, v6
	v_mov_b32_e32 v31, v78
	v_mov_b32_e32 v29, v76
	v_dual_mov_b32 v55, v87 :: v_dual_mov_b32 v60, v92
	v_dual_mov_b32 v79, v87 :: v_dual_mov_b32 v82, v90
	;; [unrolled: 1-line block ×17, first 2 shown]
	v_mov_b32_e32 v21, v20
	v_mov_b32_e32 v5, v4
	;; [unrolled: 1-line block ×4, first 2 shown]
.LBB210_27:
	s_or_b32 exec_lo, exec_lo, s2
	v_mov_b32_e32 v2, v14
	s_mov_b32 s2, exec_lo
	v_cmpx_lt_f32_e32 v1, v14
	s_cbranch_execz .LBB210_29
; %bb.28:
	v_dual_mov_b32 v45, v6 :: v_dual_mov_b32 v46, v5
	v_dual_mov_b32 v84, v22 :: v_dual_mov_b32 v85, v21
	;; [unrolled: 1-line block ×12, first 2 shown]
	v_mov_b32_e32 v2, v1
.LBB210_29:
	s_or_b32 exec_lo, exec_lo, s2
	s_delay_alu instid0(VALU_DEP_1)
	v_cmp_lt_f32_e32 vcc_lo, v2, v15
	v_dual_mov_b32 v40, v56 :: v_dual_mov_b32 v43, v59
	v_cmp_lt_f32_e64 s2, v8, v9
	v_dual_mov_b32 v41, v57 :: v_dual_mov_b32 v42, v58
	v_dual_cndmask_b32 v23, v15, v2 :: v_dual_cndmask_b32 v14, v14, v15
	v_dual_cndmask_b32 v46, v62, v61 :: v_dual_mov_b32 v39, v55
	s_delay_alu instid0(VALU_DEP_2) | instskip(SKIP_3) | instid1(VALU_DEP_4)
	v_dual_mov_b32 v44, v60 :: v_dual_mov_b32 v15, v23
	v_cndmask_b32_e32 v45, v61, v62, vcc_lo
	v_dual_cndmask_b32 v54, v31, v30 :: v_dual_cndmask_b32 v53, v30, v31
	v_dual_mov_b32 v47, v24 :: v_dual_mov_b32 v50, v27
	v_mov_b32_e32 v22, v15
	v_dual_mov_b32 v21, v14 :: v_dual_mov_b32 v20, v13
	v_dual_mov_b32 v19, v12 :: v_dual_mov_b32 v18, v11
	v_dual_mov_b32 v17, v10 :: v_dual_mov_b32 v16, v9
	v_dual_mov_b32 v15, v8 :: v_dual_mov_b32 v48, v25
	v_dual_mov_b32 v49, v26 :: v_dual_mov_b32 v52, v29
	v_mov_b32_e32 v51, v28
	s_and_saveexec_b32 s3, s2
	s_delay_alu instid0(SALU_CYCLE_1)
	s_xor_b32 s2, exec_lo, s3
	s_cbranch_execz .LBB210_31
; %bb.30:
	v_dual_mov_b32 v16, v9 :: v_dual_mov_b32 v17, v8
	v_dual_mov_b32 v18, v10 :: v_dual_mov_b32 v19, v11
	;; [unrolled: 1-line block ×4, first 2 shown]
	s_delay_alu instid0(VALU_DEP_4)
	v_dual_mov_b32 v15, v16 :: v_dual_mov_b32 v40, v55
	v_dual_mov_b32 v16, v17 :: v_dual_mov_b32 v39, v56
	;; [unrolled: 1-line block ×10, first 2 shown]
.LBB210_31:
	s_or_b32 exec_lo, exec_lo, s2
	v_dual_mov_b32 v31, v39 :: v_dual_mov_b32 v32, v40
	v_dual_mov_b32 v78, v46 :: v_dual_mov_b32 v77, v45
	;; [unrolled: 1-line block ×22, first 2 shown]
	v_mov_b32_e32 v10, v17
	s_mov_b32 s2, exec_lo
	v_dual_mov_b32 v76, v44 :: v_dual_mov_b32 v75, v43
	v_dual_mov_b32 v68, v52 :: v_dual_mov_b32 v67, v51
	v_cmpx_lt_f32_e32 v9, v17
	s_cbranch_execz .LBB210_33
; %bb.32:
	v_dual_mov_b32 v1, v47 :: v_dual_mov_b32 v2, v48
	v_dual_mov_b32 v7, v53 :: v_dual_mov_b32 v8, v54
	v_mov_b32_e32 v2, v49
	v_dual_mov_b32 v3, v49 :: v_dual_mov_b32 v4, v50
	v_dual_mov_b32 v5, v51 :: v_dual_mov_b32 v6, v52
	;; [unrolled: 1-line block ×7, first 2 shown]
	v_mov_b32_e32 v57, v40
	v_dual_mov_b32 v70, v8 :: v_dual_mov_b32 v69, v7
	v_dual_mov_b32 v64, v2 :: v_dual_mov_b32 v63, v1
	;; [unrolled: 1-line block ×6, first 2 shown]
	v_mov_b32_e32 v66, v50
	v_dual_mov_b32 v16, v17 :: v_dual_mov_b32 v75, v59
	v_dual_mov_b32 v17, v9 :: v_dual_mov_b32 v76, v60
	;; [unrolled: 1-line block ×17, first 2 shown]
.LBB210_33:
	s_or_b32 exec_lo, exec_lo, s2
	v_mov_b32_e32 v9, v18
	s_mov_b32 s2, exec_lo
	s_delay_alu instid0(VALU_DEP_2)
	v_cmpx_lt_f32_e32 v10, v18
	s_cbranch_execz .LBB210_35
; %bb.34:
	v_mov_b32_e32 v3, v50
	v_dual_mov_b32 v57, v42 :: v_dual_mov_b32 v70, v8
	v_mov_b32_e32 v66, v4
	v_dual_mov_b32 v78, v62 :: v_dual_mov_b32 v77, v61
	v_mov_b32_e32 v66, v49
	v_mov_b32_e32 v63, v1
	;; [unrolled: 1-line block ×3, first 2 shown]
	v_dual_mov_b32 v69, v7 :: v_dual_mov_b32 v68, v6
	v_dual_mov_b32 v67, v5 :: v_dual_mov_b32 v64, v2
	;; [unrolled: 1-line block ×4, first 2 shown]
	v_mov_b32_e32 v65, v3
	v_dual_mov_b32 v73, v57 :: v_dual_mov_b32 v72, v56
	v_mov_b32_e32 v74, v41
	v_dual_mov_b32 v18, v10 :: v_dual_mov_b32 v23, v63
	v_dual_mov_b32 v24, v64 :: v_dual_mov_b32 v31, v71
	s_delay_alu instid0(VALU_DEP_4)
	v_dual_mov_b32 v32, v72 :: v_dual_mov_b32 v27, v67
	v_dual_mov_b32 v28, v68 :: v_dual_mov_b32 v29, v69
	;; [unrolled: 1-line block ×10, first 2 shown]
	v_mov_b32_e32 v38, v46
	v_dual_mov_b32 v9, v10 :: v_dual_mov_b32 v42, v41
	v_mov_b32_e32 v50, v49
.LBB210_35:
	s_or_b32 exec_lo, exec_lo, s2
	v_mov_b32_e32 v4, v19
	s_mov_b32 s2, exec_lo
	v_cmpx_lt_f32_e32 v9, v19
	s_cbranch_execz .LBB210_37
; %bb.36:
	v_mov_b32_e32 v4, v51
	v_dual_mov_b32 v18, v19 :: v_dual_mov_b32 v19, v9
	v_mov_b32_e32 v58, v43
	v_dual_mov_b32 v30, v8 :: v_dual_mov_b32 v29, v7
	v_dual_mov_b32 v28, v6 :: v_dual_mov_b32 v25, v3
	v_dual_mov_b32 v23, v1 :: v_dual_mov_b32 v28, v52
	v_mov_b32_e32 v31, v55
	v_dual_mov_b32 v27, v5 :: v_dual_mov_b32 v32, v56
	v_dual_mov_b32 v35, v59 :: v_dual_mov_b32 v34, v58
	v_dual_mov_b32 v37, v61 :: v_dual_mov_b32 v36, v60
	v_mov_b32_e32 v35, v42
	v_dual_mov_b32 v38, v62 :: v_dual_mov_b32 v37, v45
	v_dual_mov_b32 v78, v62 :: v_dual_mov_b32 v73, v57
	v_dual_mov_b32 v70, v8 :: v_dual_mov_b32 v65, v3
	v_dual_mov_b32 v26, v4 :: v_dual_mov_b32 v27, v50
	;; [unrolled: 1-line block ×11, first 2 shown]
	v_mov_b32_e32 v64, v2
	v_dual_mov_b32 v4, v9 :: v_dual_mov_b32 v51, v50
.LBB210_37:
	s_or_b32 exec_lo, exec_lo, s2
	v_mov_b32_e32 v1, v20
	s_mov_b32 s2, exec_lo
	s_delay_alu instid0(VALU_DEP_2)
	v_cmpx_lt_f32_e32 v4, v20
	s_cbranch_execz .LBB210_39
; %bb.38:
	v_dual_mov_b32 v67, v52 :: v_dual_mov_b32 v68, v51
	v_dual_mov_b32 v69, v53 :: v_dual_mov_b32 v76, v43
	;; [unrolled: 1-line block ×4, first 2 shown]
	v_mov_b32_e32 v19, v20
	v_dual_mov_b32 v20, v4 :: v_dual_mov_b32 v31, v71
	v_dual_mov_b32 v23, v63 :: v_dual_mov_b32 v24, v64
	;; [unrolled: 1-line block ×9, first 2 shown]
.LBB210_39:
	s_or_b32 exec_lo, exec_lo, s2
	s_delay_alu instid0(VALU_DEP_1)
	v_cmp_lt_f32_e32 vcc_lo, v1, v21
	v_mov_b32_e32 v4, v18
	v_mov_b32_e32 v8, v22
	s_mov_b32 s2, exec_lo
	v_dual_mov_b32 v2, v16 :: v_dual_cndmask_b32 v9, v37, v36
	v_cndmask_b32_e32 v36, v36, v37, vcc_lo
	v_cndmask_b32_e32 v10, v29, v28, vcc_lo
	v_dual_cndmask_b32 v28, v28, v29 :: v_dual_mov_b32 v3, v17
	v_cndmask_b32_e32 v7, v21, v1, vcc_lo
	v_dual_cndmask_b32 v6, v20, v21 :: v_dual_mov_b32 v5, v19
	v_mov_b32_e32 v1, v15
	v_cmpx_lt_f32_e32 v15, v16
	s_cbranch_execz .LBB210_41
; %bb.40:
	s_delay_alu instid0(VALU_DEP_2)
	v_dual_mov_b32 v39, v2 :: v_dual_mov_b32 v40, v1
	v_dual_mov_b32 v41, v3 :: v_dual_mov_b32 v42, v4
	;; [unrolled: 1-line block ×4, first 2 shown]
	v_mov_b32_e32 v11, v31
	v_mov_b32_e32 v12, v23
	v_dual_mov_b32 v1, v39 :: v_dual_mov_b32 v4, v42
	v_swap_b32 v31, v32
	v_swap_b32 v23, v24
	v_dual_mov_b32 v2, v40 :: v_dual_mov_b32 v3, v41
	v_dual_mov_b32 v5, v43 :: v_dual_mov_b32 v6, v44
	;; [unrolled: 1-line block ×3, first 2 shown]
	v_mov_b32_e32 v16, v15
.LBB210_41:
	s_or_b32 exec_lo, exec_lo, s2
	v_mov_b32_e32 v29, v10
	v_dual_mov_b32 v37, v9 :: v_dual_mov_b32 v54, v30
	v_mov_b32_e32 v46, v38
	v_dual_mov_b32 v44, v36 :: v_dual_mov_b32 v39, v31
	v_dual_mov_b32 v70, v38 :: v_dual_mov_b32 v49, v25
	s_delay_alu instid0(VALU_DEP_4)
	v_dual_mov_b32 v62, v30 :: v_dual_mov_b32 v45, v37
	v_dual_mov_b32 v43, v35 :: v_dual_mov_b32 v42, v34
	;; [unrolled: 1-line block ×12, first 2 shown]
	v_mov_b32_e32 v57, v25
	v_mov_b32_e32 v55, v23
	;; [unrolled: 1-line block ×3, first 2 shown]
	s_mov_b32 s2, exec_lo
	v_cmpx_lt_f32_e32 v16, v3
	s_cbranch_execz .LBB210_43
; %bb.42:
	v_dual_mov_b32 v62, v30 :: v_dual_mov_b32 v61, v29
	v_dual_mov_b32 v58, v26 :: v_dual_mov_b32 v57, v25
	;; [unrolled: 1-line block ×7, first 2 shown]
	s_delay_alu instid0(VALU_DEP_4)
	v_dual_mov_b32 v47, v55 :: v_dual_mov_b32 v48, v56
	v_dual_mov_b32 v68, v36 :: v_dual_mov_b32 v67, v35
	;; [unrolled: 1-line block ×16, first 2 shown]
	v_mov_b32_e32 v44, v36
	v_dual_mov_b32 v46, v38 :: v_dual_mov_b32 v11, v16
	v_mov_b32_e32 v33, v32
	v_mov_b32_e32 v25, v24
.LBB210_43:
	s_or_b32 exec_lo, exec_lo, s2
	v_mov_b32_e32 v12, v4
	s_mov_b32 s2, exec_lo
	v_cmpx_lt_f32_e32 v11, v4
	s_cbranch_execz .LBB210_45
; %bb.44:
	v_mov_b32_e32 v57, v26
	v_dual_mov_b32 v3, v4 :: v_dual_mov_b32 v4, v11
	v_mov_b32_e32 v65, v34
	v_dual_mov_b32 v47, v55 :: v_dual_mov_b32 v52, v60
	v_dual_mov_b32 v48, v56 :: v_dual_mov_b32 v39, v63
	;; [unrolled: 1-line block ×3, first 2 shown]
	v_mov_b32_e32 v54, v62
	v_dual_mov_b32 v50, v58 :: v_dual_mov_b32 v51, v59
	v_mov_b32_e32 v50, v25
	v_dual_mov_b32 v53, v61 :: v_dual_mov_b32 v52, v28
	v_dual_mov_b32 v41, v65 :: v_dual_mov_b32 v44, v68
	;; [unrolled: 1-line block ×8, first 2 shown]
	v_mov_b32_e32 v12, v11
	v_mov_b32_e32 v34, v33
	;; [unrolled: 1-line block ×3, first 2 shown]
.LBB210_45:
	s_or_b32 exec_lo, exec_lo, s2
	v_mov_b32_e32 v11, v5
	s_mov_b32 s2, exec_lo
	v_cmpx_lt_f32_e32 v12, v5
	s_cbranch_execz .LBB210_47
; %bb.46:
	v_dual_mov_b32 v68, v36 :: v_dual_mov_b32 v69, v9
	v_dual_mov_b32 v58, v27 :: v_dual_mov_b32 v59, v26
	;; [unrolled: 1-line block ×4, first 2 shown]
	v_mov_b32_e32 v70, v38
	v_dual_mov_b32 v4, v5 :: v_dual_mov_b32 v5, v12
	v_dual_mov_b32 v62, v30 :: v_dual_mov_b32 v39, v63
	;; [unrolled: 1-line block ×10, first 2 shown]
.LBB210_47:
	s_or_b32 exec_lo, exec_lo, s2
	s_delay_alu instid0(VALU_DEP_1)
	v_cmp_lt_f32_e32 vcc_lo, v11, v6
	v_dual_mov_b32 v19, v1 :: v_dual_mov_b32 v26, v8
	v_mov_b32_e32 v21, v3
	v_mov_b32_e32 v25, v7
	v_dual_cndmask_b32 v27, v44, v43 :: v_dual_mov_b32 v20, v2
	v_dual_cndmask_b32 v43, v43, v44 :: v_dual_cndmask_b32 v28, v52, v51
	v_dual_cndmask_b32 v51, v51, v52 :: v_dual_cndmask_b32 v24, v6, v11
	v_dual_cndmask_b32 v23, v5, v6 :: v_dual_mov_b32 v22, v4
	s_mov_b32 s2, exec_lo
	v_cmpx_lt_f32_e32 v1, v2
	s_cbranch_execz .LBB210_49
; %bb.48:
	v_dual_mov_b32 v8, v25 :: v_dual_mov_b32 v9, v26
	v_dual_mov_b32 v2, v20 :: v_dual_mov_b32 v3, v19
	;; [unrolled: 1-line block ×4, first 2 shown]
	v_mov_b32_e32 v10, v39
	v_dual_mov_b32 v11, v47 :: v_dual_mov_b32 v26, v9
	v_swap_b32 v39, v40
	v_swap_b32 v47, v48
	v_dual_mov_b32 v25, v8 :: v_dual_mov_b32 v24, v7
	v_dual_mov_b32 v23, v6 :: v_dual_mov_b32 v22, v5
	;; [unrolled: 1-line block ×4, first 2 shown]
.LBB210_49:
	s_or_b32 exec_lo, exec_lo, s2
	v_mov_b32_e32 v52, v28
	v_mov_b32_e32 v44, v27
	;; [unrolled: 1-line block ×4, first 2 shown]
	v_dual_mov_b32 v11, v39 :: v_dual_mov_b32 v4, v48
	v_dual_mov_b32 v12, v40 :: v_dual_mov_b32 v13, v41
	;; [unrolled: 1-line block ×7, first 2 shown]
	v_mov_b32_e32 v10, v54
	s_mov_b32 s2, exec_lo
	v_cmpx_lt_f32_e32 v2, v21
	s_cbranch_execz .LBB210_51
; %bb.50:
	v_dual_mov_b32 v3, v47 :: v_dual_mov_b32 v4, v48
	v_dual_mov_b32 v9, v53 :: v_dual_mov_b32 v10, v54
	;; [unrolled: 1-line block ×17, first 2 shown]
	v_mov_b32_e32 v49, v48
.LBB210_51:
	s_or_b32 exec_lo, exec_lo, s2
	v_mov_b32_e32 v29, v22
	s_mov_b32 s2, exec_lo
	v_cmpx_lt_f32_e32 v1, v22
; %bb.52:
	v_dual_mov_b32 v21, v22 :: v_dual_mov_b32 v22, v1
	v_dual_mov_b32 v5, v50 :: v_dual_mov_b32 v6, v49
	;; [unrolled: 1-line block ×7, first 2 shown]
	v_mov_b32_e32 v29, v1
; %bb.53:
	s_or_b32 exec_lo, exec_lo, s2
	s_delay_alu instid0(VALU_DEP_1)
	v_cmp_lt_f32_e32 vcc_lo, v29, v23
	v_dual_mov_b32 v28, v20 :: v_dual_mov_b32 v33, v25
	v_mov_b32_e32 v32, v24
	v_dual_mov_b32 v34, v26 :: v_dual_cndmask_b32 v1, v15, v14
	v_cndmask_b32_e32 v14, v14, v15, vcc_lo
	v_cndmask_b32_e32 v2, v7, v6, vcc_lo
	v_dual_cndmask_b32 v6, v6, v7 :: v_dual_cndmask_b32 v31, v23, v29
	v_dual_cndmask_b32 v30, v22, v23 :: v_dual_mov_b32 v27, v19
	v_mov_b32_e32 v29, v21
	s_mov_b32 s2, exec_lo
	v_cmpx_lt_f32_e32 v19, v20
	s_cbranch_execz .LBB210_55
; %bb.54:
	v_dual_mov_b32 v20, v28 :: v_dual_mov_b32 v21, v27
	v_dual_mov_b32 v26, v33 :: v_dual_mov_b32 v27, v34
	;; [unrolled: 1-line block ×4, first 2 shown]
	s_delay_alu instid0(VALU_DEP_3)
	v_mov_b32_e32 v34, v27
	v_mov_b32_e32 v7, v11
	v_dual_mov_b32 v15, v3 :: v_dual_mov_b32 v28, v21
	v_swap_b32 v11, v12
	v_swap_b32 v3, v4
	v_dual_mov_b32 v33, v26 :: v_dual_mov_b32 v30, v23
	v_dual_mov_b32 v32, v25 :: v_dual_mov_b32 v31, v24
	v_mov_b32_e32 v29, v22
	v_dual_mov_b32 v27, v20 :: v_dual_mov_b32 v20, v19
.LBB210_55:
	s_or_b32 exec_lo, exec_lo, s2
	v_mov_b32_e32 v7, v2
	v_mov_b32_e32 v15, v1
	;; [unrolled: 1-line block ×3, first 2 shown]
	s_mov_b32 s2, exec_lo
	v_cmpx_lt_f32_e32 v20, v29
	s_cbranch_execz .LBB210_57
; %bb.56:
	v_dual_mov_b32 v42, v10 :: v_dual_mov_b32 v41, v9
	v_dual_mov_b32 v40, v8 :: v_dual_mov_b32 v39, v7
	;; [unrolled: 1-line block ×16, first 2 shown]
	v_mov_b32_e32 v18, v9
	s_delay_alu instid0(VALU_DEP_3) | instskip(NEXT) | instid1(VALU_DEP_4)
	v_dual_mov_b32 v16, v7 :: v_dual_mov_b32 v15, v6
	v_dual_mov_b32 v17, v8 :: v_dual_mov_b32 v14, v5
	;; [unrolled: 1-line block ×3, first 2 shown]
	v_mov_b32_e32 v11, v2
	v_dual_mov_b32 v3, v35 :: v_dual_mov_b32 v4, v36
	v_dual_mov_b32 v5, v37 :: v_dual_mov_b32 v6, v38
	;; [unrolled: 1-line block ×4, first 2 shown]
	v_mov_b32_e32 v19, v20
.LBB210_57:
	s_or_b32 exec_lo, exec_lo, s2
	s_delay_alu instid0(VALU_DEP_1)
	v_cmp_lt_f32_e32 vcc_lo, v19, v30
	v_dual_mov_b32 v20, v7 :: v_dual_mov_b32 v21, v8
	v_dual_mov_b32 v22, v9 :: v_dual_mov_b32 v23, v10
	v_dual_cndmask_b32 v1, v14, v13 :: v_dual_cndmask_b32 v36, v5, v6
	v_dual_cndmask_b32 v35, v13, v14 :: v_dual_cndmask_b32 v2, v6, v5
	;; [unrolled: 1-line block ×3, first 2 shown]
	v_dual_mov_b32 v6, v15 :: v_dual_mov_b32 v13, v16
	v_dual_mov_b32 v14, v17 :: v_dual_mov_b32 v19, v18
	;; [unrolled: 1-line block ×4, first 2 shown]
	v_mov_b32_e32 v29, v34
	s_mov_b32 s2, exec_lo
	v_cmpx_lt_f32_e32 v27, v28
	s_cbranch_execz .LBB210_59
; %bb.58:
	v_dual_mov_b32 v24, v28 :: v_dual_mov_b32 v37, v27
	v_dual_mov_b32 v6, v11 :: v_dual_mov_b32 v13, v16
	;; [unrolled: 1-line block ×3, first 2 shown]
	v_swap_b32 v11, v12
	v_swap_b32 v3, v4
	v_dual_mov_b32 v28, v27 :: v_dual_mov_b32 v21, v8
	v_dual_mov_b32 v6, v15 :: v_dual_mov_b32 v23, v10
	v_dual_mov_b32 v14, v17 :: v_dual_mov_b32 v27, v24
	v_dual_mov_b32 v20, v7 :: v_dual_mov_b32 v25, v32
	v_dual_mov_b32 v22, v9 :: v_dual_mov_b32 v29, v34
	v_mov_b32_e32 v24, v31
	v_mov_b32_e32 v26, v33
.LBB210_59:
	s_or_b32 exec_lo, exec_lo, s2
	s_clause 0x1
	s_load_b32 s8, s[0:1], 0x28
	s_load_b128 s[4:7], s[0:1], 0x10
	s_waitcnt lgkmcnt(0)
	s_cmp_lt_i32 s8, 1
	s_cbranch_scc1 .LBB210_65
; %bb.60:
	v_cmp_lt_f32_e32 vcc_lo, v28, v30
	v_mov_b32_e32 v9, 0
	s_mov_b32 s9, 0x76543210
	s_mov_b32 s10, s8
	v_mov_b32_e32 v8, 0
	v_dual_cndmask_b32 v10, v35, v12 :: v_dual_cndmask_b32 v17, v37, v30
	v_cndmask_b32_e32 v7, v36, v4, vcc_lo
	v_cndmask_b32_e32 v15, v4, v36, vcc_lo
	;; [unrolled: 1-line block ×4, first 2 shown]
	v_cmp_lt_f32_e64 s2, v27, v17
	s_delay_alu instid0(VALU_DEP_1)
	v_cndmask_b32_e64 v12, v15, v3, s2
	v_cndmask_b32_e64 v15, v3, v15, s2
	v_mov_b32_e32 v3, 0
	v_cndmask_b32_e64 v16, v17, v27, s2
	v_cndmask_b32_e64 v17, v27, v17, s2
	v_cndmask_b32_e64 v18, v28, v11, s2
	v_cndmask_b32_e64 v11, v11, v28, s2
	v_mov_b32_e32 v27, v0
.LBB210_61:                             ; =>This Inner Loop Header: Depth=1
	v_cmp_eq_u32_e32 vcc_lo, 1, v9
	v_cmp_eq_u32_e64 s2, 2, v9
	v_cmp_gt_u32_e64 s3, 8, v9
	v_dual_cndmask_b32 v28, v17, v16 :: v_dual_cndmask_b32 v31, v11, v18
	v_cndmask_b32_e32 v30, v15, v12, vcc_lo
	v_cmp_eq_u32_e32 vcc_lo, 3, v9
	s_delay_alu instid0(VALU_DEP_3) | instskip(NEXT) | instid1(VALU_DEP_4)
	v_cndmask_b32_e64 v28, v28, v4, s2
	v_cndmask_b32_e64 v31, v31, v10, s2
	s_delay_alu instid0(VALU_DEP_4) | instskip(SKIP_1) | instid1(VALU_DEP_4)
	v_cndmask_b32_e64 v30, v30, v7, s2
	v_cmp_eq_u32_e64 s2, 4, v9
	v_cndmask_b32_e32 v28, v28, v5, vcc_lo
	s_delay_alu instid0(VALU_DEP_3) | instskip(SKIP_1) | instid1(VALU_DEP_3)
	v_dual_cndmask_b32 v31, v31, v1 :: v_dual_cndmask_b32 v30, v30, v2
	v_cmp_eq_u32_e32 vcc_lo, 5, v9
	v_cndmask_b32_e64 v28, v28, v24, s2
	s_delay_alu instid0(VALU_DEP_3) | instskip(NEXT) | instid1(VALU_DEP_4)
	v_cndmask_b32_e64 v31, v31, v6, s2
	v_cndmask_b32_e64 v30, v30, v20, s2
	v_cmp_eq_u32_e64 s2, 6, v9
	s_delay_alu instid0(VALU_DEP_4) | instskip(NEXT) | instid1(VALU_DEP_4)
	v_cndmask_b32_e32 v28, v28, v25, vcc_lo
	v_cndmask_b32_e32 v31, v31, v13, vcc_lo
	s_delay_alu instid0(VALU_DEP_4) | instskip(SKIP_1) | instid1(VALU_DEP_4)
	v_cndmask_b32_e32 v30, v30, v21, vcc_lo
	v_cmp_eq_u32_e32 vcc_lo, 7, v9
	v_cndmask_b32_e64 v28, v28, v26, s2
	s_delay_alu instid0(VALU_DEP_3) | instskip(NEXT) | instid1(VALU_DEP_2)
	v_cndmask_b32_e64 v30, v30, v22, s2
	v_cndmask_b32_e32 v28, v28, v29, vcc_lo
	s_delay_alu instid0(VALU_DEP_2) | instskip(NEXT) | instid1(VALU_DEP_2)
	v_cndmask_b32_e32 v30, v30, v23, vcc_lo
	v_cndmask_b32_e64 v28, 0xff800000, v28, s3
	;;#ASMSTART
	v_max_f32 v32, v28, v28 quad_perm:[1,0,3,2] row_mask:0xf bank_mask:0xf bound_ctrl:1
	;;#ASMEND
	;;#ASMSTART
	v_max_f32 v33, v32, v32 quad_perm:[2,3,0,1] row_mask:0xf bank_mask:0xf bound_ctrl:1
	;;#ASMEND
	;;#ASMSTART
	v_max_f32 v32, v33, v33 row_half_mirror row_mask:0xf bank_mask:0xf bound_ctrl:1
	;;#ASMEND
	;;#ASMSTART
	v_max_f32 v33, v32, v32 row_mirror row_mask:0xf bank_mask:0xf bound_ctrl:1
	;;#ASMEND
	v_permlanex16_b32 v32, v33, s9, 0xfedcba98 op_sel:[1,1]
	s_delay_alu instid0(VALU_DEP_1) | instskip(SKIP_1) | instid1(VALU_DEP_2)
	v_dual_max_f32 v33, v33, v33 :: v_dual_max_f32 v32, v32, v32
	v_cndmask_b32_e64 v31, v31, v14, s2
	v_max_f32_e32 v32, v33, v32
	s_delay_alu instid0(VALU_DEP_1) | instskip(SKIP_1) | instid1(VALU_DEP_2)
	v_cmp_eq_f32_e64 s2, v28, v32
	v_cndmask_b32_e64 v28, 0, v30, s3
	s_ctz_i32_b32 s11, s2
	s_cmp_lg_u32 s2, 0
	s_cselect_b32 s2, s11, 0
	s_add_i32 s10, s10, -1
	v_readlane_b32 s11, v28, s2
	v_cndmask_b32_e32 v28, v31, v19, vcc_lo
	s_delay_alu instid0(VALU_DEP_2)
	v_cmp_eq_u32_e32 vcc_lo, s11, v30
	s_and_b32 s2, s11, 31
	s_and_b32 vcc_lo, s3, vcc_lo
	s_cmp_eq_u32 s10, 0
	v_cndmask_b32_e32 v28, 0, v28, vcc_lo
	v_add_co_ci_u32_e32 v9, vcc_lo, 0, v9, vcc_lo
	s_delay_alu instid0(VALU_DEP_2) | instskip(SKIP_2) | instid1(VALU_DEP_2)
	v_readlane_b32 s3, v28, s2
	v_cmp_eq_u32_e64 s2, 0, v27
	v_add_nc_u32_e32 v27, -1, v27
	v_cndmask_b32_e64 v8, v8, s3, s2
	v_cndmask_b32_e64 v3, v3, s11, s2
	s_cbranch_scc0 .LBB210_61
; %bb.62:
	s_mov_b32 s2, exec_lo
	v_cmpx_gt_i32_e64 s8, v0
	s_cbranch_execz .LBB210_64
.LBB210_63:
	s_clause 0x1
	s_load_b64 s[2:3], s[0:1], 0x20
	s_load_b32 s8, s[0:1], 0x30
	s_ashr_i32 s0, s15, 31
	s_waitcnt lgkmcnt(0)
	s_mul_i32 s1, s15, s3
	s_mul_hi_u32 s3, s15, s2
	s_mul_i32 s0, s0, s2
	s_add_i32 s1, s3, s1
	v_mul_f32_e32 v0, s8, v8
	s_add_i32 s1, s1, s0
	s_mul_i32 s0, s15, s2
	s_delay_alu instid0(SALU_CYCLE_1) | instskip(NEXT) | instid1(SALU_CYCLE_1)
	s_lshl_b64 s[0:1], s[0:1], 2
	s_add_u32 s2, s4, s0
	s_addc_u32 s3, s5, s1
	s_add_u32 s0, s6, s0
	s_addc_u32 s1, s7, s1
	s_clause 0x1
	global_store_b32 v103, v0, s[2:3]
	global_store_b32 v103, v3, s[0:1]
.LBB210_64:
	s_nop 0
	s_sendmsg sendmsg(MSG_DEALLOC_VGPRS)
	s_endpgm
.LBB210_65:
	v_dual_mov_b32 v3, 0 :: v_dual_mov_b32 v8, 0
	s_mov_b32 s2, exec_lo
	v_cmpx_gt_i32_e64 s8, v0
	s_cbranch_execnz .LBB210_63
	s_branch .LBB210_64
	.section	.rodata,"a",@progbits
	.p2align	6, 0x0
	.amdhsa_kernel _ZN5aiter24topk_softplus_kernel_optI12hip_bfloat16fLi256ELb0ELi1EEEvPKT_PKT0_PfPimiif
		.amdhsa_group_segment_fixed_size 0
		.amdhsa_private_segment_fixed_size 0
		.amdhsa_kernarg_size 52
		.amdhsa_user_sgpr_count 15
		.amdhsa_user_sgpr_dispatch_ptr 0
		.amdhsa_user_sgpr_queue_ptr 0
		.amdhsa_user_sgpr_kernarg_segment_ptr 1
		.amdhsa_user_sgpr_dispatch_id 0
		.amdhsa_user_sgpr_private_segment_size 0
		.amdhsa_wavefront_size32 1
		.amdhsa_uses_dynamic_stack 0
		.amdhsa_enable_private_segment 0
		.amdhsa_system_sgpr_workgroup_id_x 1
		.amdhsa_system_sgpr_workgroup_id_y 0
		.amdhsa_system_sgpr_workgroup_id_z 0
		.amdhsa_system_sgpr_workgroup_info 0
		.amdhsa_system_vgpr_workitem_id 0
		.amdhsa_next_free_vgpr 104
		.amdhsa_next_free_sgpr 16
		.amdhsa_reserve_vcc 1
		.amdhsa_float_round_mode_32 0
		.amdhsa_float_round_mode_16_64 0
		.amdhsa_float_denorm_mode_32 3
		.amdhsa_float_denorm_mode_16_64 3
		.amdhsa_dx10_clamp 1
		.amdhsa_ieee_mode 1
		.amdhsa_fp16_overflow 0
		.amdhsa_workgroup_processor_mode 1
		.amdhsa_memory_ordered 1
		.amdhsa_forward_progress 0
		.amdhsa_shared_vgpr_count 0
		.amdhsa_exception_fp_ieee_invalid_op 0
		.amdhsa_exception_fp_denorm_src 0
		.amdhsa_exception_fp_ieee_div_zero 0
		.amdhsa_exception_fp_ieee_overflow 0
		.amdhsa_exception_fp_ieee_underflow 0
		.amdhsa_exception_fp_ieee_inexact 0
		.amdhsa_exception_int_div_zero 0
	.end_amdhsa_kernel
	.section	.text._ZN5aiter24topk_softplus_kernel_optI12hip_bfloat16fLi256ELb0ELi1EEEvPKT_PKT0_PfPimiif,"axG",@progbits,_ZN5aiter24topk_softplus_kernel_optI12hip_bfloat16fLi256ELb0ELi1EEEvPKT_PKT0_PfPimiif,comdat
.Lfunc_end210:
	.size	_ZN5aiter24topk_softplus_kernel_optI12hip_bfloat16fLi256ELb0ELi1EEEvPKT_PKT0_PfPimiif, .Lfunc_end210-_ZN5aiter24topk_softplus_kernel_optI12hip_bfloat16fLi256ELb0ELi1EEEvPKT_PKT0_PfPimiif
                                        ; -- End function
	.section	.AMDGPU.csdata,"",@progbits
; Kernel info:
; codeLenInByte = 6772
; NumSgprs: 18
; NumVgprs: 104
; ScratchSize: 0
; MemoryBound: 0
; FloatMode: 240
; IeeeMode: 1
; LDSByteSize: 0 bytes/workgroup (compile time only)
; SGPRBlocks: 2
; VGPRBlocks: 12
; NumSGPRsForWavesPerEU: 18
; NumVGPRsForWavesPerEU: 104
; Occupancy: 12
; WaveLimiterHint : 0
; COMPUTE_PGM_RSRC2:SCRATCH_EN: 0
; COMPUTE_PGM_RSRC2:USER_SGPR: 15
; COMPUTE_PGM_RSRC2:TRAP_HANDLER: 0
; COMPUTE_PGM_RSRC2:TGID_X_EN: 1
; COMPUTE_PGM_RSRC2:TGID_Y_EN: 0
; COMPUTE_PGM_RSRC2:TGID_Z_EN: 0
; COMPUTE_PGM_RSRC2:TIDIG_COMP_CNT: 0
	.section	.text._ZN5aiter24topk_softplus_kernel_optI12hip_bfloat16fLi384ELb1ELi1EEEvPKT_PKT0_PfPimiif,"axG",@progbits,_ZN5aiter24topk_softplus_kernel_optI12hip_bfloat16fLi384ELb1ELi1EEEvPKT_PKT0_PfPimiif,comdat
	.protected	_ZN5aiter24topk_softplus_kernel_optI12hip_bfloat16fLi384ELb1ELi1EEEvPKT_PKT0_PfPimiif ; -- Begin function _ZN5aiter24topk_softplus_kernel_optI12hip_bfloat16fLi384ELb1ELi1EEEvPKT_PKT0_PfPimiif
	.globl	_ZN5aiter24topk_softplus_kernel_optI12hip_bfloat16fLi384ELb1ELi1EEEvPKT_PKT0_PfPimiif
	.p2align	8
	.type	_ZN5aiter24topk_softplus_kernel_optI12hip_bfloat16fLi384ELb1ELi1EEEvPKT_PKT0_PfPimiif,@function
_ZN5aiter24topk_softplus_kernel_optI12hip_bfloat16fLi384ELb1ELi1EEEvPKT_PKT0_PfPimiif: ; @_ZN5aiter24topk_softplus_kernel_optI12hip_bfloat16fLi384ELb1ELi1EEEvPKT_PKT0_PfPimiif
; %bb.0:
	s_load_b128 s[4:7], s[0:1], 0x0
	s_mul_i32 s2, s15, 0x180
	v_lshlrev_b32_e32 v1, 1, v0
	s_ashr_i32 s3, s2, 31
	v_lshlrev_b32_e32 v183, 2, v0
	s_lshl_b64 s[2:3], s[2:3], 1
	s_waitcnt lgkmcnt(0)
	s_add_u32 s4, s4, s2
	s_addc_u32 s5, s5, s3
	s_cmp_lg_u64 s[6:7], 0
	global_load_u16 v2, v1, s[4:5]
	s_cselect_b32 s2, -1, 0
	s_waitcnt vmcnt(0)
	v_lshlrev_b32_e32 v2, 16, v2
	s_delay_alu instid0(VALU_DEP_1) | instskip(NEXT) | instid1(VALU_DEP_1)
	v_mul_f32_e32 v3, 0xbfb8aa3b, v2
	v_cmp_gt_f32_e32 vcc_lo, 0xc2fc0000, v3
	v_cndmask_b32_e64 v3, 0, 0x42800000, vcc_lo
	s_delay_alu instid0(VALU_DEP_1) | instskip(NEXT) | instid1(VALU_DEP_1)
	v_fmac_f32_e32 v3, 0xbfb8aa3b, v2
	v_exp_f32_e32 v2, v3
	v_cndmask_b32_e64 v3, 1.0, 0x1f800000, vcc_lo
	s_and_b32 vcc_lo, exec_lo, s2
	s_waitcnt_depctr 0xfff
	v_fma_f32 v2, v2, v3, 1.0
	s_delay_alu instid0(VALU_DEP_1) | instskip(SKIP_3) | instid1(VALU_DEP_1)
	v_rcp_f32_e32 v37, v2
	s_waitcnt_depctr 0xfff
	v_mov_b32_e32 v48, v37
	v_add_co_u32 v1, s3, s4, v1
	v_add_co_ci_u32_e64 v2, null, s5, 0, s3
	s_cbranch_vccz .LBB211_2
; %bb.1:
	global_load_b32 v3, v183, s[6:7]
	s_waitcnt vmcnt(0)
	v_add_f32_e32 v48, v37, v3
.LBB211_2:
	global_load_u16 v3, v[1:2], off offset:64
	s_waitcnt vmcnt(0)
	v_lshlrev_b32_e32 v3, 16, v3
	s_delay_alu instid0(VALU_DEP_1) | instskip(NEXT) | instid1(VALU_DEP_1)
	v_mul_f32_e32 v4, 0xbfb8aa3b, v3
	v_cmp_gt_f32_e32 vcc_lo, 0xc2fc0000, v4
	v_cndmask_b32_e64 v4, 0, 0x42800000, vcc_lo
	s_delay_alu instid0(VALU_DEP_1) | instskip(NEXT) | instid1(VALU_DEP_1)
	v_fmac_f32_e32 v4, 0xbfb8aa3b, v3
	v_exp_f32_e32 v3, v4
	v_cndmask_b32_e64 v4, 1.0, 0x1f800000, vcc_lo
	s_and_not1_b32 vcc_lo, exec_lo, s2
	s_waitcnt_depctr 0xfff
	v_fma_f32 v3, v3, v4, 1.0
	s_delay_alu instid0(VALU_DEP_1)
	v_rcp_f32_e32 v14, v3
	v_cndmask_b32_e64 v3, 0, 1, s2
	s_waitcnt_depctr 0xfff
	v_mov_b32_e32 v49, v14
	s_cbranch_vccnz .LBB211_4
; %bb.3:
	global_load_b32 v4, v183, s[6:7] offset:128
	s_waitcnt vmcnt(0)
	v_add_f32_e32 v49, v14, v4
.LBB211_4:
	global_load_u16 v4, v[1:2], off offset:128
	s_waitcnt vmcnt(0)
	v_lshlrev_b32_e32 v4, 16, v4
	s_delay_alu instid0(VALU_DEP_1) | instskip(NEXT) | instid1(VALU_DEP_1)
	v_mul_f32_e32 v5, 0xbfb8aa3b, v4
	v_cmp_gt_f32_e32 vcc_lo, 0xc2fc0000, v5
	v_cndmask_b32_e64 v5, 0, 0x42800000, vcc_lo
	s_delay_alu instid0(VALU_DEP_1) | instskip(NEXT) | instid1(VALU_DEP_1)
	v_fmac_f32_e32 v5, 0xbfb8aa3b, v4
	v_exp_f32_e32 v4, v5
	v_cndmask_b32_e64 v5, 1.0, 0x1f800000, vcc_lo
	v_cmp_ne_u32_e32 vcc_lo, 1, v3
	s_waitcnt_depctr 0xfff
	v_fma_f32 v4, v4, v5, 1.0
	s_delay_alu instid0(VALU_DEP_1)
	v_rcp_f32_e32 v15, v4
	s_waitcnt_depctr 0xfff
	v_mov_b32_e32 v50, v15
	s_cbranch_vccnz .LBB211_6
; %bb.5:
	global_load_b32 v4, v183, s[6:7] offset:256
	s_waitcnt vmcnt(0)
	v_add_f32_e32 v50, v15, v4
.LBB211_6:
	global_load_u16 v4, v[1:2], off offset:192
	s_waitcnt vmcnt(0)
	v_lshlrev_b32_e32 v4, 16, v4
	s_delay_alu instid0(VALU_DEP_1) | instskip(NEXT) | instid1(VALU_DEP_1)
	v_mul_f32_e32 v5, 0xbfb8aa3b, v4
	v_cmp_gt_f32_e32 vcc_lo, 0xc2fc0000, v5
	v_cndmask_b32_e64 v5, 0, 0x42800000, vcc_lo
	s_delay_alu instid0(VALU_DEP_1) | instskip(NEXT) | instid1(VALU_DEP_1)
	v_fmac_f32_e32 v5, 0xbfb8aa3b, v4
	v_exp_f32_e32 v4, v5
	v_cndmask_b32_e64 v5, 1.0, 0x1f800000, vcc_lo
	v_cmp_ne_u32_e32 vcc_lo, 1, v3
	s_waitcnt_depctr 0xfff
	v_fma_f32 v4, v4, v5, 1.0
	s_delay_alu instid0(VALU_DEP_1)
	v_rcp_f32_e32 v16, v4
	;; [unrolled: 24-line block ×10, first 2 shown]
	s_cbranch_vccnz .LBB211_24
; %bb.23:
	global_load_b32 v1, v183, s[6:7] offset:1408
	s_waitcnt vmcnt(0)
	v_add_f32_e32 v59, v24, v1
	s_branch .LBB211_25
.LBB211_24:
	s_waitcnt_depctr 0xfff
	v_mov_b32_e32 v59, v24
.LBB211_25:
	v_dual_mov_b32 v1, v48 :: v_dual_add_nc_u32 v26, 32, v0
	v_dual_mov_b32 v2, v49 :: v_dual_add_nc_u32 v27, 64, v0
	;; [unrolled: 1-line block ×11, first 2 shown]
	v_dual_mov_b32 v12, v59 :: v_dual_mov_b32 v13, v37
	v_mov_b32_e32 v25, v0
	s_mov_b32 s2, exec_lo
	v_cmpx_lt_f32_e32 v48, v49
	s_xor_b32 s2, exec_lo, s2
; %bb.26:
	v_dual_mov_b32 v1, v49 :: v_dual_mov_b32 v2, v48
	v_dual_mov_b32 v3, v50 :: v_dual_mov_b32 v4, v51
	;; [unrolled: 1-line block ×6, first 2 shown]
	v_mov_b32_e32 v49, v48
	v_dual_mov_b32 v13, v14 :: v_dual_mov_b32 v14, v37
	v_dual_mov_b32 v25, v26 :: v_dual_mov_b32 v26, v0
; %bb.27:
	s_or_b32 exec_lo, exec_lo, s2
	v_dual_mov_b32 v122, v24 :: v_dual_mov_b32 v119, v21
	v_dual_mov_b32 v86, v24 :: v_dual_mov_b32 v85, v23
	;; [unrolled: 1-line block ×37, first 2 shown]
	s_clause 0x8
	scratch_store_b128 off, v[13:16], off
	scratch_store_b128 off, v[17:20], off offset:16
	scratch_store_b128 off, v[21:24], off offset:32
	;; [unrolled: 1-line block ×8, first 2 shown]
	v_dual_mov_b32 v72, v34 :: v_dual_mov_b32 v69, v31
	v_dual_mov_b32 v70, v32 :: v_dual_mov_b32 v67, v29
	;; [unrolled: 1-line block ×29, first 2 shown]
	v_mov_b32_e32 v160, v26
	s_clause 0x2
	scratch_store_b128 off, v[25:28], off offset:144
	scratch_store_b128 off, v[29:32], off offset:160
	;; [unrolled: 1-line block ×3, first 2 shown]
	s_mov_b32 s2, exec_lo
	v_dual_mov_b32 v182, v36 :: v_dual_mov_b32 v179, v33
	v_dual_mov_b32 v181, v35 :: v_dual_mov_b32 v180, v34
	;; [unrolled: 1-line block ×6, first 2 shown]
	v_cmpx_lt_f32_e32 v49, v3
	s_cbranch_execz .LBB211_29
; %bb.28:
	v_dual_mov_b32 v182, v36 :: v_dual_mov_b32 v179, v33
	v_dual_mov_b32 v174, v28 :: v_dual_mov_b32 v171, v25
	;; [unrolled: 1-line block ×3, first 2 shown]
	v_mov_b32_e32 v172, v26
	v_dual_mov_b32 v62, v49 :: v_dual_mov_b32 v181, v35
	v_dual_mov_b32 v180, v34 :: v_dual_mov_b32 v177, v31
	;; [unrolled: 1-line block ×11, first 2 shown]
	v_mov_b32_e32 v125, v14
	v_dual_mov_b32 v162, v174 :: v_dual_mov_b32 v163, v175
	v_dual_mov_b32 v164, v176 :: v_dual_mov_b32 v165, v177
	;; [unrolled: 1-line block ×5, first 2 shown]
	v_mov_b32_e32 v162, v28
	v_dual_mov_b32 v170, v182 :: v_dual_mov_b32 v37, v159
	s_clause 0x2
	scratch_store_b128 off, v[123:126], off offset:96
	scratch_store_b128 off, v[127:130], off offset:112
	;; [unrolled: 1-line block ×3, first 2 shown]
	v_dual_mov_b32 v42, v164 :: v_dual_mov_b32 v47, v169
	v_dual_mov_b32 v126, v16 :: v_dual_mov_b32 v45, v167
	v_dual_mov_b32 v43, v165 :: v_dual_mov_b32 v44, v166
	v_dual_mov_b32 v39, v161 :: v_dual_mov_b32 v46, v168
	v_dual_mov_b32 v163, v29 :: v_dual_mov_b32 v48, v170
	v_mov_b32_e32 v38, v160
	v_mov_b32_e32 v40, v162
	s_clause 0x2
	scratch_store_b128 off, v[37:40], off offset:144
	scratch_store_b128 off, v[41:44], off offset:160
	;; [unrolled: 1-line block ×3, first 2 shown]
	v_dual_mov_b32 v2, v3 :: v_dual_mov_b32 v3, v49
	v_mov_b32_e32 v147, v159
	v_mov_b32_e32 v127, v17
	;; [unrolled: 1-line block ×3, first 2 shown]
	v_dual_mov_b32 v151, v163 :: v_dual_mov_b32 v148, v160
	v_dual_mov_b32 v153, v165 :: v_dual_mov_b32 v152, v164
	v_dual_mov_b32 v157, v169 :: v_dual_mov_b32 v154, v166
	v_mov_b32_e32 v158, v170
	v_dual_mov_b32 v150, v162 :: v_dual_mov_b32 v155, v167
	v_mov_b32_e32 v156, v168
	v_mov_b32_e32 v152, v30
	;; [unrolled: 1-line block ×3, first 2 shown]
	v_dual_mov_b32 v27, v26 :: v_dual_mov_b32 v42, v128
	v_mov_b32_e32 v37, v123
	v_dual_mov_b32 v43, v129 :: v_dual_mov_b32 v44, v130
	v_mov_b32_e32 v39, v125
	v_dual_mov_b32 v45, v131 :: v_dual_mov_b32 v46, v132
	v_dual_mov_b32 v47, v133 :: v_dual_mov_b32 v48, v134
	v_mov_b32_e32 v38, v124
	v_mov_b32_e32 v40, v126
	s_clause 0x2
	scratch_store_b128 off, v[37:40], off offset:48
	scratch_store_b128 off, v[41:44], off offset:64
	;; [unrolled: 1-line block ×3, first 2 shown]
	v_mov_b32_e32 v37, v123
	v_mov_b32_e32 v39, v125
	v_dual_mov_b32 v41, v127 :: v_dual_mov_b32 v38, v124
	v_mov_b32_e32 v99, v147
	v_mov_b32_e32 v105, v153
	v_dual_mov_b32 v105, v31 :: v_dual_mov_b32 v106, v154
	v_dual_mov_b32 v40, v126 :: v_dual_mov_b32 v101, v149
	;; [unrolled: 1-line block ×3, first 2 shown]
	v_mov_b32_e32 v110, v158
	v_mov_b32_e32 v50, v123
	v_dual_mov_b32 v100, v148 :: v_dual_mov_b32 v107, v155
	v_dual_mov_b32 v102, v150 :: v_dual_mov_b32 v109, v157
	;; [unrolled: 1-line block ×7, first 2 shown]
	v_mov_b32_e32 v58, v131
	v_mov_b32_e32 v56, v19
	s_clause 0x2
	scratch_store_b128 off, v[37:40], off
	scratch_store_b128 off, v[41:44], off offset:16
	scratch_store_b128 off, v[45:48], off offset:32
	v_dual_mov_b32 v60, v133 :: v_dual_mov_b32 v55, v128
	v_mov_b32_e32 v37, v99
	v_mov_b32_e32 v41, v103
	;; [unrolled: 1-line block ×3, first 2 shown]
	v_dual_mov_b32 v43, v105 :: v_dual_mov_b32 v48, v110
	v_dual_mov_b32 v38, v100 :: v_dual_mov_b32 v45, v107
	v_mov_b32_e32 v44, v106
	v_dual_mov_b32 v122, v61 :: v_dual_mov_b32 v113, v52
	v_dual_mov_b32 v40, v102 :: v_dual_mov_b32 v47, v109
	;; [unrolled: 1-line block ×7, first 2 shown]
	v_mov_b32_e32 v114, v53
	v_mov_b32_e32 v116, v55
	;; [unrolled: 1-line block ×4, first 2 shown]
	v_dual_mov_b32 v98, v48 :: v_dual_mov_b32 v95, v45
	v_mov_b32_e32 v95, v33
	v_mov_b32_e32 v93, v43
	;; [unrolled: 1-line block ×4, first 2 shown]
	v_dual_mov_b32 v87, v37 :: v_dual_mov_b32 v146, v122
	v_dual_mov_b32 v137, v113 :: v_dual_mov_b32 v96, v46
	;; [unrolled: 1-line block ×3, first 2 shown]
	v_mov_b32_e32 v135, v111
	v_dual_mov_b32 v97, v47 :: v_dual_mov_b32 v94, v44
	v_dual_mov_b32 v92, v42 :: v_dual_mov_b32 v143, v119
	;; [unrolled: 1-line block ×4, first 2 shown]
	v_mov_b32_e32 v138, v114
	v_dual_mov_b32 v142, v118 :: v_dual_mov_b32 v143, v21
	v_dual_mov_b32 v140, v116 :: v_dual_mov_b32 v63, v87
	;; [unrolled: 1-line block ×8, first 2 shown]
	v_mov_b32_e32 v86, v146
	v_dual_mov_b32 v64, v88 :: v_dual_mov_b32 v69, v93
	v_dual_mov_b32 v66, v90 :: v_dual_mov_b32 v71, v95
	;; [unrolled: 1-line block ×7, first 2 shown]
	v_mov_b32_e32 v82, v142
	v_mov_b32_e32 v84, v22
	;; [unrolled: 1-line block ×3, first 2 shown]
.LBB211_29:
	s_or_b32 exec_lo, exec_lo, s2
	v_mov_b32_e32 v13, v4
	s_mov_b32 s2, exec_lo
	v_cmpx_lt_f32_e32 v62, v4
	s_cbranch_execz .LBB211_31
; %bb.30:
	s_clause 0x2
	scratch_load_b128 v[37:40], off, off offset:96
	scratch_load_b128 v[41:44], off, off offset:112
	;; [unrolled: 1-line block ×3, first 2 shown]
	v_dual_mov_b32 v173, v28 :: v_dual_mov_b32 v28, v27
	v_mov_b32_e32 v3, v4
	s_waitcnt vmcnt(0)
	v_dual_mov_b32 v13, v62 :: v_dual_mov_b32 v134, v48
	v_dual_mov_b32 v133, v47 :: v_dual_mov_b32 v124, v38
	;; [unrolled: 1-line block ×3, first 2 shown]
	v_mov_b32_e32 v125, v16
	v_dual_mov_b32 v159, v171 :: v_dual_mov_b32 v160, v172
	s_delay_alu instid0(VALU_DEP_3) | instskip(NEXT) | instid1(VALU_DEP_3)
	v_dual_mov_b32 v162, v174 :: v_dual_mov_b32 v37, v123
	v_dual_mov_b32 v38, v124 :: v_dual_mov_b32 v39, v125
	;; [unrolled: 1-line block ×5, first 2 shown]
	v_mov_b32_e32 v126, v15
	s_clause 0x2
	scratch_store_b128 off, v[37:40], off offset:96
	scratch_store_b128 off, v[41:44], off offset:112
	;; [unrolled: 1-line block ×3, first 2 shown]
	v_dual_mov_b32 v161, v173 :: v_dual_mov_b32 v164, v176
	v_dual_mov_b32 v167, v179 :: v_dual_mov_b32 v170, v182
	;; [unrolled: 1-line block ×5, first 2 shown]
	s_delay_alu instid0(VALU_DEP_2) | instskip(SKIP_2) | instid1(VALU_DEP_4)
	v_dual_mov_b32 v42, v164 :: v_dual_mov_b32 v43, v165
	v_dual_mov_b32 v48, v170 :: v_dual_mov_b32 v37, v159
	;; [unrolled: 1-line block ×6, first 2 shown]
	s_clause 0x2
	scratch_store_b128 off, v[37:40], off offset:144
	scratch_store_b128 off, v[41:44], off offset:160
	;; [unrolled: 1-line block ×3, first 2 shown]
	v_dual_mov_b32 v42, v128 :: v_dual_mov_b32 v43, v129
	v_dual_mov_b32 v48, v134 :: v_dual_mov_b32 v37, v123
	;; [unrolled: 1-line block ×6, first 2 shown]
	s_clause 0x2
	scratch_store_b128 off, v[37:40], off offset:48
	scratch_store_b128 off, v[41:44], off offset:64
	;; [unrolled: 1-line block ×3, first 2 shown]
	v_dual_mov_b32 v147, v159 :: v_dual_mov_b32 v148, v160
	v_dual_mov_b32 v151, v163 :: v_dual_mov_b32 v152, v164
	v_dual_mov_b32 v153, v165 :: v_dual_mov_b32 v154, v166
	v_dual_mov_b32 v157, v169 :: v_dual_mov_b32 v158, v170
	v_dual_mov_b32 v149, v161 :: v_dual_mov_b32 v150, v162
	v_dual_mov_b32 v152, v30 :: v_dual_mov_b32 v37, v123
	v_dual_mov_b32 v155, v167 :: v_dual_mov_b32 v156, v168
	v_dual_mov_b32 v38, v124 :: v_dual_mov_b32 v39, v125
	v_dual_mov_b32 v40, v126 :: v_dual_mov_b32 v41, v127
	v_dual_mov_b32 v128, v18 :: v_dual_mov_b32 v99, v147
	s_delay_alu instid0(VALU_DEP_4)
	v_dual_mov_b32 v106, v154 :: v_dual_mov_b32 v107, v155
	v_mov_b32_e32 v110, v158
	v_dual_mov_b32 v100, v148 :: v_dual_mov_b32 v101, v149
	v_dual_mov_b32 v104, v152 :: v_dual_mov_b32 v105, v153
	;; [unrolled: 1-line block ×5, first 2 shown]
	v_mov_b32_e32 v61, v134
	s_clause 0x2
	scratch_store_b128 off, v[37:40], off
	scratch_store_b128 off, v[41:44], off offset:16
	scratch_store_b128 off, v[45:48], off offset:32
	v_dual_mov_b32 v54, v127 :: v_dual_mov_b32 v55, v128
	v_dual_mov_b32 v56, v129 :: v_dual_mov_b32 v57, v130
	;; [unrolled: 1-line block ×8, first 2 shown]
	v_mov_b32_e32 v48, v110
	v_mov_b32_e32 v44, v32
	v_dual_mov_b32 v42, v104 :: v_dual_mov_b32 v43, v105
	v_dual_mov_b32 v46, v108 :: v_dual_mov_b32 v47, v109
	;; [unrolled: 1-line block ×9, first 2 shown]
	v_mov_b32_e32 v114, v53
	v_mov_b32_e32 v112, v51
	v_dual_mov_b32 v98, v48 :: v_dual_mov_b32 v91, v41
	v_dual_mov_b32 v94, v44 :: v_dual_mov_b32 v87, v37
	;; [unrolled: 1-line block ×3, first 2 shown]
	v_mov_b32_e32 v89, v39
	v_mov_b32_e32 v95, v45
	v_dual_mov_b32 v93, v43 :: v_dual_mov_b32 v146, v122
	v_dual_mov_b32 v143, v119 :: v_dual_mov_b32 v140, v116
	;; [unrolled: 1-line block ×15, first 2 shown]
	v_mov_b32_e32 v86, v146
	v_dual_mov_b32 v64, v88 :: v_dual_mov_b32 v65, v89
	v_dual_mov_b32 v66, v90 :: v_dual_mov_b32 v67, v91
	;; [unrolled: 1-line block ×8, first 2 shown]
	v_mov_b32_e32 v84, v22
	v_mov_b32_e32 v86, v24
.LBB211_31:
	s_or_b32 exec_lo, exec_lo, s2
	v_mov_b32_e32 v14, v5
	s_mov_b32 s2, exec_lo
	v_cmpx_lt_f32_e32 v13, v5
	s_cbranch_execz .LBB211_33
; %bb.32:
	s_clause 0x2
	scratch_load_b128 v[37:40], off, off offset:96
	scratch_load_b128 v[41:44], off, off offset:112
	;; [unrolled: 1-line block ×3, first 2 shown]
	v_mov_b32_e32 v174, v29
	v_mov_b32_e32 v14, v13
	;; [unrolled: 1-line block ×3, first 2 shown]
	v_dual_mov_b32 v17, v16 :: v_dual_mov_b32 v4, v5
	v_mov_b32_e32 v29, v28
	s_waitcnt vmcnt(0)
	v_dual_mov_b32 v73, v48 :: v_dual_mov_b32 v64, v39
	v_dual_mov_b32 v70, v45 :: v_dual_mov_b32 v69, v44
	;; [unrolled: 1-line block ×18, first 2 shown]
	v_mov_b32_e32 v127, v16
	v_dual_mov_b32 v147, v159 :: v_dual_mov_b32 v148, v160
	v_dual_mov_b32 v149, v161 :: v_dual_mov_b32 v152, v164
	;; [unrolled: 1-line block ×19, first 2 shown]
	v_mov_b32_e32 v61, v134
	s_clause 0x2
	scratch_store_b128 off, v[37:40], off
	scratch_store_b128 off, v[41:44], off offset:16
	scratch_store_b128 off, v[45:48], off offset:32
	v_dual_mov_b32 v53, v126 :: v_dual_mov_b32 v54, v127
	v_dual_mov_b32 v101, v149 :: v_dual_mov_b32 v102, v150
	;; [unrolled: 1-line block ×10, first 2 shown]
	v_mov_b32_e32 v46, v108
	v_dual_mov_b32 v122, v61 :: v_dual_mov_b32 v121, v60
	v_dual_mov_b32 v43, v105 :: v_dual_mov_b32 v44, v106
	;; [unrolled: 1-line block ×8, first 2 shown]
	v_mov_b32_e32 v112, v51
	v_mov_b32_e32 v118, v20
	v_dual_mov_b32 v98, v48 :: v_dual_mov_b32 v93, v43
	v_dual_mov_b32 v92, v42 :: v_dual_mov_b32 v87, v37
	v_mov_b32_e32 v97, v47
	v_dual_mov_b32 v95, v45 :: v_dual_mov_b32 v146, v122
	v_dual_mov_b32 v143, v119 :: v_dual_mov_b32 v138, v114
	;; [unrolled: 1-line block ×7, first 2 shown]
	v_mov_b32_e32 v89, v39
	s_clause 0x5
	scratch_store_b128 off, v[62:65], off offset:48
	scratch_store_b128 off, v[66:69], off offset:64
	;; [unrolled: 1-line block ×6, first 2 shown]
	v_dual_mov_b32 v142, v118 :: v_dual_mov_b32 v139, v115
	v_dual_mov_b32 v140, v116 :: v_dual_mov_b32 v137, v113
	;; [unrolled: 1-line block ×17, first 2 shown]
	v_mov_b32_e32 v84, v22
	v_mov_b32_e32 v86, v24
.LBB211_33:
	s_or_b32 exec_lo, exec_lo, s2
	v_mov_b32_e32 v13, v6
	s_mov_b32 s2, exec_lo
	v_cmpx_lt_f32_e32 v14, v6
	s_cbranch_execz .LBB211_35
; %bb.34:
	s_clause 0x2
	scratch_load_b128 v[37:40], off, off offset:144
	scratch_load_b128 v[41:44], off, off offset:160
	;; [unrolled: 1-line block ×3, first 2 shown]
	v_mov_b32_e32 v5, v6
	s_waitcnt vmcnt(0)
	v_dual_mov_b32 v13, v14 :: v_dual_mov_b32 v170, v48
	v_dual_mov_b32 v169, v47 :: v_dual_mov_b32 v162, v40
	;; [unrolled: 1-line block ×6, first 2 shown]
	s_clause 0x2
	scratch_load_b128 v[37:40], off, off offset:48
	scratch_load_b128 v[41:44], off, off offset:64
	;; [unrolled: 1-line block ×3, first 2 shown]
	v_dual_mov_b32 v163, v30 :: v_dual_mov_b32 v30, v29
	s_waitcnt vmcnt(0)
	v_dual_mov_b32 v73, v48 :: v_dual_mov_b32 v72, v47
	v_dual_mov_b32 v65, v40 :: v_dual_mov_b32 v62, v37
	v_mov_b32_e32 v63, v38
	v_dual_mov_b32 v67, v42 :: v_dual_mov_b32 v64, v39
	v_dual_mov_b32 v71, v46 :: v_dual_mov_b32 v70, v45
	;; [unrolled: 1-line block ×4, first 2 shown]
	v_mov_b32_e32 v148, v160
	v_dual_mov_b32 v134, v73 :: v_dual_mov_b32 v133, v72
	v_dual_mov_b32 v124, v63 :: v_dual_mov_b32 v123, v62
	;; [unrolled: 1-line block ×11, first 2 shown]
	v_mov_b32_e32 v128, v17
	v_mov_b32_e32 v152, v29
	v_dual_mov_b32 v50, v123 :: v_dual_mov_b32 v51, v124
	v_mov_b32_e32 v99, v147
	s_delay_alu instid0(VALU_DEP_3)
	v_dual_mov_b32 v53, v126 :: v_dual_mov_b32 v104, v152
	v_dual_mov_b32 v105, v153 :: v_dual_mov_b32 v100, v148
	;; [unrolled: 1-line block ×7, first 2 shown]
	v_mov_b32_e32 v57, v130
	v_dual_mov_b32 v102, v150 :: v_dual_mov_b32 v103, v151
	v_dual_mov_b32 v108, v156 :: v_dual_mov_b32 v109, v157
	;; [unrolled: 1-line block ×3, first 2 shown]
	v_mov_b32_e32 v58, v131
	v_mov_b32_e32 v56, v19
	v_dual_mov_b32 v37, v99 :: v_dual_mov_b32 v38, v100
	v_mov_b32_e32 v39, v101
	v_dual_mov_b32 v43, v105 :: v_dual_mov_b32 v48, v110
	s_delay_alu instid0(VALU_DEP_4)
	v_dual_mov_b32 v122, v61 :: v_dual_mov_b32 v117, v56
	v_dual_mov_b32 v42, v104 :: v_dual_mov_b32 v45, v107
	;; [unrolled: 1-line block ×9, first 2 shown]
	v_mov_b32_e32 v118, v20
	v_mov_b32_e32 v44, v32
	;; [unrolled: 1-line block ×3, first 2 shown]
	v_dual_mov_b32 v98, v48 :: v_dual_mov_b32 v95, v45
	v_dual_mov_b32 v146, v122 :: v_dual_mov_b32 v145, v121
	s_delay_alu instid0(VALU_DEP_4)
	v_dual_mov_b32 v94, v44 :: v_dual_mov_b32 v87, v37
	v_dual_mov_b32 v97, v47 :: v_dual_mov_b32 v144, v120
	v_dual_mov_b32 v135, v111 :: v_dual_mov_b32 v96, v46
	v_dual_mov_b32 v89, v39 :: v_dual_mov_b32 v92, v42
	v_dual_mov_b32 v143, v119 :: v_dual_mov_b32 v6, v14
	v_mov_b32_e32 v93, v43
	v_dual_mov_b32 v91, v41 :: v_dual_mov_b32 v90, v40
	v_dual_mov_b32 v141, v117 :: v_dual_mov_b32 v88, v38
	;; [unrolled: 1-line block ×6, first 2 shown]
	s_clause 0x2
	scratch_store_b128 off, v[62:65], off
	scratch_store_b128 off, v[66:69], off offset:16
	scratch_store_b128 off, v[70:73], off offset:32
	v_dual_mov_b32 v63, v87 :: v_dual_mov_b32 v74, v98
	v_dual_mov_b32 v75, v135 :: v_dual_mov_b32 v72, v96
	;; [unrolled: 1-line block ×14, first 2 shown]
	v_mov_b32_e32 v84, v22
	v_mov_b32_e32 v86, v24
	;; [unrolled: 1-line block ×3, first 2 shown]
.LBB211_35:
	s_or_b32 exec_lo, exec_lo, s2
	v_mov_b32_e32 v14, v7
	s_mov_b32 s2, exec_lo
	v_cmpx_lt_f32_e32 v13, v7
	s_cbranch_execz .LBB211_37
; %bb.36:
	s_clause 0x2
	scratch_load_b128 v[37:40], off, off
	scratch_load_b128 v[41:44], off, off offset:16
	scratch_load_b128 v[45:48], off, off offset:32
	v_mov_b32_e32 v164, v31
	v_dual_mov_b32 v14, v13 :: v_dual_mov_b32 v31, v30
	s_waitcnt vmcnt(0)
	v_dual_mov_b32 v134, v48 :: v_dual_mov_b32 v133, v47
	v_dual_mov_b32 v130, v44 :: v_dual_mov_b32 v127, v41
	;; [unrolled: 1-line block ×5, first 2 shown]
	v_mov_b32_e32 v125, v39
	v_dual_mov_b32 v99, v159 :: v_dual_mov_b32 v100, v160
	v_dual_mov_b32 v128, v19 :: v_dual_mov_b32 v101, v161
	v_mov_b32_e32 v110, v170
	v_dual_mov_b32 v50, v123 :: v_dual_mov_b32 v53, v126
	v_dual_mov_b32 v106, v166 :: v_dual_mov_b32 v107, v167
	;; [unrolled: 1-line block ×19, first 2 shown]
	v_mov_b32_e32 v47, v109
	v_dual_mov_b32 v114, v53 :: v_dual_mov_b32 v111, v50
	v_mov_b32_e32 v118, v20
	v_dual_mov_b32 v120, v59 :: v_dual_mov_b32 v117, v56
	v_dual_mov_b32 v116, v55 :: v_dual_mov_b32 v113, v52
	v_mov_b32_e32 v44, v32
	v_mov_b32_e32 v112, v51
	v_dual_mov_b32 v98, v48 :: v_dual_mov_b32 v95, v45
	v_dual_mov_b32 v146, v122 :: v_dual_mov_b32 v145, v121
	;; [unrolled: 1-line block ×8, first 2 shown]
	v_mov_b32_e32 v89, v39
	v_dual_mov_b32 v93, v43 :: v_dual_mov_b32 v88, v38
	v_dual_mov_b32 v141, v117 :: v_dual_mov_b32 v140, v116
	v_mov_b32_e32 v95, v33
	v_dual_mov_b32 v139, v115 :: v_dual_mov_b32 v138, v114
	v_dual_mov_b32 v143, v21 :: v_dual_mov_b32 v136, v112
	;; [unrolled: 1-line block ×24, first 2 shown]
	v_mov_b32_e32 v158, v170
.LBB211_37:
	s_or_b32 exec_lo, exec_lo, s2
	v_mov_b32_e32 v13, v8
	s_mov_b32 s2, exec_lo
	v_cmpx_lt_f32_e32 v14, v8
	s_cbranch_execz .LBB211_39
; %bb.38:
	v_mov_b32_e32 v129, v20
	v_mov_b32_e32 v153, v32
	v_dual_mov_b32 v111, v123 :: v_dual_mov_b32 v114, v126
	v_dual_mov_b32 v37, v147 :: v_dual_mov_b32 v38, v148
	;; [unrolled: 1-line block ×10, first 2 shown]
	v_mov_b32_e32 v120, v132
	v_dual_mov_b32 v116, v128 :: v_dual_mov_b32 v121, v133
	v_mov_b32_e32 v44, v31
	v_dual_mov_b32 v119, v131 :: v_dual_mov_b32 v98, v48
	v_dual_mov_b32 v118, v19 :: v_dual_mov_b32 v95, v45
	;; [unrolled: 1-line block ×13, first 2 shown]
	v_mov_b32_e32 v95, v33
	v_dual_mov_b32 v7, v8 :: v_dual_mov_b32 v8, v14
	v_mov_b32_e32 v143, v21
	v_dual_mov_b32 v63, v87 :: v_dual_mov_b32 v68, v92
	v_dual_mov_b32 v64, v88 :: v_dual_mov_b32 v75, v135
	v_dual_mov_b32 v80, v140 :: v_dual_mov_b32 v67, v91
	v_dual_mov_b32 v72, v96 :: v_dual_mov_b32 v69, v93
	v_dual_mov_b32 v74, v98 :: v_dual_mov_b32 v73, v97
	v_dual_mov_b32 v78, v138 :: v_dual_mov_b32 v79, v139
	v_dual_mov_b32 v84, v144 :: v_dual_mov_b32 v81, v141
	v_dual_mov_b32 v86, v146 :: v_dual_mov_b32 v85, v145
	v_mov_b32_e32 v74, v36
	v_dual_mov_b32 v50, v123 :: v_dual_mov_b32 v51, v124
	v_dual_mov_b32 v99, v147 :: v_dual_mov_b32 v100, v148
	v_dual_mov_b32 v65, v89 :: v_dual_mov_b32 v70, v94
	v_dual_mov_b32 v66, v90 :: v_dual_mov_b32 v71, v95
	v_dual_mov_b32 v76, v136 :: v_dual_mov_b32 v77, v137
	v_dual_mov_b32 v82, v142 :: v_dual_mov_b32 v83, v143
	v_dual_mov_b32 v72, v34 :: v_dual_mov_b32 v73, v35
	;; [unrolled: 9-line block ×3, first 2 shown]
	v_dual_mov_b32 v105, v153 :: v_dual_mov_b32 v106, v154
	v_dual_mov_b32 v107, v155 :: v_dual_mov_b32 v108, v156
	;; [unrolled: 1-line block ×4, first 2 shown]
	v_mov_b32_e32 v32, v31
.LBB211_39:
	s_or_b32 exec_lo, exec_lo, s2
	v_mov_b32_e32 v14, v9
	s_mov_b32 s2, exec_lo
	v_cmpx_lt_f32_e32 v13, v9
	s_cbranch_execz .LBB211_41
; %bb.40:
	v_mov_b32_e32 v57, v21
	v_mov_b32_e32 v106, v33
	v_dual_mov_b32 v146, v61 :: v_dual_mov_b32 v145, v60
	v_dual_mov_b32 v87, v99 :: v_dual_mov_b32 v90, v102
	v_mov_b32_e32 v88, v100
	v_dual_mov_b32 v136, v51 :: v_dual_mov_b32 v135, v50
	v_dual_mov_b32 v91, v103 :: v_dual_mov_b32 v94, v106
	;; [unrolled: 1-line block ×7, first 2 shown]
	v_mov_b32_e32 v139, v54
	v_dual_mov_b32 v89, v101 :: v_dual_mov_b32 v92, v104
	v_dual_mov_b32 v138, v53 :: v_dual_mov_b32 v137, v52
	;; [unrolled: 1-line block ×3, first 2 shown]
	v_mov_b32_e32 v143, v20
	s_delay_alu instid0(VALU_DEP_4)
	v_dual_mov_b32 v63, v87 :: v_dual_mov_b32 v68, v92
	v_dual_mov_b32 v66, v90 :: v_dual_mov_b32 v75, v135
	v_dual_mov_b32 v80, v140 :: v_dual_mov_b32 v67, v91
	v_dual_mov_b32 v72, v96 :: v_dual_mov_b32 v69, v93
	v_dual_mov_b32 v74, v98 :: v_dual_mov_b32 v73, v97
	v_dual_mov_b32 v78, v138 :: v_dual_mov_b32 v79, v139
	v_dual_mov_b32 v84, v144 :: v_dual_mov_b32 v81, v141
	v_dual_mov_b32 v86, v146 :: v_dual_mov_b32 v85, v145
	v_mov_b32_e32 v74, v36
	v_dual_mov_b32 v122, v61 :: v_dual_mov_b32 v121, v60
	v_dual_mov_b32 v37, v99 :: v_dual_mov_b32 v38, v100
	;; [unrolled: 1-line block ×20, first 2 shown]
	v_mov_b32_e32 v33, v32
.LBB211_41:
	s_or_b32 exec_lo, exec_lo, s2
	v_mov_b32_e32 v15, v10
	s_mov_b32 s2, exec_lo
	v_cmpx_lt_f32_e32 v14, v10
	s_cbranch_execz .LBB211_43
; %bb.42:
	v_mov_b32_e32 v45, v34
	v_dual_mov_b32 v9, v10 :: v_dual_mov_b32 v74, v48
	v_mov_b32_e32 v72, v46
	v_mov_b32_e32 v72, v33
	s_delay_alu instid0(VALU_DEP_4) | instskip(SKIP_4) | instid1(VALU_DEP_4)
	v_mov_b32_e32 v71, v45
	v_dual_mov_b32 v119, v22 :: v_dual_mov_b32 v70, v44
	v_dual_mov_b32 v75, v111 :: v_dual_mov_b32 v78, v114
	;; [unrolled: 1-line block ×27, first 2 shown]
	v_mov_b32_e32 v34, v33
.LBB211_43:
	s_or_b32 exec_lo, exec_lo, s2
	v_mov_b32_e32 v13, v11
	s_mov_b32 s2, exec_lo
	v_cmpx_lt_f32_e32 v15, v11
	s_cbranch_execz .LBB211_45
; %bb.44:
	v_dual_mov_b32 v144, v23 :: v_dual_mov_b32 v145, v22
	v_dual_mov_b32 v96, v35 :: v_dual_mov_b32 v97, v34
	v_mov_b32_e32 v146, v24
	v_mov_b32_e32 v10, v11
	v_dual_mov_b32 v11, v15 :: v_dual_mov_b32 v98, v36
	v_dual_mov_b32 v75, v135 :: v_dual_mov_b32 v84, v144
	;; [unrolled: 1-line block ×3, first 2 shown]
	v_mov_b32_e32 v79, v139
	v_dual_mov_b32 v77, v137 :: v_dual_mov_b32 v78, v138
	v_dual_mov_b32 v81, v141 :: v_dual_mov_b32 v80, v140
	;; [unrolled: 1-line block ×10, first 2 shown]
.LBB211_45:
	s_or_b32 exec_lo, exec_lo, s2
	s_delay_alu instid0(VALU_DEP_1)
	v_cmp_lt_f32_e32 vcc_lo, v13, v12
	v_cmp_lt_f32_e64 s2, v1, v2
	v_dual_mov_b32 v40, v76 :: v_dual_mov_b32 v41, v77
	v_dual_mov_b32 v43, v79 :: v_dual_mov_b32 v44, v80
	v_dual_cndmask_b32 v23, v12, v13 :: v_dual_mov_b32 v42, v78
	v_dual_cndmask_b32 v11, v11, v12 :: v_dual_cndmask_b32 v62, v74, v73
	s_delay_alu instid0(VALU_DEP_2) | instskip(SKIP_3) | instid1(VALU_DEP_4)
	v_dual_cndmask_b32 v49, v85, v86 :: v_dual_mov_b32 v12, v23
	v_dual_cndmask_b32 v61, v73, v74 :: v_dual_cndmask_b32 v50, v86, v85
	v_mov_b32_e32 v39, v75
	v_dual_mov_b32 v45, v81 :: v_dual_mov_b32 v48, v84
	v_dual_mov_b32 v38, v12 :: v_dual_mov_b32 v37, v11
	;; [unrolled: 1-line block ×13, first 2 shown]
	s_and_saveexec_b32 s3, s2
	s_delay_alu instid0(SALU_CYCLE_1)
	s_xor_b32 s2, exec_lo, s3
	s_cbranch_execz .LBB211_47
; %bb.46:
	v_dual_mov_b32 v12, v2 :: v_dual_mov_b32 v13, v1
	v_dual_mov_b32 v14, v3 :: v_dual_mov_b32 v15, v4
	;; [unrolled: 1-line block ×6, first 2 shown]
	s_delay_alu instid0(VALU_DEP_2) | instskip(NEXT) | instid1(VALU_DEP_2)
	v_dual_mov_b32 v38, v23 :: v_dual_mov_b32 v35, v20
	v_dual_mov_b32 v36, v21 :: v_dual_mov_b32 v37, v22
	;; [unrolled: 1-line block ×15, first 2 shown]
	v_mov_b32_e32 v58, v70
	v_mov_b32_e32 v60, v72
.LBB211_47:
	s_or_b32 exec_lo, exec_lo, s2
	v_dual_mov_b32 v1, v29 :: v_dual_mov_b32 v122, v50
	v_dual_mov_b32 v15, v39 :: v_dual_mov_b32 v16, v40
	v_dual_mov_b32 v110, v50 :: v_dual_mov_b32 v109, v49
	v_dual_mov_b32 v86, v50 :: v_dual_mov_b32 v85, v49
	v_dual_mov_b32 v111, v39 :: v_dual_mov_b32 v146, v50
	v_dual_mov_b32 v17, v41 :: v_dual_mov_b32 v18, v42
	v_dual_mov_b32 v19, v43 :: v_dual_mov_b32 v20, v44
	v_dual_mov_b32 v21, v45 :: v_dual_mov_b32 v22, v46
	v_dual_mov_b32 v23, v47 :: v_dual_mov_b32 v24, v48
	v_dual_mov_b32 v25, v49 :: v_dual_mov_b32 v26, v50
	v_dual_mov_b32 v108, v48 :: v_dual_mov_b32 v107, v47
	v_dual_mov_b32 v106, v46 :: v_dual_mov_b32 v105, v45
	v_dual_mov_b32 v104, v44 :: v_dual_mov_b32 v103, v43
	v_dual_mov_b32 v102, v42 :: v_dual_mov_b32 v101, v41
	v_dual_mov_b32 v100, v40 :: v_dual_mov_b32 v99, v39
	v_dual_mov_b32 v84, v48 :: v_dual_mov_b32 v83, v47
	v_dual_mov_b32 v82, v46 :: v_dual_mov_b32 v81, v45
	v_dual_mov_b32 v80, v44 :: v_dual_mov_b32 v79, v43
	v_dual_mov_b32 v78, v42 :: v_dual_mov_b32 v77, v41
	v_dual_mov_b32 v76, v40 :: v_dual_mov_b32 v75, v39
	v_dual_mov_b32 v121, v49 :: v_dual_mov_b32 v120, v48
	v_dual_mov_b32 v119, v47 :: v_dual_mov_b32 v118, v46
	v_dual_mov_b32 v117, v45 :: v_dual_mov_b32 v116, v44
	v_dual_mov_b32 v115, v43 :: v_dual_mov_b32 v114, v42
	v_dual_mov_b32 v113, v41 :: v_dual_mov_b32 v112, v40
	v_dual_mov_b32 v145, v49 :: v_dual_mov_b32 v144, v48
	v_dual_mov_b32 v143, v47 :: v_dual_mov_b32 v142, v46
	v_dual_mov_b32 v141, v45 :: v_dual_mov_b32 v140, v44
	v_dual_mov_b32 v139, v43 :: v_dual_mov_b32 v138, v42
	v_dual_mov_b32 v137, v41 :: v_dual_mov_b32 v136, v40
	v_mov_b32_e32 v135, v39
	s_clause 0x2
	scratch_store_b128 off, v[39:42], off offset:48
	scratch_store_b128 off, v[43:46], off offset:64
	scratch_store_b128 off, v[47:50], off offset:80
	v_dual_mov_b32 v3, v51 :: v_dual_mov_b32 v6, v54
	v_dual_mov_b32 v13, v61 :: v_dual_mov_b32 v74, v62
	;; [unrolled: 1-line block ×34, first 2 shown]
	v_mov_b32_e32 v159, v51
	s_mov_b32 s2, exec_lo
	v_dual_mov_b32 v73, v61 :: v_dual_mov_b32 v72, v60
	v_mov_b32_e32 v4, v52
	s_clause 0x2
	scratch_store_b128 off, v[51:54], off
	scratch_store_b128 off, v[55:58], off offset:16
	scratch_store_b128 off, v[59:62], off offset:32
	v_dual_mov_b32 v182, v50 :: v_dual_mov_b32 v181, v49
	v_dual_mov_b32 v180, v48 :: v_dual_mov_b32 v179, v47
	;; [unrolled: 1-line block ×6, first 2 shown]
	v_cmpx_lt_f32_e32 v2, v29
	s_cbranch_execz .LBB211_49
; %bb.48:
	v_dual_mov_b32 v170, v62 :: v_dual_mov_b32 v169, v61
	v_dual_mov_b32 v162, v54 :: v_dual_mov_b32 v161, v53
	;; [unrolled: 1-line block ×7, first 2 shown]
	s_clause 0x2
	scratch_store_b128 off, v[159:162], off
	scratch_store_b128 off, v[163:166], off offset:16
	scratch_store_b128 off, v[167:170], off offset:32
	v_dual_mov_b32 v182, v50 :: v_dual_mov_b32 v181, v49
	v_dual_mov_b32 v172, v40 :: v_dual_mov_b32 v171, v39
	;; [unrolled: 1-line block ×8, first 2 shown]
	s_delay_alu instid0(VALU_DEP_3)
	v_dual_mov_b32 v140, v176 :: v_dual_mov_b32 v141, v177
	v_dual_mov_b32 v138, v174 :: v_dual_mov_b32 v139, v175
	v_dual_mov_b32 v144, v180 :: v_dual_mov_b32 v145, v181
	v_mov_b32_e32 v146, v182
	v_dual_mov_b32 v136, v172 :: v_dual_mov_b32 v137, v173
	v_mov_b32_e32 v138, v42
	v_dual_mov_b32 v142, v178 :: v_dual_mov_b32 v143, v179
	v_mov_b32_e32 v53, v52
	v_mov_b32_e32 v139, v43
	;; [unrolled: 1-line block ×3, first 2 shown]
	v_dual_mov_b32 v147, v159 :: v_dual_mov_b32 v148, v160
	v_mov_b32_e32 v151, v163
	v_dual_mov_b32 v149, v161 :: v_dual_mov_b32 v150, v162
	v_dual_mov_b32 v153, v165 :: v_dual_mov_b32 v152, v164
	v_dual_mov_b32 v155, v167 :: v_dual_mov_b32 v156, v168
	v_dual_mov_b32 v151, v55 :: v_dual_mov_b32 v158, v170
	v_dual_mov_b32 v154, v166 :: v_dual_mov_b32 v157, v169
	v_dual_mov_b32 v8, v140 :: v_dual_mov_b32 v11, v143
	v_dual_mov_b32 v12, v144 :: v_dual_mov_b32 v3, v135
	v_dual_mov_b32 v9, v141 :: v_dual_mov_b32 v4, v136
	v_dual_mov_b32 v6, v138 :: v_dual_mov_b32 v123, v147
	v_dual_mov_b32 v124, v148 :: v_dual_mov_b32 v125, v149
	v_dual_mov_b32 v126, v150 :: v_dual_mov_b32 v127, v151
	v_dual_mov_b32 v128, v152 :: v_dual_mov_b32 v129, v153
	v_dual_mov_b32 v132, v156 :: v_dual_mov_b32 v133, v157
	v_dual_mov_b32 v134, v158 :: v_dual_mov_b32 v111, v135
	v_dual_mov_b32 v130, v154 :: v_dual_mov_b32 v131, v155
	v_dual_mov_b32 v128, v56 :: v_dual_mov_b32 v113, v137
	v_mov_b32_e32 v122, v146
	v_dual_mov_b32 v114, v138 :: v_dual_mov_b32 v117, v141
	v_dual_mov_b32 v116, v140 :: v_dual_mov_b32 v119, v143
	;; [unrolled: 1-line block ×14, first 2 shown]
	v_mov_b32_e32 v82, v118
	v_dual_mov_b32 v76, v112 :: v_dual_mov_b32 v81, v117
	v_dual_mov_b32 v80, v116 :: v_dual_mov_b32 v85, v121
	;; [unrolled: 1-line block ×6, first 2 shown]
	v_mov_b32_e32 v81, v45
	v_dual_mov_b32 v65, v89 :: v_dual_mov_b32 v72, v96
	v_mov_b32_e32 v29, v2
	s_delay_alu instid0(VALU_DEP_3)
	v_dual_mov_b32 v110, v86 :: v_dual_mov_b32 v105, v81
	v_dual_mov_b32 v70, v94 :: v_dual_mov_b32 v73, v97
	;; [unrolled: 1-line block ×11, first 2 shown]
	v_mov_b32_e32 v106, v46
	s_clause 0x2
	scratch_store_b128 off, v[3:6], off offset:48
	scratch_store_b128 off, v[7:10], off offset:64
	;; [unrolled: 1-line block ×3, first 2 shown]
	v_dual_mov_b32 v100, v76 :: v_dual_mov_b32 v3, v63
	v_dual_mov_b32 v12, v72 :: v_dual_mov_b32 v5, v65
	;; [unrolled: 1-line block ×16, first 2 shown]
	v_mov_b32_e32 v26, v50
.LBB211_49:
	s_or_b32 exec_lo, exec_lo, s2
	v_mov_b32_e32 v2, v30
	s_mov_b32 s2, exec_lo
	v_cmpx_lt_f32_e32 v1, v30
	s_cbranch_execz .LBB211_51
; %bb.50:
	s_clause 0x2
	scratch_load_b128 v[2:5], off, off
	scratch_load_b128 v[6:9], off, off offset:16
	scratch_load_b128 v[10:13], off, off offset:32
	v_dual_mov_b32 v29, v30 :: v_dual_mov_b32 v30, v1
	v_dual_mov_b32 v161, v54 :: v_dual_mov_b32 v54, v53
	s_waitcnt vmcnt(0)
	v_dual_mov_b32 v170, v13 :: v_dual_mov_b32 v169, v12
	v_mov_b32_e32 v160, v3
	v_dual_mov_b32 v162, v5 :: v_dual_mov_b32 v159, v2
	v_dual_mov_b32 v173, v42 :: v_dual_mov_b32 v168, v11
	;; [unrolled: 1-line block ×3, first 2 shown]
	s_delay_alu instid0(VALU_DEP_3)
	v_dual_mov_b32 v165, v8 :: v_dual_mov_b32 v2, v159
	v_dual_mov_b32 v3, v160 :: v_dual_mov_b32 v4, v161
	v_dual_mov_b32 v164, v7 :: v_dual_mov_b32 v163, v6
	s_clause 0x2
	scratch_store_b128 off, v[2:5], off
	scratch_store_b128 off, v[6:9], off offset:16
	scratch_store_b128 off, v[10:13], off offset:32
	v_dual_mov_b32 v162, v53 :: v_dual_mov_b32 v135, v171
	v_dual_mov_b32 v140, v176 :: v_dual_mov_b32 v141, v177
	;; [unrolled: 1-line block ×14, first 2 shown]
	v_mov_b32_e32 v137, v173
	v_dual_mov_b32 v123, v147 :: v_dual_mov_b32 v126, v150
	v_dual_mov_b32 v124, v148 :: v_dual_mov_b32 v111, v135
	s_delay_alu instid0(VALU_DEP_4)
	v_dual_mov_b32 v112, v136 :: v_dual_mov_b32 v125, v149
	v_dual_mov_b32 v128, v152 :: v_dual_mov_b32 v115, v139
	;; [unrolled: 1-line block ×7, first 2 shown]
	v_mov_b32_e32 v128, v56
	v_dual_mov_b32 v116, v44 :: v_dual_mov_b32 v87, v123
	v_dual_mov_b32 v113, v137 :: v_dual_mov_b32 v114, v138
	;; [unrolled: 1-line block ×21, first 2 shown]
	v_mov_b32_e32 v81, v45
	v_dual_mov_b32 v63, v87 :: v_dual_mov_b32 v66, v90
	v_mov_b32_e32 v64, v88
	v_dual_mov_b32 v110, v86 :: v_dual_mov_b32 v109, v85
	v_dual_mov_b32 v65, v89 :: v_dual_mov_b32 v68, v92
	;; [unrolled: 1-line block ×9, first 2 shown]
	v_mov_b32_e32 v102, v78
	v_dual_mov_b32 v42, v41 :: v_dual_mov_b32 v103, v79
	v_mov_b32_e32 v100, v76
	v_mov_b32_e32 v106, v46
	s_clause 0x2
	scratch_store_b128 off, v[2:5], off offset:48
	scratch_store_b128 off, v[6:9], off offset:64
	;; [unrolled: 1-line block ×3, first 2 shown]
	v_dual_mov_b32 v2, v1 :: v_dual_mov_b32 v107, v83
	v_mov_b32_e32 v3, v63
	v_mov_b32_e32 v5, v65
	v_dual_mov_b32 v7, v67 :: v_dual_mov_b32 v14, v74
	v_dual_mov_b32 v15, v99 :: v_dual_mov_b32 v6, v66
	;; [unrolled: 1-line block ×14, first 2 shown]
	v_mov_b32_e32 v24, v48
	v_mov_b32_e32 v26, v50
.LBB211_51:
	s_or_b32 exec_lo, exec_lo, s2
	v_mov_b32_e32 v1, v31
	s_mov_b32 s2, exec_lo
	v_cmpx_lt_f32_e32 v2, v31
	s_cbranch_execz .LBB211_53
; %bb.52:
	s_clause 0x2
	scratch_load_b128 v[3:6], off, off
	scratch_load_b128 v[7:10], off, off offset:16
	scratch_load_b128 v[11:14], off, off offset:32
	v_dual_mov_b32 v30, v31 :: v_dual_mov_b32 v31, v2
	v_mov_b32_e32 v1, v2
	s_waitcnt vmcnt(0)
	v_dual_mov_b32 v170, v14 :: v_dual_mov_b32 v169, v13
	v_dual_mov_b32 v161, v5 :: v_dual_mov_b32 v160, v4
	;; [unrolled: 1-line block ×5, first 2 shown]
	v_mov_b32_e32 v174, v43
	v_mov_b32_e32 v159, v3
	;; [unrolled: 1-line block ×3, first 2 shown]
	v_dual_mov_b32 v135, v171 :: v_dual_mov_b32 v136, v172
	v_mov_b32_e32 v137, v173
	s_delay_alu instid0(VALU_DEP_4) | instskip(NEXT) | instid1(VALU_DEP_4)
	v_dual_mov_b32 v147, v159 :: v_dual_mov_b32 v148, v160
	v_dual_mov_b32 v149, v161 :: v_dual_mov_b32 v150, v162
	v_dual_mov_b32 v151, v163 :: v_dual_mov_b32 v156, v168
	v_dual_mov_b32 v157, v169 :: v_dual_mov_b32 v158, v170
	v_dual_mov_b32 v139, v175 :: v_dual_mov_b32 v152, v164
	v_dual_mov_b32 v153, v165 :: v_dual_mov_b32 v154, v166
	v_dual_mov_b32 v155, v167 :: v_dual_mov_b32 v138, v174
	v_dual_mov_b32 v140, v176 :: v_dual_mov_b32 v141, v177
	v_dual_mov_b32 v142, v178 :: v_dual_mov_b32 v143, v179
	v_dual_mov_b32 v144, v180 :: v_dual_mov_b32 v145, v181
	v_mov_b32_e32 v139, v42
	v_mov_b32_e32 v151, v54
	v_dual_mov_b32 v146, v182 :: v_dual_mov_b32 v123, v147
	v_dual_mov_b32 v111, v135 :: v_dual_mov_b32 v112, v136
	;; [unrolled: 1-line block ×3, first 2 shown]
	s_delay_alu instid0(VALU_DEP_4)
	v_dual_mov_b32 v124, v148 :: v_dual_mov_b32 v127, v151
	v_dual_mov_b32 v128, v152 :: v_dual_mov_b32 v131, v155
	;; [unrolled: 1-line block ×9, first 2 shown]
	v_mov_b32_e32 v120, v144
	v_dual_mov_b32 v116, v44 :: v_dual_mov_b32 v87, v123
	v_mov_b32_e32 v114, v138
	v_dual_mov_b32 v98, v134 :: v_dual_mov_b32 v75, v111
	v_dual_mov_b32 v88, v124 :: v_dual_mov_b32 v89, v125
	;; [unrolled: 1-line block ×3, first 2 shown]
	v_mov_b32_e32 v86, v122
	v_dual_mov_b32 v90, v126 :: v_dual_mov_b32 v91, v127
	v_dual_mov_b32 v92, v128 :: v_dual_mov_b32 v93, v129
	;; [unrolled: 1-line block ×8, first 2 shown]
	v_mov_b32_e32 v79, v115
	v_mov_b32_e32 v81, v45
	v_dual_mov_b32 v63, v87 :: v_dual_mov_b32 v66, v90
	v_dual_mov_b32 v64, v88 :: v_dual_mov_b32 v73, v97
	;; [unrolled: 1-line block ×9, first 2 shown]
	v_mov_b32_e32 v108, v84
	v_dual_mov_b32 v106, v46 :: v_dual_mov_b32 v3, v63
	v_dual_mov_b32 v105, v81 :: v_dual_mov_b32 v104, v80
	;; [unrolled: 1-line block ×19, first 2 shown]
	v_mov_b32_e32 v26, v50
	v_mov_b32_e32 v43, v42
	;; [unrolled: 1-line block ×3, first 2 shown]
	s_clause 0x2
	scratch_store_b128 off, v[171:174], off offset:48
	scratch_store_b128 off, v[175:178], off offset:64
	;; [unrolled: 1-line block ×3, first 2 shown]
.LBB211_53:
	s_or_b32 exec_lo, exec_lo, s2
	v_mov_b32_e32 v2, v32
	s_mov_b32 s2, exec_lo
	v_cmpx_lt_f32_e32 v1, v32
	s_cbranch_execz .LBB211_55
; %bb.54:
	s_clause 0x2
	scratch_load_b128 v[2:5], off, off offset:48
	scratch_load_b128 v[6:9], off, off offset:64
	;; [unrolled: 1-line block ×3, first 2 shown]
	v_dual_mov_b32 v163, v56 :: v_dual_mov_b32 v56, v55
	s_waitcnt vmcnt(0)
	v_dual_mov_b32 v31, v32 :: v_dual_mov_b32 v146, v13
	v_dual_mov_b32 v138, v5 :: v_dual_mov_b32 v137, v4
	;; [unrolled: 1-line block ×6, first 2 shown]
	v_mov_b32_e32 v139, v44
	v_dual_mov_b32 v123, v159 :: v_dual_mov_b32 v124, v160
	v_dual_mov_b32 v125, v161 :: v_dual_mov_b32 v128, v164
	;; [unrolled: 1-line block ×12, first 2 shown]
	v_mov_b32_e32 v120, v144
	v_mov_b32_e32 v116, v43
	v_dual_mov_b32 v87, v123 :: v_dual_mov_b32 v88, v124
	v_dual_mov_b32 v89, v125 :: v_dual_mov_b32 v98, v134
	;; [unrolled: 1-line block ×12, first 2 shown]
	v_mov_b32_e32 v79, v115
	v_mov_b32_e32 v81, v45
	v_dual_mov_b32 v63, v87 :: v_dual_mov_b32 v66, v90
	v_dual_mov_b32 v64, v88 :: v_dual_mov_b32 v73, v97
	;; [unrolled: 1-line block ×8, first 2 shown]
	v_mov_b32_e32 v70, v58
	v_dual_mov_b32 v106, v46 :: v_dual_mov_b32 v65, v89
	v_dual_mov_b32 v68, v92 :: v_dual_mov_b32 v105, v81
	v_dual_mov_b32 v104, v80 :: v_dual_mov_b32 v103, v79
	v_dual_mov_b32 v102, v78 :: v_dual_mov_b32 v101, v77
	v_mov_b32_e32 v100, v76
	v_dual_mov_b32 v32, v1 :: v_dual_mov_b32 v3, v63
	v_dual_mov_b32 v14, v74 :: v_dual_mov_b32 v15, v99
	v_mov_b32_e32 v26, v110
	v_dual_mov_b32 v10, v70 :: v_dual_mov_b32 v11, v71
	v_dual_mov_b32 v12, v72 :: v_dual_mov_b32 v13, v73
	;; [unrolled: 1-line block ×20, first 2 shown]
	v_mov_b32_e32 v2, v1
	v_mov_b32_e32 v44, v43
.LBB211_55:
	s_or_b32 exec_lo, exec_lo, s2
	v_mov_b32_e32 v1, v33
	s_mov_b32 s2, exec_lo
	v_cmpx_lt_f32_e32 v2, v33
	s_cbranch_execz .LBB211_57
; %bb.56:
	v_mov_b32_e32 v140, v45
	v_dual_mov_b32 v152, v57 :: v_dual_mov_b32 v75, v135
	v_dual_mov_b32 v87, v147 :: v_dual_mov_b32 v90, v150
	;; [unrolled: 1-line block ×3, first 2 shown]
	s_delay_alu instid0(VALU_DEP_3)
	v_dual_mov_b32 v92, v152 :: v_dual_mov_b32 v93, v153
	v_dual_mov_b32 v76, v136 :: v_dual_mov_b32 v79, v139
	;; [unrolled: 1-line block ×6, first 2 shown]
	v_mov_b32_e32 v93, v56
	v_dual_mov_b32 v84, v144 :: v_dual_mov_b32 v63, v87
	v_dual_mov_b32 v78, v138 :: v_dual_mov_b32 v81, v141
	;; [unrolled: 1-line block ×5, first 2 shown]
	s_delay_alu instid0(VALU_DEP_3) | instskip(SKIP_1) | instid1(VALU_DEP_4)
	v_dual_mov_b32 v110, v86 :: v_dual_mov_b32 v109, v85
	v_dual_mov_b32 v100, v76 :: v_dual_mov_b32 v99, v75
	;; [unrolled: 1-line block ×11, first 2 shown]
	v_mov_b32_e32 v106, v46
	v_dual_mov_b32 v70, v58 :: v_dual_mov_b32 v15, v99
	v_dual_mov_b32 v3, v63 :: v_dual_mov_b32 v24, v108
	;; [unrolled: 1-line block ×3, first 2 shown]
	s_delay_alu instid0(VALU_DEP_3)
	v_dual_mov_b32 v10, v70 :: v_dual_mov_b32 v11, v71
	v_dual_mov_b32 v12, v72 :: v_dual_mov_b32 v13, v73
	v_dual_mov_b32 v14, v74 :: v_dual_mov_b32 v17, v101
	v_dual_mov_b32 v20, v104 :: v_dual_mov_b32 v23, v107
	v_dual_mov_b32 v22, v106 :: v_dual_mov_b32 v25, v109
	v_dual_mov_b32 v26, v110 :: v_dual_mov_b32 v13, v61
	v_dual_mov_b32 v120, v144 :: v_dual_mov_b32 v123, v147
	v_dual_mov_b32 v32, v33 :: v_dual_mov_b32 v33, v2
	v_dual_mov_b32 v4, v64 :: v_dual_mov_b32 v5, v65
	v_dual_mov_b32 v6, v66 :: v_dual_mov_b32 v7, v67
	v_dual_mov_b32 v8, v68 :: v_dual_mov_b32 v9, v69
	v_dual_mov_b32 v16, v100 :: v_dual_mov_b32 v19, v103
	v_dual_mov_b32 v18, v102 :: v_dual_mov_b32 v21, v105
	v_dual_mov_b32 v11, v59 :: v_dual_mov_b32 v12, v60
	v_dual_mov_b32 v23, v47 :: v_dual_mov_b32 v14, v62
	v_dual_mov_b32 v25, v49 :: v_dual_mov_b32 v26, v50
	v_dual_mov_b32 v113, v137 :: v_dual_mov_b32 v112, v136
	v_dual_mov_b32 v115, v139 :: v_dual_mov_b32 v114, v138
	v_dual_mov_b32 v117, v141 :: v_dual_mov_b32 v116, v140
	v_dual_mov_b32 v119, v143 :: v_dual_mov_b32 v118, v142
	v_dual_mov_b32 v121, v145 :: v_dual_mov_b32 v122, v146
	v_dual_mov_b32 v125, v149 :: v_dual_mov_b32 v124, v148
	v_dual_mov_b32 v127, v151 :: v_dual_mov_b32 v126, v150
	v_dual_mov_b32 v129, v153 :: v_dual_mov_b32 v128, v152
	v_dual_mov_b32 v131, v155 :: v_dual_mov_b32 v130, v154
	v_dual_mov_b32 v133, v157 :: v_dual_mov_b32 v132, v156
	v_mov_b32_e32 v1, v2
	v_dual_mov_b32 v134, v158 :: v_dual_mov_b32 v45, v44
	v_mov_b32_e32 v57, v56
.LBB211_57:
	s_or_b32 exec_lo, exec_lo, s2
	v_mov_b32_e32 v2, v34
	s_mov_b32 s2, exec_lo
	v_cmpx_lt_f32_e32 v1, v34
	s_cbranch_execz .LBB211_59
; %bb.58:
	v_mov_b32_e32 v129, v58
	v_dual_mov_b32 v63, v123 :: v_dual_mov_b32 v70, v130
	v_dual_mov_b32 v70, v57 :: v_dual_mov_b32 v71, v131
	;; [unrolled: 1-line block ×22, first 2 shown]
	v_mov_b32_e32 v34, v1
	v_dual_mov_b32 v5, v65 :: v_dual_mov_b32 v6, v66
	v_dual_mov_b32 v7, v67 :: v_dual_mov_b32 v8, v68
	;; [unrolled: 1-line block ×20, first 2 shown]
	v_mov_b32_e32 v2, v1
	v_mov_b32_e32 v46, v45
	v_mov_b32_e32 v58, v57
.LBB211_59:
	s_or_b32 exec_lo, exec_lo, s2
	v_mov_b32_e32 v1, v35
	s_mov_b32 s2, exec_lo
	v_cmpx_lt_f32_e32 v2, v35
	s_cbranch_execz .LBB211_61
; %bb.60:
	v_mov_b32_e32 v94, v59
	v_dual_mov_b32 v34, v35 :: v_dual_mov_b32 v35, v2
	v_mov_b32_e32 v82, v47
	v_dual_mov_b32 v3, v87 :: v_dual_mov_b32 v4, v88
	v_dual_mov_b32 v12, v96 :: v_dual_mov_b32 v9, v93
	;; [unrolled: 1-line block ×13, first 2 shown]
	v_mov_b32_e32 v7, v91
	v_mov_b32_e32 v11, v58
	v_dual_mov_b32 v14, v62 :: v_dual_mov_b32 v17, v77
	v_dual_mov_b32 v16, v76 :: v_dual_mov_b32 v19, v79
	;; [unrolled: 1-line block ×14, first 2 shown]
	v_mov_b32_e32 v47, v46
	v_mov_b32_e32 v59, v58
	;; [unrolled: 1-line block ×3, first 2 shown]
.LBB211_61:
	s_or_b32 exec_lo, exec_lo, s2
	v_mov_b32_e32 v39, v36
	s_mov_b32 s2, exec_lo
	v_cmpx_lt_f32_e32 v1, v36
	s_cbranch_execz .LBB211_63
; %bb.62:
	v_dual_mov_b32 v71, v60 :: v_dual_mov_b32 v72, v59
	v_dual_mov_b32 v73, v61 :: v_dual_mov_b32 v108, v47
	;; [unrolled: 1-line block ×17, first 2 shown]
	v_mov_b32_e32 v39, v1
.LBB211_63:
	s_or_b32 exec_lo, exec_lo, s2
	s_delay_alu instid0(VALU_DEP_1)
	v_cmp_lt_f32_e32 vcc_lo, v39, v37
	v_dual_mov_b32 v40, v28 :: v_dual_mov_b32 v43, v31
	v_dual_mov_b32 v42, v30 :: v_dual_mov_b32 v45, v33
	v_dual_cndmask_b32 v1, v25, v24 :: v_dual_cndmask_b32 v24, v24, v25
	v_cndmask_b32_e32 v2, v13, v12, vcc_lo
	v_dual_cndmask_b32 v12, v12, v13 :: v_dual_cndmask_b32 v49, v37, v39
	v_dual_cndmask_b32 v48, v36, v37 :: v_dual_mov_b32 v41, v29
	v_dual_mov_b32 v39, v27 :: v_dual_mov_b32 v44, v32
	v_dual_mov_b32 v47, v35 :: v_dual_mov_b32 v46, v34
	v_mov_b32_e32 v50, v38
	s_mov_b32 s2, exec_lo
	v_cmpx_lt_f32_e32 v27, v28
	s_cbranch_execz .LBB211_65
; %bb.64:
	v_dual_mov_b32 v28, v40 :: v_dual_mov_b32 v29, v39
	v_dual_mov_b32 v38, v49 :: v_dual_mov_b32 v39, v50
	;; [unrolled: 1-line block ×6, first 2 shown]
	v_mov_b32_e32 v50, v39
	v_mov_b32_e32 v13, v15
	v_dual_mov_b32 v25, v3 :: v_dual_mov_b32 v44, v33
	v_swap_b32 v15, v16
	v_swap_b32 v3, v4
	v_dual_mov_b32 v49, v38 :: v_dual_mov_b32 v46, v35
	v_dual_mov_b32 v48, v37 :: v_dual_mov_b32 v47, v36
	;; [unrolled: 1-line block ×4, first 2 shown]
	v_mov_b32_e32 v41, v30
	v_dual_mov_b32 v39, v28 :: v_dual_mov_b32 v28, v27
.LBB211_65:
	s_or_b32 exec_lo, exec_lo, s2
	v_mov_b32_e32 v13, v2
	v_dual_mov_b32 v25, v1 :: v_dual_mov_b32 v62, v14
	v_dual_mov_b32 v74, v26 :: v_dual_mov_b32 v63, v15
	v_mov_b32_e32 v86, v26
	v_dual_mov_b32 v72, v24 :: v_dual_mov_b32 v75, v15
	v_dual_mov_b32 v110, v26 :: v_dual_mov_b32 v53, v5
	;; [unrolled: 1-line block ×61, first 2 shown]
	v_mov_b32_e32 v149, v5
	v_mov_b32_e32 v147, v3
	v_mov_b32_e32 v13, v41
	s_mov_b32 s2, exec_lo
	v_dual_mov_b32 v85, v25 :: v_dual_mov_b32 v84, v24
	v_dual_mov_b32 v83, v23 :: v_dual_mov_b32 v82, v22
	s_clause 0x2
	scratch_store_b128 off, v[3:6], off
	scratch_store_b128 off, v[7:10], off offset:16
	scratch_store_b128 off, v[11:14], off offset:32
	v_cmpx_lt_f32_e32 v28, v41
	s_cbranch_execz .LBB211_67
; %bb.66:
	v_dual_mov_b32 v158, v14 :: v_dual_mov_b32 v157, v13
	v_dual_mov_b32 v150, v6 :: v_dual_mov_b32 v149, v5
	;; [unrolled: 1-line block ×7, first 2 shown]
	s_clause 0x2
	scratch_store_b128 off, v[147:150], off
	scratch_store_b128 off, v[151:154], off offset:16
	scratch_store_b128 off, v[155:158], off offset:32
	v_dual_mov_b32 v182, v26 :: v_dual_mov_b32 v181, v25
	v_dual_mov_b32 v172, v16 :: v_dual_mov_b32 v171, v15
	;; [unrolled: 1-line block ×8, first 2 shown]
	s_delay_alu instid0(VALU_DEP_4) | instskip(SKIP_1) | instid1(VALU_DEP_4)
	v_dual_mov_b32 v160, v172 :: v_dual_mov_b32 v161, v173
	v_dual_mov_b32 v162, v174 :: v_dual_mov_b32 v163, v175
	v_dual_mov_b32 v164, v176 :: v_dual_mov_b32 v165, v177
	v_dual_mov_b32 v168, v180 :: v_dual_mov_b32 v169, v181
	v_mov_b32_e32 v170, v182
	v_dual_mov_b32 v166, v178 :: v_dual_mov_b32 v167, v179
	v_mov_b32_e32 v162, v18
	v_dual_mov_b32 v40, v41 :: v_dual_mov_b32 v41, v28
	v_mov_b32_e32 v5, v4
	v_mov_b32_e32 v17, v16
	;; [unrolled: 1-line block ×3, first 2 shown]
	v_dual_mov_b32 v137, v149 :: v_dual_mov_b32 v144, v156
	v_dual_mov_b32 v123, v159 :: v_dual_mov_b32 v136, v148
	;; [unrolled: 1-line block ×12, first 2 shown]
	v_mov_b32_e32 v133, v169
	v_dual_mov_b32 v111, v135 :: v_dual_mov_b32 v112, v136
	v_dual_mov_b32 v99, v123 :: v_dual_mov_b32 v100, v124
	;; [unrolled: 1-line block ×12, first 2 shown]
	v_mov_b32_e32 v104, v20
	v_dual_mov_b32 v116, v8 :: v_dual_mov_b32 v75, v99
	v_mov_b32_e32 v87, v111
	v_dual_mov_b32 v93, v117 :: v_dual_mov_b32 v78, v102
	s_delay_alu instid0(VALU_DEP_3)
	v_dual_mov_b32 v81, v105 :: v_dual_mov_b32 v92, v116
	v_dual_mov_b32 v90, v114 :: v_dual_mov_b32 v91, v115
	;; [unrolled: 1-line block ×11, first 2 shown]
	v_mov_b32_e32 v51, v87
	v_dual_mov_b32 v63, v75 :: v_dual_mov_b32 v66, v78
	v_dual_mov_b32 v55, v91 :: v_dual_mov_b32 v58, v94
	;; [unrolled: 1-line block ×14, first 2 shown]
	v_mov_b32_e32 v72, v24
	v_dual_mov_b32 v62, v14 :: v_dual_mov_b32 v71, v23
	v_dual_mov_b32 v70, v22 :: v_dual_mov_b32 v73, v1
	v_mov_b32_e32 v74, v26
.LBB211_67:
	s_or_b32 exec_lo, exec_lo, s2
	v_mov_b32_e32 v3, v42
	v_cmp_lt_f32_e32 vcc_lo, v13, v42
	s_mov_b32 s2, exec_lo
	s_clause 0x2
	scratch_load_b128 v[27:30], off, off
	scratch_load_b128 v[31:34], off, off offset:16
	scratch_load_b128 v[35:38], off, off offset:32
	s_and_b32 s3, s2, vcc_lo
	s_delay_alu instid0(SALU_CYCLE_1)
	s_mov_b32 exec_lo, s3
	s_cbranch_execz .LBB211_69
; %bb.68:
	v_mov_b32_e32 v173, v18
	s_waitcnt vmcnt(2)
	v_mov_b32_e32 v29, v6
	v_dual_mov_b32 v159, v171 :: v_dual_mov_b32 v160, v172
	s_waitcnt vmcnt(0)
	v_dual_mov_b32 v158, v38 :: v_dual_mov_b32 v157, v37
	v_dual_mov_b32 v156, v36 :: v_dual_mov_b32 v147, v27
	;; [unrolled: 1-line block ×6, first 2 shown]
	v_mov_b32_e32 v168, v180
	v_dual_mov_b32 v164, v176 :: v_dual_mov_b32 v165, v177
	v_dual_mov_b32 v170, v182 :: v_dual_mov_b32 v155, v35
	;; [unrolled: 1-line block ×4, first 2 shown]
	v_mov_b32_e32 v150, v5
	v_mov_b32_e32 v169, v181
	v_dual_mov_b32 v162, v17 :: v_dual_mov_b32 v135, v147
	v_dual_mov_b32 v136, v148 :: v_dual_mov_b32 v123, v159
	;; [unrolled: 1-line block ×13, first 2 shown]
	v_mov_b32_e32 v139, v7
	v_dual_mov_b32 v99, v123 :: v_dual_mov_b32 v100, v124
	v_dual_mov_b32 v111, v135 :: v_dual_mov_b32 v114, v138
	;; [unrolled: 1-line block ×4, first 2 shown]
	v_mov_b32_e32 v120, v144
	v_dual_mov_b32 v104, v128 :: v_dual_mov_b32 v105, v129
	v_dual_mov_b32 v110, v134 :: v_dual_mov_b32 v115, v139
	;; [unrolled: 1-line block ×21, first 2 shown]
	v_mov_b32_e32 v93, v9
	v_dual_mov_b32 v63, v75 :: v_dual_mov_b32 v64, v76
	v_dual_mov_b32 v51, v87 :: v_dual_mov_b32 v54, v90
	;; [unrolled: 1-line block ×3, first 2 shown]
	s_delay_alu instid0(VALU_DEP_4)
	v_dual_mov_b32 v58, v94 :: v_dual_mov_b32 v57, v93
	v_dual_mov_b32 v60, v96 :: v_dual_mov_b32 v59, v95
	;; [unrolled: 1-line block ×9, first 2 shown]
	v_mov_b32_e32 v42, v13
	v_dual_mov_b32 v53, v89 :: v_dual_mov_b32 v56, v92
	v_dual_mov_b32 v68, v80 :: v_dual_mov_b32 v59, v11
	v_mov_b32_e32 v62, v14
	v_dual_mov_b32 v61, v2 :: v_dual_mov_b32 v72, v24
	v_dual_mov_b32 v70, v22 :: v_dual_mov_b32 v71, v23
	;; [unrolled: 1-line block ×3, first 2 shown]
	v_mov_b32_e32 v3, v13
	v_mov_b32_e32 v18, v17
	;; [unrolled: 1-line block ×3, first 2 shown]
.LBB211_69:
	s_or_b32 exec_lo, exec_lo, s2
	v_mov_b32_e32 v4, v43
	s_mov_b32 s2, exec_lo
	v_cmpx_lt_f32_e32 v3, v43
	s_cbranch_execz .LBB211_71
; %bb.70:
	v_mov_b32_e32 v174, v19
	s_waitcnt vmcnt(2)
	v_mov_b32_e32 v30, v7
	v_mov_b32_e32 v123, v171
	s_waitcnt vmcnt(0)
	v_dual_mov_b32 v125, v173 :: v_dual_mov_b32 v146, v38
	s_delay_alu instid0(VALU_DEP_3)
	v_dual_mov_b32 v143, v35 :: v_dual_mov_b32 v138, v30
	v_mov_b32_e32 v135, v27
	v_dual_mov_b32 v145, v37 :: v_dual_mov_b32 v142, v34
	v_dual_mov_b32 v139, v31 :: v_dual_mov_b32 v136, v28
	;; [unrolled: 1-line block ×6, first 2 shown]
	v_mov_b32_e32 v139, v6
	v_dual_mov_b32 v127, v18 :: v_dual_mov_b32 v124, v172
	v_dual_mov_b32 v126, v174 :: v_dual_mov_b32 v129, v177
	;; [unrolled: 1-line block ×15, first 2 shown]
	v_mov_b32_e32 v110, v134
	v_mov_b32_e32 v104, v20
	v_dual_mov_b32 v116, v8 :: v_dual_mov_b32 v75, v99
	v_mov_b32_e32 v87, v111
	v_dual_mov_b32 v93, v117 :: v_dual_mov_b32 v78, v102
	s_delay_alu instid0(VALU_DEP_3)
	v_dual_mov_b32 v81, v105 :: v_dual_mov_b32 v92, v116
	v_dual_mov_b32 v80, v104 :: v_dual_mov_b32 v83, v107
	;; [unrolled: 1-line block ×11, first 2 shown]
	v_mov_b32_e32 v63, v75
	s_delay_alu instid0(VALU_DEP_3)
	v_dual_mov_b32 v51, v87 :: v_dual_mov_b32 v54, v90
	v_dual_mov_b32 v71, v83 :: v_dual_mov_b32 v72, v84
	;; [unrolled: 1-line block ×14, first 2 shown]
	v_mov_b32_e32 v68, v80
	v_dual_mov_b32 v58, v10 :: v_dual_mov_b32 v59, v11
	v_dual_mov_b32 v60, v12 :: v_dual_mov_b32 v61, v2
	;; [unrolled: 1-line block ×14, first 2 shown]
	v_mov_b32_e32 v150, v30
	v_dual_mov_b32 v148, v28 :: v_dual_mov_b32 v19, v18
	v_dual_mov_b32 v4, v3 :: v_dual_mov_b32 v7, v6
.LBB211_71:
	s_or_b32 exec_lo, exec_lo, s2
	v_mov_b32_e32 v3, v44
	s_mov_b32 s2, exec_lo
	s_delay_alu instid0(VALU_DEP_2)
	v_cmpx_lt_f32_e32 v4, v44
	s_cbranch_execz .LBB211_73
; %bb.72:
	v_mov_b32_e32 v163, v20
	v_mov_b32_e32 v151, v8
	v_dual_mov_b32 v99, v159 :: v_dual_mov_b32 v102, v162
	v_dual_mov_b32 v111, v147 :: v_dual_mov_b32 v112, v148
	;; [unrolled: 1-line block ×10, first 2 shown]
	v_mov_b32_e32 v108, v168
	v_dual_mov_b32 v104, v164 :: v_dual_mov_b32 v109, v169
	v_mov_b32_e32 v116, v7
	v_mov_b32_e32 v107, v167
	;; [unrolled: 1-line block ×3, first 2 shown]
	v_dual_mov_b32 v87, v111 :: v_dual_mov_b32 v90, v114
	v_dual_mov_b32 v88, v112 :: v_dual_mov_b32 v89, v113
	;; [unrolled: 1-line block ×12, first 2 shown]
	v_mov_b32_e32 v93, v9
	v_mov_b32_e32 v43, v44
	v_dual_mov_b32 v44, v4 :: v_dual_mov_b32 v81, v21
	v_dual_mov_b32 v51, v87 :: v_dual_mov_b32 v56, v92
	;; [unrolled: 1-line block ×15, first 2 shown]
	v_mov_b32_e32 v136, v148
	v_dual_mov_b32 v54, v90 :: v_dual_mov_b32 v59, v11
	v_mov_b32_e32 v62, v14
	v_dual_mov_b32 v61, v2 :: v_dual_mov_b32 v72, v24
	v_dual_mov_b32 v70, v22 :: v_dual_mov_b32 v71, v23
	;; [unrolled: 1-line block ×14, first 2 shown]
	v_mov_b32_e32 v8, v7
.LBB211_73:
	s_or_b32 exec_lo, exec_lo, s2
	v_mov_b32_e32 v4, v45
	s_mov_b32 s2, exec_lo
	v_cmpx_lt_f32_e32 v3, v45
	s_cbranch_execz .LBB211_75
; %bb.74:
	v_mov_b32_e32 v140, v9
	v_dual_mov_b32 v128, v21 :: v_dual_mov_b32 v87, v135
	v_mov_b32_e32 v93, v141
	v_dual_mov_b32 v93, v8 :: v_dual_mov_b32 v94, v142
	v_dual_mov_b32 v96, v144 :: v_dual_mov_b32 v97, v145
	v_mov_b32_e32 v98, v146
	v_dual_mov_b32 v44, v45 :: v_dual_mov_b32 v75, v123
	v_dual_mov_b32 v84, v132 :: v_dual_mov_b32 v85, v133
	;; [unrolled: 1-line block ×8, first 2 shown]
	v_mov_b32_e32 v81, v20
	v_dual_mov_b32 v51, v87 :: v_dual_mov_b32 v52, v88
	v_dual_mov_b32 v76, v124 :: v_dual_mov_b32 v77, v125
	;; [unrolled: 1-line block ×30, first 2 shown]
	v_mov_b32_e32 v120, v144
	v_dual_mov_b32 v122, v146 :: v_dual_mov_b32 v21, v20
	v_dual_mov_b32 v4, v3 :: v_dual_mov_b32 v9, v8
.LBB211_75:
	s_or_b32 exec_lo, exec_lo, s2
	v_mov_b32_e32 v3, v46
	s_mov_b32 s2, exec_lo
	s_delay_alu instid0(VALU_DEP_2)
	v_cmpx_lt_f32_e32 v4, v46
	s_cbranch_execz .LBB211_77
; %bb.76:
	v_mov_b32_e32 v117, v10
	v_dual_mov_b32 v45, v46 :: v_dual_mov_b32 v46, v4
	v_mov_b32_e32 v105, v22
	v_dual_mov_b32 v51, v111 :: v_dual_mov_b32 v54, v114
	v_dual_mov_b32 v56, v116 :: v_dual_mov_b32 v63, v99
	;; [unrolled: 1-line block ×6, first 2 shown]
	v_mov_b32_e32 v58, v9
	v_dual_mov_b32 v61, v121 :: v_dual_mov_b32 v60, v12
	v_dual_mov_b32 v67, v103 :: v_dual_mov_b32 v70, v106
	;; [unrolled: 1-line block ×8, first 2 shown]
	v_mov_b32_e32 v62, v14
	v_dual_mov_b32 v61, v2 :: v_dual_mov_b32 v64, v100
	v_dual_mov_b32 v65, v101 :: v_dual_mov_b32 v68, v104
	;; [unrolled: 1-line block ×15, first 2 shown]
	v_mov_b32_e32 v98, v122
.LBB211_77:
	s_or_b32 exec_lo, exec_lo, s2
	v_mov_b32_e32 v4, v47
	s_mov_b32 s2, exec_lo
	v_cmpx_lt_f32_e32 v3, v47
	s_cbranch_execz .LBB211_79
; %bb.78:
	v_dual_mov_b32 v84, v24 :: v_dual_mov_b32 v85, v1
	v_dual_mov_b32 v94, v11 :: v_dual_mov_b32 v95, v10
	;; [unrolled: 1-line block ×4, first 2 shown]
	v_mov_b32_e32 v86, v26
	v_mov_b32_e32 v46, v47
	v_dual_mov_b32 v47, v3 :: v_dual_mov_b32 v98, v14
	v_dual_mov_b32 v63, v75 :: v_dual_mov_b32 v72, v84
	;; [unrolled: 1-line block ×3, first 2 shown]
	v_mov_b32_e32 v67, v79
	v_dual_mov_b32 v65, v77 :: v_dual_mov_b32 v66, v78
	v_dual_mov_b32 v69, v81 :: v_dual_mov_b32 v68, v80
	;; [unrolled: 1-line block ×9, first 2 shown]
	v_mov_b32_e32 v62, v98
	v_mov_b32_e32 v4, v3
.LBB211_79:
	s_or_b32 exec_lo, exec_lo, s2
	s_delay_alu instid0(VALU_DEP_1)
	v_cmp_lt_f32_e32 vcc_lo, v4, v48
	v_dual_mov_b32 v3, v41 :: v_dual_mov_b32 v8, v46
	v_dual_mov_b32 v5, v43 :: v_dual_mov_b32 v12, v50
	s_waitcnt vmcnt(0)
	v_cndmask_b32_e32 v37, v72, v71, vcc_lo
	v_dual_cndmask_b32 v71, v71, v72 :: v_dual_cndmask_b32 v38, v60, v59
	v_dual_cndmask_b32 v59, v59, v60 :: v_dual_mov_b32 v2, v40
	v_dual_cndmask_b32 v10, v48, v4 :: v_dual_mov_b32 v1, v39
	;; [unrolled: 1-line block ×3, first 2 shown]
	v_dual_mov_b32 v4, v42 :: v_dual_mov_b32 v7, v45
	v_mov_b32_e32 v11, v49
	s_mov_b32 s2, exec_lo
	v_cmpx_lt_f32_e32 v39, v40
	s_cbranch_execz .LBB211_81
; %bb.80:
	v_dual_mov_b32 v13, v2 :: v_dual_mov_b32 v14, v1
	v_dual_mov_b32 v15, v3 :: v_dual_mov_b32 v16, v4
	;; [unrolled: 1-line block ×6, first 2 shown]
	v_mov_b32_e32 v25, v63
	v_dual_mov_b32 v26, v51 :: v_dual_mov_b32 v1, v13
	v_swap_b32 v63, v64
	v_swap_b32 v51, v52
	v_dual_mov_b32 v2, v14 :: v_dual_mov_b32 v3, v15
	v_dual_mov_b32 v4, v16 :: v_dual_mov_b32 v5, v17
	;; [unrolled: 1-line block ×5, first 2 shown]
	v_mov_b32_e32 v12, v24
	v_mov_b32_e32 v40, v39
.LBB211_81:
	s_or_b32 exec_lo, exec_lo, s2
	v_mov_b32_e32 v60, v38
	v_dual_mov_b32 v72, v37 :: v_dual_mov_b32 v13, v51
	v_dual_mov_b32 v25, v63 :: v_dual_mov_b32 v98, v74
	;; [unrolled: 1-line block ×60, first 2 shown]
	s_mov_b32 s2, exec_lo
	v_dual_mov_b32 v96, v72 :: v_dual_mov_b32 v93, v69
	v_cmpx_lt_f32_e32 v40, v3
	s_cbranch_execz .LBB211_83
; %bb.82:
	v_dual_mov_b32 v134, v62 :: v_dual_mov_b32 v133, v61
	v_dual_mov_b32 v124, v52 :: v_dual_mov_b32 v123, v51
	v_mov_b32_e32 v124, v53
	v_dual_mov_b32 v128, v56 :: v_dual_mov_b32 v127, v55
	v_dual_mov_b32 v132, v60 :: v_dual_mov_b32 v131, v59
	;; [unrolled: 1-line block ×11, first 2 shown]
	v_mov_b32_e32 v141, v69
	v_dual_mov_b32 v136, v65 :: v_dual_mov_b32 v137, v64
	v_dual_mov_b32 v160, v124 :: v_dual_mov_b32 v159, v123
	v_dual_mov_b32 v164, v128 :: v_dual_mov_b32 v163, v127
	v_dual_mov_b32 v168, v132 :: v_dual_mov_b32 v167, v131
	v_dual_mov_b32 v158, v146 :: v_dual_mov_b32 v155, v143
	v_dual_mov_b32 v162, v126 :: v_dual_mov_b32 v161, v125
	v_dual_mov_b32 v150, v138 :: v_dual_mov_b32 v147, v135
	v_dual_mov_b32 v152, v140 :: v_dual_mov_b32 v149, v137
	v_dual_mov_b32 v166, v130 :: v_dual_mov_b32 v165, v129
	v_dual_mov_b32 v162, v54 :: v_dual_mov_b32 v157, v145
	v_dual_mov_b32 v156, v144 :: v_dual_mov_b32 v153, v141
	v_dual_mov_b32 v154, v142 :: v_dual_mov_b32 v151, v139
	v_dual_mov_b32 v148, v136 :: v_dual_mov_b32 v111, v159
	v_dual_mov_b32 v150, v66 :: v_dual_mov_b32 v113, v161
	v_dual_mov_b32 v112, v160 :: v_dual_mov_b32 v115, v163
	v_dual_mov_b32 v116, v164 :: v_dual_mov_b32 v119, v167
	v_dual_mov_b32 v120, v168 :: v_dual_mov_b32 v115, v55
	v_dual_mov_b32 v122, v170 :: v_dual_mov_b32 v99, v147
	v_dual_mov_b32 v104, v152 :: v_dual_mov_b32 v105, v153
	v_dual_mov_b32 v114, v162 :: v_dual_mov_b32 v117, v165
	v_dual_mov_b32 v118, v166 :: v_dual_mov_b32 v121, v169
	v_dual_mov_b32 v102, v150 :: v_dual_mov_b32 v103, v151
	v_dual_mov_b32 v106, v154 :: v_dual_mov_b32 v107, v155
	v_dual_mov_b32 v108, v156 :: v_dual_mov_b32 v109, v157
	v_dual_mov_b32 v110, v158 :: v_dual_mov_b32 v103, v67
	v_dual_mov_b32 v100, v148 :: v_dual_mov_b32 v101, v149
	v_dual_mov_b32 v75, v111 :: v_dual_mov_b32 v76, v112
	v_dual_mov_b32 v79, v115 :: v_dual_mov_b32 v80, v116
	v_dual_mov_b32 v83, v119 :: v_dual_mov_b32 v84, v120
	v_dual_mov_b32 v80, v56 :: v_dual_mov_b32 v87, v99
	v_dual_mov_b32 v77, v113 :: v_dual_mov_b32 v78, v114
	v_dual_mov_b32 v92, v104 :: v_dual_mov_b32 v93, v105
	v_dual_mov_b32 v81, v117 :: v_dual_mov_b32 v82, v118
	v_dual_mov_b32 v85, v121 :: v_dual_mov_b32 v86, v122
	v_dual_mov_b32 v90, v102 :: v_dual_mov_b32 v91, v103
	v_dual_mov_b32 v94, v106 :: v_dual_mov_b32 v95, v107
	v_dual_mov_b32 v96, v108 :: v_dual_mov_b32 v97, v109
	v_dual_mov_b32 v98, v110 :: v_dual_mov_b32 v13, v75
	v_dual_mov_b32 v92, v68 :: v_dual_mov_b32 v15, v77
	v_dual_mov_b32 v88, v100 :: v_dual_mov_b32 v89, v101
	v_mov_b32_e32 v22, v84
	v_dual_mov_b32 v22, v38 :: v_dual_mov_b32 v25, v87
	v_dual_mov_b32 v16, v78 :: v_dual_mov_b32 v19, v81
	;; [unrolled: 1-line block ×16, first 2 shown]
	v_mov_b32_e32 v35, v73
	v_dual_mov_b32 v34, v37 :: v_dual_mov_b32 v39, v40
	v_dual_mov_b32 v36, v74 :: v_dual_mov_b32 v65, v64
	v_mov_b32_e32 v53, v52
.LBB211_83:
	s_or_b32 exec_lo, exec_lo, s2
	v_mov_b32_e32 v40, v4
	s_mov_b32 s2, exec_lo
	v_cmpx_lt_f32_e32 v39, v4
	s_cbranch_execz .LBB211_85
; %bb.84:
	v_mov_b32_e32 v137, v66
	v_mov_b32_e32 v125, v54
	;; [unrolled: 1-line block ×4, first 2 shown]
	v_dual_mov_b32 v170, v134 :: v_dual_mov_b32 v169, v133
	v_dual_mov_b32 v168, v132 :: v_dual_mov_b32 v159, v123
	;; [unrolled: 1-line block ×9, first 2 shown]
	v_mov_b32_e32 v157, v145
	v_dual_mov_b32 v155, v143 :: v_dual_mov_b32 v152, v140
	v_mov_b32_e32 v162, v53
	v_mov_b32_e32 v149, v137
	v_dual_mov_b32 v150, v65 :: v_dual_mov_b32 v111, v159
	v_dual_mov_b32 v112, v160 :: v_dual_mov_b32 v99, v147
	;; [unrolled: 1-line block ×13, first 2 shown]
	v_mov_b32_e32 v115, v55
	v_dual_mov_b32 v87, v99 :: v_dual_mov_b32 v88, v100
	v_dual_mov_b32 v75, v111 :: v_dual_mov_b32 v78, v114
	;; [unrolled: 1-line block ×3, first 2 shown]
	s_delay_alu instid0(VALU_DEP_4)
	v_dual_mov_b32 v80, v116 :: v_dual_mov_b32 v79, v115
	v_dual_mov_b32 v82, v118 :: v_dual_mov_b32 v81, v117
	;; [unrolled: 1-line block ×6, first 2 shown]
	v_mov_b32_e32 v96, v108
	v_dual_mov_b32 v92, v104 :: v_dual_mov_b32 v93, v105
	v_dual_mov_b32 v98, v110 :: v_dual_mov_b32 v95, v107
	;; [unrolled: 1-line block ×21, first 2 shown]
	v_mov_b32_e32 v34, v37
	v_dual_mov_b32 v35, v73 :: v_dual_mov_b32 v36, v74
	v_mov_b32_e32 v40, v39
	v_mov_b32_e32 v66, v65
	;; [unrolled: 1-line block ×3, first 2 shown]
.LBB211_85:
	s_or_b32 exec_lo, exec_lo, s2
	v_mov_b32_e32 v39, v5
	s_mov_b32 s2, exec_lo
	v_cmpx_lt_f32_e32 v40, v5
	s_cbranch_execz .LBB211_87
; %bb.86:
	v_mov_b32_e32 v126, v55
	v_mov_b32_e32 v111, v123
	;; [unrolled: 1-line block ×3, first 2 shown]
	v_dual_mov_b32 v115, v54 :: v_dual_mov_b32 v116, v128
	v_dual_mov_b32 v138, v67 :: v_dual_mov_b32 v113, v125
	v_mov_b32_e32 v112, v124
	v_dual_mov_b32 v118, v130 :: v_dual_mov_b32 v119, v131
	v_dual_mov_b32 v120, v132 :: v_dual_mov_b32 v121, v133
	;; [unrolled: 1-line block ×24, first 2 shown]
	v_mov_b32_e32 v22, v84
	v_dual_mov_b32 v22, v38 :: v_dual_mov_b32 v25, v87
	v_dual_mov_b32 v16, v78 :: v_dual_mov_b32 v19, v81
	;; [unrolled: 1-line block ×18, first 2 shown]
	v_mov_b32_e32 v35, v73
	v_dual_mov_b32 v34, v37 :: v_dual_mov_b32 v155, v143
	v_dual_mov_b32 v36, v74 :: v_dual_mov_b32 v157, v145
	;; [unrolled: 1-line block ×12, first 2 shown]
	v_mov_b32_e32 v55, v54
.LBB211_87:
	s_or_b32 exec_lo, exec_lo, s2
	v_mov_b32_e32 v40, v6
	s_mov_b32 s2, exec_lo
	v_cmpx_lt_f32_e32 v39, v6
	s_cbranch_execz .LBB211_89
; %bb.88:
	v_mov_b32_e32 v163, v56
	v_dual_mov_b32 v75, v159 :: v_dual_mov_b32 v80, v164
	v_dual_mov_b32 v80, v55 :: v_dual_mov_b32 v81, v165
	;; [unrolled: 1-line block ×7, first 2 shown]
	v_mov_b32_e32 v85, v169
	v_dual_mov_b32 v89, v149 :: v_dual_mov_b32 v92, v152
	v_dual_mov_b32 v91, v151 :: v_dual_mov_b32 v94, v154
	;; [unrolled: 1-line block ×6, first 2 shown]
	v_mov_b32_e32 v88, v148
	v_mov_b32_e32 v6, v39
	s_delay_alu instid0(VALU_DEP_3) | instskip(NEXT) | instid1(VALU_DEP_3)
	v_dual_mov_b32 v13, v75 :: v_dual_mov_b32 v14, v76
	v_dual_mov_b32 v25, v87 :: v_dual_mov_b32 v26, v88
	v_dual_mov_b32 v19, v81 :: v_dual_mov_b32 v20, v82
	v_dual_mov_b32 v21, v83 :: v_dual_mov_b32 v22, v84
	v_dual_mov_b32 v23, v85 :: v_dual_mov_b32 v24, v86
	v_dual_mov_b32 v31, v93 :: v_dual_mov_b32 v32, v94
	v_dual_mov_b32 v33, v95 :: v_dual_mov_b32 v34, v96
	v_dual_mov_b32 v35, v97 :: v_dual_mov_b32 v36, v98
	v_dual_mov_b32 v99, v147 :: v_dual_mov_b32 v100, v148
	v_dual_mov_b32 v111, v159 :: v_dual_mov_b32 v112, v160
	v_dual_mov_b32 v15, v77 :: v_dual_mov_b32 v16, v78
	v_dual_mov_b32 v17, v79 :: v_dual_mov_b32 v18, v80
	v_dual_mov_b32 v19, v57 :: v_dual_mov_b32 v20, v58
	v_dual_mov_b32 v21, v59 :: v_dual_mov_b32 v22, v38
	v_dual_mov_b32 v23, v61 :: v_dual_mov_b32 v24, v62
	v_dual_mov_b32 v27, v89 :: v_dual_mov_b32 v28, v90
	v_dual_mov_b32 v29, v91 :: v_dual_mov_b32 v30, v92
	v_dual_mov_b32 v31, v69 :: v_dual_mov_b32 v32, v70
	v_dual_mov_b32 v33, v71 :: v_dual_mov_b32 v34, v37
	v_dual_mov_b32 v35, v73 :: v_dual_mov_b32 v36, v74
	v_dual_mov_b32 v101, v149 :: v_dual_mov_b32 v102, v150
	v_dual_mov_b32 v103, v151 :: v_dual_mov_b32 v104, v152
	v_dual_mov_b32 v105, v153 :: v_dual_mov_b32 v106, v154
	v_dual_mov_b32 v107, v155 :: v_dual_mov_b32 v108, v156
	v_dual_mov_b32 v109, v157 :: v_dual_mov_b32 v110, v158
	v_dual_mov_b32 v113, v161 :: v_dual_mov_b32 v114, v162
	v_dual_mov_b32 v115, v163 :: v_dual_mov_b32 v116, v164
	v_dual_mov_b32 v117, v165 :: v_dual_mov_b32 v118, v166
	v_dual_mov_b32 v119, v167 :: v_dual_mov_b32 v120, v168
	v_dual_mov_b32 v121, v169 :: v_dual_mov_b32 v122, v170
	v_mov_b32_e32 v40, v39
	v_mov_b32_e32 v68, v67
	;; [unrolled: 1-line block ×3, first 2 shown]
.LBB211_89:
	s_or_b32 exec_lo, exec_lo, s2
	v_mov_b32_e32 v39, v7
	s_mov_b32 s2, exec_lo
	v_cmpx_lt_f32_e32 v40, v7
	s_cbranch_execz .LBB211_91
; %bb.90:
	v_mov_b32_e32 v116, v57
	v_dual_mov_b32 v6, v7 :: v_dual_mov_b32 v7, v40
	v_dual_mov_b32 v104, v69 :: v_dual_mov_b32 v13, v111
	v_mov_b32_e32 v22, v120
	v_dual_mov_b32 v22, v38 :: v_dual_mov_b32 v25, v99
	v_mov_b32_e32 v34, v108
	v_dual_mov_b32 v34, v37 :: v_dual_mov_b32 v87, v99
	v_dual_mov_b32 v16, v114 :: v_dual_mov_b32 v19, v117
	;; [unrolled: 1-line block ×12, first 2 shown]
	v_mov_b32_e32 v23, v61
	v_dual_mov_b32 v21, v59 :: v_dual_mov_b32 v24, v62
	v_dual_mov_b32 v27, v101 :: v_dual_mov_b32 v26, v100
	;; [unrolled: 1-line block ×3, first 2 shown]
	v_mov_b32_e32 v35, v73
	v_dual_mov_b32 v33, v71 :: v_dual_mov_b32 v36, v74
	v_dual_mov_b32 v89, v101 :: v_dual_mov_b32 v88, v100
	;; [unrolled: 1-line block ×9, first 2 shown]
	v_mov_b32_e32 v39, v40
	v_mov_b32_e32 v69, v68
	v_dual_mov_b32 v57, v56 :: v_dual_mov_b32 v94, v106
	v_dual_mov_b32 v97, v109 :: v_dual_mov_b32 v82, v118
	;; [unrolled: 1-line block ×3, first 2 shown]
.LBB211_91:
	s_or_b32 exec_lo, exec_lo, s2
	v_mov_b32_e32 v40, v8
	s_mov_b32 s2, exec_lo
	v_cmpx_lt_f32_e32 v39, v8
	s_cbranch_execz .LBB211_93
; %bb.92:
	v_dual_mov_b32 v81, v58 :: v_dual_mov_b32 v82, v57
	v_dual_mov_b32 v83, v59 :: v_dual_mov_b32 v84, v38
	;; [unrolled: 1-line block ×19, first 2 shown]
	v_mov_b32_e32 v40, v39
.LBB211_93:
	s_or_b32 exec_lo, exec_lo, s2
	s_delay_alu instid0(VALU_DEP_1)
	v_cmp_lt_f32_e32 vcc_lo, v40, v9
	v_dual_mov_b32 v38, v2 :: v_dual_mov_b32 v41, v5
	v_dual_mov_b32 v42, v6 :: v_dual_mov_b32 v47, v11
	v_dual_cndmask_b32 v145, v33, v32 :: v_dual_cndmask_b32 v32, v32, v33
	v_dual_cndmask_b32 v146, v21, v20 :: v_dual_mov_b32 v39, v3
	v_dual_cndmask_b32 v20, v20, v21 :: v_dual_cndmask_b32 v45, v9, v40
	v_dual_cndmask_b32 v44, v8, v9 :: v_dual_mov_b32 v37, v1
	v_dual_mov_b32 v40, v4 :: v_dual_mov_b32 v43, v7
	v_mov_b32_e32 v46, v10
	v_mov_b32_e32 v48, v12
	s_mov_b32 s2, exec_lo
	v_cmpx_lt_f32_e32 v1, v2
	s_cbranch_execz .LBB211_95
; %bb.94:
	v_dual_mov_b32 v49, v38 :: v_dual_mov_b32 v50, v37
	v_dual_mov_b32 v51, v39 :: v_dual_mov_b32 v52, v40
	;; [unrolled: 1-line block ×6, first 2 shown]
	v_mov_b32_e32 v3, v25
	v_mov_b32_e32 v4, v13
	v_dual_mov_b32 v37, v49 :: v_dual_mov_b32 v40, v52
	v_swap_b32 v25, v26
	v_swap_b32 v13, v14
	v_dual_mov_b32 v38, v50 :: v_dual_mov_b32 v39, v51
	v_dual_mov_b32 v41, v53 :: v_dual_mov_b32 v42, v54
	;; [unrolled: 1-line block ×5, first 2 shown]
	v_mov_b32_e32 v2, v1
.LBB211_95:
	s_or_b32 exec_lo, exec_lo, s2
	v_mov_b32_e32 v21, v146
	v_dual_mov_b32 v33, v145 :: v_dual_mov_b32 v60, v24
	v_dual_mov_b32 v72, v36 :: v_dual_mov_b32 v61, v25
	;; [unrolled: 1-line block ×43, first 2 shown]
	v_mov_b32_e32 v97, v13
	v_mov_b32_e32 v1, v39
	s_mov_b32 s2, exec_lo
	v_dual_mov_b32 v95, v35 :: v_dual_mov_b32 v94, v34
	v_dual_mov_b32 v93, v33 :: v_dual_mov_b32 v92, v32
	;; [unrolled: 1-line block ×5, first 2 shown]
	v_cmpx_lt_f32_e32 v2, v39
	s_cbranch_execz .LBB211_97
; %bb.96:
	v_dual_mov_b32 v108, v24 :: v_dual_mov_b32 v107, v23
	v_dual_mov_b32 v98, v14 :: v_dual_mov_b32 v97, v13
	v_mov_b32_e32 v98, v15
	v_dual_mov_b32 v104, v20 :: v_dual_mov_b32 v103, v19
	v_dual_mov_b32 v100, v16 :: v_dual_mov_b32 v99, v15
	v_dual_mov_b32 v120, v36 :: v_dual_mov_b32 v119, v35
	v_dual_mov_b32 v102, v18 :: v_dual_mov_b32 v101, v17
	v_dual_mov_b32 v99, v14 :: v_dual_mov_b32 v112, v28
	v_dual_mov_b32 v111, v27 :: v_dual_mov_b32 v110, v26
	v_dual_mov_b32 v109, v25 :: v_dual_mov_b32 v106, v22
	v_dual_mov_b32 v105, v21 :: v_dual_mov_b32 v118, v34
	v_dual_mov_b32 v117, v33 :: v_dual_mov_b32 v116, v32
	v_dual_mov_b32 v115, v31 :: v_dual_mov_b32 v114, v30
	v_dual_mov_b32 v113, v29 :: v_dual_mov_b32 v110, v27
	v_dual_mov_b32 v111, v26 :: v_dual_mov_b32 v144, v108
	v_dual_mov_b32 v143, v107 :: v_dual_mov_b32 v134, v98
	v_dual_mov_b32 v133, v97 :: v_dual_mov_b32 v140, v104
	v_dual_mov_b32 v139, v103 :: v_dual_mov_b32 v132, v120
	v_dual_mov_b32 v129, v117 :: v_dual_mov_b32 v138, v102
	v_dual_mov_b32 v137, v101 :: v_dual_mov_b32 v136, v100
	v_dual_mov_b32 v135, v99 :: v_dual_mov_b32 v124, v112
	v_dual_mov_b32 v121, v109 :: v_dual_mov_b32 v142, v106
	v_dual_mov_b32 v141, v105 :: v_dual_mov_b32 v136, v16
	v_dual_mov_b32 v131, v119 :: v_dual_mov_b32 v130, v118
	v_dual_mov_b32 v127, v115 :: v_dual_mov_b32 v128, v116
	v_dual_mov_b32 v125, v113 :: v_dual_mov_b32 v126, v114
	v_dual_mov_b32 v123, v111 :: v_dual_mov_b32 v124, v28
	v_dual_mov_b32 v122, v110 :: v_dual_mov_b32 v73, v133
	v_dual_mov_b32 v80, v140 :: v_dual_mov_b32 v83, v143
	v_mov_b32_e32 v84, v144
	v_dual_mov_b32 v74, v134 :: v_dual_mov_b32 v77, v137
	v_mov_b32_e32 v75, v135
	v_dual_mov_b32 v38, v39 :: v_dual_mov_b32 v85, v121
	v_dual_mov_b32 v76, v136 :: v_dual_mov_b32 v79, v139
	v_dual_mov_b32 v78, v138 :: v_dual_mov_b32 v81, v141
	v_dual_mov_b32 v82, v142 :: v_dual_mov_b32 v77, v17
	v_dual_mov_b32 v88, v124 :: v_dual_mov_b32 v89, v125
	v_dual_mov_b32 v90, v126 :: v_dual_mov_b32 v91, v127
	v_dual_mov_b32 v92, v128 :: v_dual_mov_b32 v93, v129
	v_dual_mov_b32 v94, v130 :: v_dual_mov_b32 v95, v131
	v_dual_mov_b32 v96, v132 :: v_dual_mov_b32 v89, v29
	v_dual_mov_b32 v86, v122 :: v_dual_mov_b32 v87, v123
	v_mov_b32_e32 v39, v2
	v_dual_mov_b32 v49, v73 :: v_dual_mov_b32 v50, v74
	v_dual_mov_b32 v59, v83 :: v_dual_mov_b32 v60, v84
	;; [unrolled: 1-line block ×18, first 2 shown]
	v_mov_b32_e32 v70, v34
	v_dual_mov_b32 v72, v36 :: v_dual_mov_b32 v1, v2
	v_mov_b32_e32 v27, v26
	v_mov_b32_e32 v15, v14
.LBB211_97:
	s_or_b32 exec_lo, exec_lo, s2
	v_mov_b32_e32 v2, v40
	s_mov_b32 s2, exec_lo
	v_cmpx_lt_f32_e32 v1, v40
	s_cbranch_execz .LBB211_99
; %bb.98:
	v_mov_b32_e32 v99, v16
	v_mov_b32_e32 v144, v108
	;; [unrolled: 1-line block ×3, first 2 shown]
	v_dual_mov_b32 v136, v15 :: v_dual_mov_b32 v111, v28
	v_dual_mov_b32 v142, v106 :: v_dual_mov_b32 v133, v97
	;; [unrolled: 1-line block ×4, first 2 shown]
	v_mov_b32_e32 v135, v99
	v_dual_mov_b32 v125, v113 :: v_dual_mov_b32 v124, v112
	v_mov_b32_e32 v143, v107
	v_dual_mov_b32 v141, v105 :: v_dual_mov_b32 v140, v104
	v_dual_mov_b32 v139, v103 :: v_dual_mov_b32 v138, v102
	;; [unrolled: 1-line block ×18, first 2 shown]
	v_mov_b32_e32 v95, v131
	v_dual_mov_b32 v89, v29 :: v_dual_mov_b32 v88, v124
	v_dual_mov_b32 v49, v73 :: v_dual_mov_b32 v54, v78
	v_mov_b32_e32 v50, v74
	v_dual_mov_b32 v52, v76 :: v_dual_mov_b32 v61, v85
	s_delay_alu instid0(VALU_DEP_4)
	v_dual_mov_b32 v64, v88 :: v_dual_mov_b32 v51, v75
	v_dual_mov_b32 v56, v80 :: v_dual_mov_b32 v53, v77
	;; [unrolled: 1-line block ×12, first 2 shown]
	v_mov_b32_e32 v58, v22
	v_dual_mov_b32 v57, v146 :: v_dual_mov_b32 v60, v24
	v_dual_mov_b32 v59, v23 :: v_dual_mov_b32 v62, v86
	;; [unrolled: 1-line block ×5, first 2 shown]
	v_mov_b32_e32 v2, v1
	v_mov_b32_e32 v28, v27
	;; [unrolled: 1-line block ×3, first 2 shown]
.LBB211_99:
	s_or_b32 exec_lo, exec_lo, s2
	v_mov_b32_e32 v1, v41
	s_mov_b32 s2, exec_lo
	v_cmpx_lt_f32_e32 v2, v41
	s_cbranch_execz .LBB211_101
; %bb.100:
	v_mov_b32_e32 v100, v17
	v_mov_b32_e32 v73, v97
	;; [unrolled: 1-line block ×3, first 2 shown]
	v_dual_mov_b32 v77, v16 :: v_dual_mov_b32 v78, v102
	v_dual_mov_b32 v112, v29 :: v_dual_mov_b32 v75, v99
	;; [unrolled: 1-line block ×3, first 2 shown]
	v_mov_b32_e32 v84, v108
	v_dual_mov_b32 v74, v98 :: v_dual_mov_b32 v85, v109
	v_mov_b32_e32 v86, v110
	v_dual_mov_b32 v76, v100 :: v_dual_mov_b32 v79, v103
	v_dual_mov_b32 v80, v104 :: v_dual_mov_b32 v81, v105
	;; [unrolled: 1-line block ×8, first 2 shown]
	v_mov_b32_e32 v49, v73
	v_dual_mov_b32 v89, v28 :: v_dual_mov_b32 v50, v74
	v_dual_mov_b32 v59, v83 :: v_dual_mov_b32 v60, v84
	;; [unrolled: 1-line block ×32, first 2 shown]
	v_mov_b32_e32 v17, v16
.LBB211_101:
	s_or_b32 exec_lo, exec_lo, s2
	v_mov_b32_e32 v2, v42
	s_mov_b32 s2, exec_lo
	v_cmpx_lt_f32_e32 v1, v42
	s_cbranch_execz .LBB211_103
; %bb.102:
	v_mov_b32_e32 v137, v18
	v_mov_b32_e32 v125, v30
	v_dual_mov_b32 v41, v42 :: v_dual_mov_b32 v42, v1
	v_dual_mov_b32 v49, v133 :: v_dual_mov_b32 v50, v134
	;; [unrolled: 1-line block ×13, first 2 shown]
	v_mov_b32_e32 v66, v29
	v_dual_mov_b32 v85, v121 :: v_dual_mov_b32 v86, v122
	v_dual_mov_b32 v73, v133 :: v_dual_mov_b32 v74, v134
	;; [unrolled: 1-line block ×4, first 2 shown]
	v_mov_b32_e32 v64, v124
	v_dual_mov_b32 v58, v22 :: v_dual_mov_b32 v59, v23
	v_dual_mov_b32 v67, v31 :: v_dual_mov_b32 v68, v32
	;; [unrolled: 1-line block ×8, first 2 shown]
	v_mov_b32_e32 v2, v1
	v_mov_b32_e32 v30, v29
	v_dual_mov_b32 v18, v17 :: v_dual_mov_b32 v91, v127
	v_dual_mov_b32 v92, v128 :: v_dual_mov_b32 v93, v129
	;; [unrolled: 1-line block ×6, first 2 shown]
	v_mov_b32_e32 v84, v144
.LBB211_103:
	s_or_b32 exec_lo, exec_lo, s2
	v_mov_b32_e32 v1, v43
	s_mov_b32 s2, exec_lo
	v_cmpx_lt_f32_e32 v2, v43
	s_cbranch_execz .LBB211_105
; %bb.104:
	v_dual_mov_b32 v94, v34 :: v_dual_mov_b32 v95, v35
	v_dual_mov_b32 v78, v19 :: v_dual_mov_b32 v79, v18
	;; [unrolled: 1-line block ×6, first 2 shown]
	v_mov_b32_e32 v96, v36
	v_dual_mov_b32 v42, v43 :: v_dual_mov_b32 v43, v2
	v_dual_mov_b32 v84, v24 :: v_dual_mov_b32 v61, v85
	;; [unrolled: 1-line block ×14, first 2 shown]
.LBB211_105:
	s_or_b32 exec_lo, exec_lo, s2
	s_delay_alu instid0(VALU_DEP_1)
	v_cmp_lt_f32_e32 vcc_lo, v1, v44
	v_dual_mov_b32 v3, v39 :: v_dual_mov_b32 v10, v46
	v_dual_mov_b32 v5, v41 :: v_dual_mov_b32 v12, v48
	v_dual_cndmask_b32 v121, v68, v67 :: v_dual_mov_b32 v2, v38
	v_dual_cndmask_b32 v67, v67, v68 :: v_dual_cndmask_b32 v122, v56, v55
	v_dual_cndmask_b32 v55, v55, v56 :: v_dual_cndmask_b32 v8, v44, v1
	v_dual_cndmask_b32 v7, v43, v44 :: v_dual_mov_b32 v4, v40
	v_dual_mov_b32 v1, v37 :: v_dual_mov_b32 v6, v42
	v_mov_b32_e32 v9, v45
	v_mov_b32_e32 v11, v47
	s_mov_b32 s2, exec_lo
	v_cmpx_lt_f32_e32 v37, v38
	s_cbranch_execz .LBB211_107
; %bb.106:
	v_dual_mov_b32 v13, v2 :: v_dual_mov_b32 v14, v1
	v_dual_mov_b32 v15, v3 :: v_dual_mov_b32 v16, v4
	v_dual_mov_b32 v17, v5 :: v_dual_mov_b32 v18, v6
	v_dual_mov_b32 v19, v7 :: v_dual_mov_b32 v20, v8
	v_dual_mov_b32 v21, v9 :: v_dual_mov_b32 v22, v10
	v_dual_mov_b32 v23, v11 :: v_dual_mov_b32 v24, v12
	v_mov_b32_e32 v25, v61
	v_mov_b32_e32 v26, v49
	v_dual_mov_b32 v1, v13 :: v_dual_mov_b32 v4, v16
	v_swap_b32 v61, v62
	v_swap_b32 v49, v50
	v_dual_mov_b32 v2, v14 :: v_dual_mov_b32 v3, v15
	v_dual_mov_b32 v5, v17 :: v_dual_mov_b32 v6, v18
	;; [unrolled: 1-line block ×5, first 2 shown]
	v_mov_b32_e32 v38, v37
.LBB211_107:
	s_or_b32 exec_lo, exec_lo, s2
	v_mov_b32_e32 v56, v122
	v_mov_b32_e32 v68, v121
	v_mov_b32_e32 v25, v49
	v_dual_mov_b32 v27, v51 :: v_dual_mov_b32 v84, v72
	v_mov_b32_e32 v81, v69
	v_dual_mov_b32 v83, v71 :: v_dual_mov_b32 v96, v60
	v_dual_mov_b32 v91, v55 :: v_dual_mov_b32 v120, v72
	;; [unrolled: 1-line block ×31, first 2 shown]
	v_mov_b32_e32 v24, v60
	s_mov_b32 s2, exec_lo
	v_dual_mov_b32 v118, v70 :: v_dual_mov_b32 v115, v67
	v_dual_mov_b32 v116, v68 :: v_dual_mov_b32 v113, v65
	;; [unrolled: 1-line block ×3, first 2 shown]
	v_cmpx_lt_f32_e32 v38, v3
	s_cbranch_execz .LBB211_109
; %bb.108:
	v_dual_mov_b32 v13, v49 :: v_dual_mov_b32 v14, v50
	v_dual_mov_b32 v23, v59 :: v_dual_mov_b32 v24, v60
	;; [unrolled: 1-line block ×30, first 2 shown]
	v_mov_b32_e32 v112, v64
	v_dual_mov_b32 v34, v94 :: v_dual_mov_b32 v35, v95
	v_dual_mov_b32 v35, v59 :: v_dual_mov_b32 v34, v58
	;; [unrolled: 1-line block ×15, first 2 shown]
	v_mov_b32_e32 v81, v69
	v_dual_mov_b32 v80, v121 :: v_dual_mov_b32 v83, v71
	v_mov_b32_e32 v82, v70
	v_dual_mov_b32 v84, v72 :: v_dual_mov_b32 v37, v38
	v_mov_b32_e32 v63, v62
	v_mov_b32_e32 v51, v50
.LBB211_109:
	s_or_b32 exec_lo, exec_lo, s2
	v_mov_b32_e32 v38, v4
	s_mov_b32 s2, exec_lo
	v_cmpx_lt_f32_e32 v37, v4
	s_cbranch_execz .LBB211_111
; %bb.110:
	v_mov_b32_e32 v15, v52
	v_mov_b32_e32 v96, v24
	;; [unrolled: 1-line block ×3, first 2 shown]
	v_dual_mov_b32 v88, v51 :: v_dual_mov_b32 v99, v64
	v_dual_mov_b32 v94, v22 :: v_dual_mov_b32 v85, v13
	;; [unrolled: 1-line block ×3, first 2 shown]
	v_mov_b32_e32 v95, v23
	v_dual_mov_b32 v93, v21 :: v_dual_mov_b32 v92, v20
	v_dual_mov_b32 v91, v19 :: v_dual_mov_b32 v90, v18
	;; [unrolled: 1-line block ×7, first 2 shown]
	v_mov_b32_e32 v87, v15
	v_dual_mov_b32 v111, v99 :: v_dual_mov_b32 v110, v98
	v_dual_mov_b32 v112, v63 :: v_dual_mov_b32 v25, v85
	;; [unrolled: 1-line block ×3, first 2 shown]
	s_delay_alu instid0(VALU_DEP_3)
	v_dual_mov_b32 v74, v110 :: v_dual_mov_b32 v29, v89
	v_dual_mov_b32 v30, v90 :: v_dual_mov_b32 v31, v91
	;; [unrolled: 1-line block ×8, first 2 shown]
	v_mov_b32_e32 v84, v120
	v_dual_mov_b32 v3, v4 :: v_dual_mov_b32 v4, v37
	v_dual_mov_b32 v27, v87 :: v_dual_mov_b32 v28, v88
	;; [unrolled: 1-line block ×11, first 2 shown]
	v_mov_b32_e32 v38, v37
	v_mov_b32_e32 v64, v63
	;; [unrolled: 1-line block ×3, first 2 shown]
.LBB211_111:
	s_or_b32 exec_lo, exec_lo, s2
	v_mov_b32_e32 v16, v5
	s_mov_b32 s2, exec_lo
	v_cmpx_lt_f32_e32 v38, v5
	s_cbranch_execz .LBB211_113
; %bb.112:
	v_mov_b32_e32 v100, v65
	v_mov_b32_e32 v16, v53
	v_dual_mov_b32 v4, v5 :: v_dual_mov_b32 v5, v38
	v_dual_mov_b32 v36, v24 :: v_dual_mov_b32 v33, v21
	;; [unrolled: 1-line block ×3, first 2 shown]
	v_mov_b32_e32 v31, v19
	v_dual_mov_b32 v35, v59 :: v_dual_mov_b32 v34, v58
	v_dual_mov_b32 v73, v97 :: v_dual_mov_b32 v32, v20
	;; [unrolled: 1-line block ×8, first 2 shown]
	v_mov_b32_e32 v77, v64
	v_dual_mov_b32 v84, v108 :: v_dual_mov_b32 v79, v67
	v_dual_mov_b32 v120, v108 :: v_dual_mov_b32 v115, v103
	;; [unrolled: 1-line block ×19, first 2 shown]
	v_mov_b32_e32 v88, v16
	v_dual_mov_b32 v86, v14 :: v_dual_mov_b32 v65, v64
	v_dual_mov_b32 v16, v38 :: v_dual_mov_b32 v53, v52
	;; [unrolled: 1-line block ×3, first 2 shown]
.LBB211_113:
	s_or_b32 exec_lo, exec_lo, s2
	v_mov_b32_e32 v13, v6
	s_mov_b32 s2, exec_lo
	v_cmpx_lt_f32_e32 v16, v6
	s_cbranch_execz .LBB211_115
; %bb.114:
	v_dual_mov_b32 v89, v54 :: v_dual_mov_b32 v90, v53
	v_dual_mov_b32 v91, v55 :: v_dual_mov_b32 v92, v122
	;; [unrolled: 1-line block ×21, first 2 shown]
	v_mov_b32_e32 v13, v16
.LBB211_115:
	s_or_b32 exec_lo, exec_lo, s2
	s_delay_alu instid0(VALU_DEP_1)
	v_cmp_lt_f32_e32 vcc_lo, v13, v7
	v_dual_mov_b32 v14, v2 :: v_dual_mov_b32 v17, v5
	v_dual_mov_b32 v16, v4 :: v_dual_mov_b32 v21, v9
	v_dual_cndmask_b32 v37, v79, v78 :: v_dual_cndmask_b32 v78, v78, v79
	v_cndmask_b32_e32 v38, v31, v30, vcc_lo
	v_dual_cndmask_b32 v30, v30, v31 :: v_dual_cndmask_b32 v19, v7, v13
	v_dual_cndmask_b32 v18, v6, v7 :: v_dual_mov_b32 v15, v3
	v_dual_mov_b32 v13, v1 :: v_dual_mov_b32 v20, v8
	v_dual_mov_b32 v23, v11 :: v_dual_mov_b32 v22, v10
	v_mov_b32_e32 v24, v12
	s_mov_b32 s2, exec_lo
	v_cmpx_lt_f32_e32 v1, v2
	s_cbranch_execz .LBB211_117
; %bb.116:
	v_dual_mov_b32 v2, v14 :: v_dual_mov_b32 v3, v13
	v_dual_mov_b32 v12, v23 :: v_dual_mov_b32 v13, v24
	;; [unrolled: 1-line block ×6, first 2 shown]
	v_mov_b32_e32 v24, v13
	v_mov_b32_e32 v31, v73
	v_dual_mov_b32 v39, v25 :: v_dual_mov_b32 v18, v7
	v_swap_b32 v73, v74
	v_swap_b32 v25, v26
	v_dual_mov_b32 v23, v12 :: v_dual_mov_b32 v20, v9
	v_dual_mov_b32 v22, v11 :: v_dual_mov_b32 v21, v10
	;; [unrolled: 1-line block ×4, first 2 shown]
	v_mov_b32_e32 v15, v4
	v_dual_mov_b32 v13, v2 :: v_dual_mov_b32 v2, v1
.LBB211_117:
	s_or_b32 exec_lo, exec_lo, s2
	v_mov_b32_e32 v31, v38
	v_dual_mov_b32 v79, v37 :: v_dual_mov_b32 v50, v36
	v_dual_mov_b32 v51, v73 :: v_dual_mov_b32 v52, v74
	;; [unrolled: 1-line block ×24, first 2 shown]
	v_mov_b32_e32 v85, v25
	v_mov_b32_e32 v1, v15
	s_mov_b32 s2, exec_lo
	v_cmpx_lt_f32_e32 v2, v15
	s_cbranch_execz .LBB211_119
; %bb.118:
	v_dual_mov_b32 v96, v36 :: v_dual_mov_b32 v95, v35
	v_dual_mov_b32 v86, v26 :: v_dual_mov_b32 v85, v25
	;; [unrolled: 1-line block ×8, first 2 shown]
	v_mov_b32_e32 v105, v81
	v_dual_mov_b32 v43, v89 :: v_dual_mov_b32 v44, v90
	v_dual_mov_b32 v100, v76 :: v_dual_mov_b32 v97, v73
	;; [unrolled: 1-line block ×6, first 2 shown]
	v_mov_b32_e32 v98, v74
	v_dual_mov_b32 v98, v75 :: v_dual_mov_b32 v99, v74
	v_dual_mov_b32 v49, v95 :: v_dual_mov_b32 v50, v96
	v_dual_mov_b32 v50, v36 :: v_dual_mov_b32 v51, v97
	v_dual_mov_b32 v41, v87 :: v_dual_mov_b32 v42, v88
	v_dual_mov_b32 v45, v91 :: v_dual_mov_b32 v46, v92
	v_dual_mov_b32 v47, v93 :: v_dual_mov_b32 v48, v94
	v_dual_mov_b32 v54, v100 :: v_dual_mov_b32 v55, v101
	v_dual_mov_b32 v56, v102 :: v_dual_mov_b32 v57, v103
	v_dual_mov_b32 v58, v104 :: v_dual_mov_b32 v59, v105
	v_dual_mov_b32 v60, v106 :: v_dual_mov_b32 v61, v107
	v_dual_mov_b32 v62, v108 :: v_dual_mov_b32 v55, v77
	v_dual_mov_b32 v14, v15 :: v_dual_mov_b32 v15, v2
	v_mov_b32_e32 v40, v86
	v_dual_mov_b32 v42, v28 :: v_dual_mov_b32 v43, v29
	v_dual_mov_b32 v45, v38 :: v_dual_mov_b32 v46, v32
	;; [unrolled: 1-line block ×9, first 2 shown]
	v_mov_b32_e32 v75, v74
	v_mov_b32_e32 v27, v26
.LBB211_119:
	s_or_b32 exec_lo, exec_lo, s2
	v_mov_b32_e32 v2, v16
	s_mov_b32 s2, exec_lo
	v_cmpx_lt_f32_e32 v1, v16
	s_cbranch_execz .LBB211_121
; %bb.120:
	v_mov_b32_e32 v87, v28
	v_mov_b32_e32 v99, v76
	v_dual_mov_b32 v15, v16 :: v_dual_mov_b32 v16, v1
	v_dual_mov_b32 v39, v85 :: v_dual_mov_b32 v42, v88
	;; [unrolled: 1-line block ×13, first 2 shown]
	v_mov_b32_e32 v56, v78
	v_mov_b32_e32 v40, v86
	v_dual_mov_b32 v42, v27 :: v_dual_mov_b32 v43, v29
	v_dual_mov_b32 v45, v38 :: v_dual_mov_b32 v46, v32
	;; [unrolled: 1-line block ×8, first 2 shown]
	v_mov_b32_e32 v2, v1
	v_mov_b32_e32 v76, v75
	;; [unrolled: 1-line block ×3, first 2 shown]
.LBB211_121:
	s_or_b32 exec_lo, exec_lo, s2
	v_mov_b32_e32 v1, v17
	s_mov_b32 s2, exec_lo
	v_cmpx_lt_f32_e32 v2, v17
	s_cbranch_execz .LBB211_123
; %bb.122:
	v_dual_mov_b32 v106, v82 :: v_dual_mov_b32 v107, v83
	v_dual_mov_b32 v88, v29 :: v_dual_mov_b32 v89, v28
	;; [unrolled: 1-line block ×8, first 2 shown]
	v_mov_b32_e32 v108, v84
	v_dual_mov_b32 v16, v17 :: v_dual_mov_b32 v17, v2
	v_dual_mov_b32 v96, v36 :: v_dual_mov_b32 v51, v97
	;; [unrolled: 1-line block ×14, first 2 shown]
.LBB211_123:
	s_or_b32 exec_lo, exec_lo, s2
	s_delay_alu instid0(VALU_DEP_1)
	v_cmp_lt_f32_e32 vcc_lo, v1, v18
	v_dual_mov_b32 v27, v13 :: v_dual_mov_b32 v34, v20
	v_dual_mov_b32 v29, v15 :: v_dual_mov_b32 v36, v22
	v_dual_cndmask_b32 v63, v56, v55 :: v_dual_cndmask_b32 v32, v18, v1
	v_dual_cndmask_b32 v55, v55, v56 :: v_dual_cndmask_b32 v64, v44, v43
	v_dual_cndmask_b32 v43, v43, v44 :: v_dual_mov_b32 v28, v14
	v_dual_cndmask_b32 v31, v17, v18 :: v_dual_mov_b32 v30, v16
	v_dual_mov_b32 v33, v19 :: v_dual_mov_b32 v38, v24
	v_mov_b32_e32 v35, v21
	v_mov_b32_e32 v37, v23
	s_mov_b32 s2, exec_lo
	v_cmpx_lt_f32_e32 v13, v14
	s_cbranch_execz .LBB211_125
; %bb.124:
	s_delay_alu instid0(VALU_DEP_2)
	v_dual_mov_b32 v11, v37 :: v_dual_mov_b32 v12, v38
	v_dual_mov_b32 v1, v28 :: v_dual_mov_b32 v2, v27
	;; [unrolled: 1-line block ×7, first 2 shown]
	s_delay_alu instid0(VALU_DEP_2)
	v_dual_mov_b32 v16, v39 :: v_dual_mov_b32 v35, v9
	v_swap_b32 v51, v52
	v_swap_b32 v39, v40
	v_dual_mov_b32 v37, v11 :: v_dual_mov_b32 v36, v10
	v_dual_mov_b32 v34, v8 :: v_dual_mov_b32 v33, v7
	;; [unrolled: 1-line block ×5, first 2 shown]
	v_mov_b32_e32 v14, v13
.LBB211_125:
	s_or_b32 exec_lo, exec_lo, s2
	v_mov_b32_e32 v44, v64
	v_mov_b32_e32 v56, v63
	v_mov_b32_e32 v1, v39
	v_mov_b32_e32 v3, v41
	v_dual_mov_b32 v15, v51 :: v_dual_mov_b32 v2, v40
	v_dual_mov_b32 v16, v52 :: v_dual_mov_b32 v17, v53
	;; [unrolled: 1-line block ×11, first 2 shown]
	v_mov_b32_e32 v12, v50
	s_mov_b32 s2, exec_lo
	v_cmpx_lt_f32_e32 v14, v29
	s_cbranch_execz .LBB211_127
; %bb.126:
	v_dual_mov_b32 v1, v39 :: v_dual_mov_b32 v2, v40
	v_dual_mov_b32 v11, v49 :: v_dual_mov_b32 v12, v50
	;; [unrolled: 1-line block ×25, first 2 shown]
	v_mov_b32_e32 v41, v40
.LBB211_127:
	s_or_b32 exec_lo, exec_lo, s2
	v_mov_b32_e32 v39, v30
	s_mov_b32 s2, exec_lo
	v_cmpx_lt_f32_e32 v13, v30
	s_cbranch_execz .LBB211_129
; %bb.128:
	v_dual_mov_b32 v29, v30 :: v_dual_mov_b32 v30, v13
	v_dual_mov_b32 v3, v42 :: v_dual_mov_b32 v4, v41
	;; [unrolled: 1-line block ×11, first 2 shown]
	v_mov_b32_e32 v39, v13
.LBB211_129:
	s_or_b32 exec_lo, exec_lo, s2
	s_delay_alu instid0(VALU_DEP_1)
	v_cmp_lt_f32_e32 vcc_lo, v39, v31
	v_dual_mov_b32 v40, v28 :: v_dual_mov_b32 v45, v33
	v_dual_mov_b32 v44, v32 :: v_dual_mov_b32 v47, v35
	v_dual_cndmask_b32 v13, v19, v18 :: v_dual_cndmask_b32 v18, v18, v19
	v_dual_cndmask_b32 v14, v5, v4 :: v_dual_cndmask_b32 v43, v31, v39
	v_dual_cndmask_b32 v4, v4, v5 :: v_dual_mov_b32 v39, v27
	v_dual_cndmask_b32 v42, v30, v31 :: v_dual_mov_b32 v41, v29
	v_dual_mov_b32 v46, v34 :: v_dual_mov_b32 v49, v37
	v_mov_b32_e32 v48, v36
	v_mov_b32_e32 v50, v38
	s_mov_b32 s2, exec_lo
	v_cmpx_lt_f32_e32 v27, v28
	s_cbranch_execz .LBB211_131
; %bb.130:
	v_dual_mov_b32 v28, v40 :: v_dual_mov_b32 v29, v39
	v_dual_mov_b32 v38, v49 :: v_dual_mov_b32 v39, v50
	;; [unrolled: 1-line block ×7, first 2 shown]
	v_mov_b32_e32 v5, v15
	v_swap_b32 v15, v16
	s_delay_alu instid0(VALU_DEP_4)
	v_mov_b32_e32 v48, v37
	v_swap_b32 v1, v2
	v_dual_mov_b32 v49, v38 :: v_dual_mov_b32 v46, v35
	v_dual_mov_b32 v47, v36 :: v_dual_mov_b32 v44, v33
	;; [unrolled: 1-line block ×4, first 2 shown]
	v_mov_b32_e32 v41, v30
	v_dual_mov_b32 v39, v28 :: v_dual_mov_b32 v28, v27
.LBB211_131:
	s_or_b32 exec_lo, exec_lo, s2
	v_mov_b32_e32 v5, v14
	v_mov_b32_e32 v19, v13
	;; [unrolled: 1-line block ×3, first 2 shown]
	s_mov_b32 s2, exec_lo
	v_cmpx_lt_f32_e32 v28, v41
	s_cbranch_execz .LBB211_133
; %bb.132:
	v_dual_mov_b32 v74, v26 :: v_dual_mov_b32 v73, v25
	v_dual_mov_b32 v62, v12 :: v_dual_mov_b32 v61, v11
	;; [unrolled: 1-line block ×22, first 2 shown]
	v_mov_b32_e32 v74, v26
	v_dual_mov_b32 v40, v41 :: v_dual_mov_b32 v41, v28
	v_dual_mov_b32 v62, v12 :: v_dual_mov_b32 v15, v63
	;; [unrolled: 1-line block ×14, first 2 shown]
.LBB211_133:
	s_or_b32 exec_lo, exec_lo, s2
	s_delay_alu instid0(VALU_DEP_1)
	v_cmp_lt_f32_e32 vcc_lo, v27, v42
	v_dual_mov_b32 v29, v24 :: v_dual_mov_b32 v32, v5
	v_dual_mov_b32 v31, v26 :: v_dual_mov_b32 v34, v7
	v_dual_cndmask_b32 v13, v18, v17 :: v_dual_cndmask_b32 v14, v4, v3
	v_cndmask_b32_e32 v51, v17, v18, vcc_lo
	v_dual_cndmask_b32 v59, v3, v4 :: v_dual_cndmask_b32 v60, v41, v42
	v_dual_cndmask_b32 v3, v42, v27 :: v_dual_mov_b32 v18, v21
	v_cmp_lt_f32_e32 vcc_lo, v39, v40
	v_dual_mov_b32 v4, v19 :: v_dual_mov_b32 v17, v20
	v_dual_mov_b32 v28, v23 :: v_dual_mov_b32 v27, v22
	;; [unrolled: 1-line block ×7, first 2 shown]
	v_mov_b32_e32 v58, v50
	v_dual_mov_b32 v52, v44 :: v_dual_mov_b32 v53, v45
	v_dual_mov_b32 v55, v47 :: v_dual_mov_b32 v56, v48
	v_mov_b32_e32 v57, v49
	s_and_saveexec_b32 s2, vcc_lo
	s_cbranch_execz .LBB211_135
; %bb.134:
	v_dual_mov_b32 v42, v40 :: v_dual_mov_b32 v27, v22
	v_dual_mov_b32 v4, v15 :: v_dual_mov_b32 v17, v20
	;; [unrolled: 1-line block ×3, first 2 shown]
	v_swap_b32 v15, v16
	v_swap_b32 v1, v2
	v_dual_mov_b32 v40, v39 :: v_dual_mov_b32 v29, v24
	v_dual_mov_b32 v4, v19 :: v_dual_mov_b32 v31, v26
	;; [unrolled: 1-line block ×10, first 2 shown]
	v_mov_b32_e32 v52, v44
	v_mov_b32_e32 v54, v46
	v_mov_b32_e32 v56, v48
	v_mov_b32_e32 v58, v50
.LBB211_135:
	s_or_b32 exec_lo, exec_lo, s2
	s_clause 0x1
	s_load_b32 s8, s[0:1], 0x28
	s_load_b128 s[4:7], s[0:1], 0x10
	v_mov_b32_e32 v6, 0
	s_waitcnt lgkmcnt(0)
	s_cmp_lt_i32 s8, 1
	s_cbranch_scc1 .LBB211_141
; %bb.136:
	v_cmp_lt_f32_e32 vcc_lo, v40, v60
	v_mov_b32_e32 v7, 0
	s_mov_b32 s9, 0x76543210
	s_mov_b32 s10, s8
	v_mov_b32_e32 v6, 0
	v_cndmask_b32_e32 v8, v60, v40, vcc_lo
	v_cndmask_b32_e32 v19, v61, v60, vcc_lo
	v_dual_cndmask_b32 v5, v59, v2 :: v_dual_cndmask_b32 v2, v2, v59
	v_dual_cndmask_b32 v9, v51, v16 :: v_dual_cndmask_b32 v20, v16, v51
	s_delay_alu instid0(VALU_DEP_3) | instskip(NEXT) | instid1(VALU_DEP_1)
	v_cmp_lt_f32_e64 s2, v39, v19
	v_cndmask_b32_e64 v10, v2, v1, s2
	v_cndmask_b32_e64 v11, v1, v2, s2
	;; [unrolled: 1-line block ×6, first 2 shown]
	v_dual_mov_b32 v20, v0 :: v_dual_mov_b32 v1, 0
	v_mov_b32_e32 v2, 0
.LBB211_137:                            ; =>This Inner Loop Header: Depth=1
	v_cmp_eq_u32_e32 vcc_lo, 1, v7
	v_cmp_eq_u32_e64 s2, 2, v7
	v_dual_cndmask_b32 v21, v16, v12 :: v_dual_cndmask_b32 v22, v11, v10
	s_delay_alu instid0(VALU_DEP_1) | instskip(NEXT) | instid1(VALU_DEP_2)
	v_cndmask_b32_e64 v21, v21, v8, s2
	v_cndmask_b32_e64 v22, v22, v5, s2
	v_cndmask_b32_e32 v23, v15, v19, vcc_lo
	v_cmp_eq_u32_e32 vcc_lo, 3, v7
	s_delay_alu instid0(VALU_DEP_3) | instskip(NEXT) | instid1(VALU_DEP_3)
	v_cndmask_b32_e32 v22, v22, v14, vcc_lo
	v_cndmask_b32_e64 v23, v23, v9, s2
	v_cmp_eq_u32_e64 s2, 4, v7
	s_delay_alu instid0(VALU_DEP_2) | instskip(NEXT) | instid1(VALU_DEP_2)
	v_cndmask_b32_e32 v23, v23, v13, vcc_lo
	v_cndmask_b32_e64 v22, v22, v32, s2
	v_cndmask_b32_e32 v21, v21, v3, vcc_lo
	v_cmp_eq_u32_e32 vcc_lo, 5, v7
	s_delay_alu instid0(VALU_DEP_4) | instskip(NEXT) | instid1(VALU_DEP_4)
	v_cndmask_b32_e64 v23, v23, v4, s2
	v_cndmask_b32_e32 v22, v22, v33, vcc_lo
	s_delay_alu instid0(VALU_DEP_4) | instskip(SKIP_1) | instid1(VALU_DEP_4)
	v_cndmask_b32_e64 v21, v21, v42, s2
	v_cmp_eq_u32_e64 s2, 6, v7
	v_cndmask_b32_e32 v23, v23, v17, vcc_lo
	s_delay_alu instid0(VALU_DEP_3) | instskip(SKIP_1) | instid1(VALU_DEP_4)
	v_cndmask_b32_e32 v21, v21, v52, vcc_lo
	v_cmp_eq_u32_e32 vcc_lo, 7, v7
	v_cndmask_b32_e64 v22, v22, v34, s2
	s_delay_alu instid0(VALU_DEP_4) | instskip(NEXT) | instid1(VALU_DEP_4)
	v_cndmask_b32_e64 v23, v23, v18, s2
	v_cndmask_b32_e64 v21, v21, v53, s2
	v_cmp_eq_u32_e64 s2, 8, v7
	s_delay_alu instid0(VALU_DEP_4) | instskip(NEXT) | instid1(VALU_DEP_4)
	v_cndmask_b32_e32 v22, v22, v35, vcc_lo
	v_cndmask_b32_e32 v23, v23, v27, vcc_lo
	s_delay_alu instid0(VALU_DEP_4) | instskip(SKIP_1) | instid1(VALU_DEP_4)
	v_cndmask_b32_e32 v21, v21, v54, vcc_lo
	v_cmp_eq_u32_e32 vcc_lo, 9, v7
	v_cndmask_b32_e64 v22, v22, v36, s2
	s_delay_alu instid0(VALU_DEP_4) | instskip(NEXT) | instid1(VALU_DEP_4)
	v_cndmask_b32_e64 v23, v23, v28, s2
	v_cndmask_b32_e64 v21, v21, v55, s2
	v_cmp_eq_u32_e64 s2, 10, v7
	s_delay_alu instid0(VALU_DEP_4) | instskip(NEXT) | instid1(VALU_DEP_4)
	v_cndmask_b32_e32 v22, v22, v37, vcc_lo
	v_cndmask_b32_e32 v23, v23, v29, vcc_lo
	s_delay_alu instid0(VALU_DEP_4) | instskip(SKIP_1) | instid1(VALU_DEP_4)
	v_cndmask_b32_e32 v21, v21, v56, vcc_lo
	v_cmp_eq_u32_e32 vcc_lo, 11, v7
	v_cndmask_b32_e64 v22, v22, v38, s2
	s_delay_alu instid0(VALU_DEP_4) | instskip(NEXT) | instid1(VALU_DEP_4)
	v_cndmask_b32_e64 v23, v23, v30, s2
	v_cndmask_b32_e64 v21, v21, v57, s2
	v_cmp_gt_u32_e64 s2, 12, v7
	s_delay_alu instid0(VALU_DEP_2) | instskip(NEXT) | instid1(VALU_DEP_1)
	v_dual_cndmask_b32 v22, v22, v41 :: v_dual_cndmask_b32 v21, v21, v58
	v_cndmask_b32_e64 v24, 0, v22, s2
	s_delay_alu instid0(VALU_DEP_2)
	v_cndmask_b32_e64 v21, 0xff800000, v21, s2
	;;#ASMSTART
	v_max_f32 v25, v21, v21 quad_perm:[1,0,3,2] row_mask:0xf bank_mask:0xf bound_ctrl:1
	;;#ASMEND
	;;#ASMSTART
	v_max_f32 v26, v25, v25 quad_perm:[2,3,0,1] row_mask:0xf bank_mask:0xf bound_ctrl:1
	;;#ASMEND
	;;#ASMSTART
	v_max_f32 v25, v26, v26 row_half_mirror row_mask:0xf bank_mask:0xf bound_ctrl:1
	;;#ASMEND
	;;#ASMSTART
	v_max_f32 v26, v25, v25 row_mirror row_mask:0xf bank_mask:0xf bound_ctrl:1
	;;#ASMEND
	v_permlanex16_b32 v25, v26, s9, 0xfedcba98 op_sel:[1,1]
	s_delay_alu instid0(VALU_DEP_1) | instskip(NEXT) | instid1(VALU_DEP_1)
	v_dual_max_f32 v26, v26, v26 :: v_dual_max_f32 v25, v25, v25
	v_max_f32_e32 v25, v26, v25
	s_delay_alu instid0(VALU_DEP_1) | instskip(SKIP_1) | instid1(VALU_DEP_2)
	v_cmp_eq_f32_e64 s3, v21, v25
	v_cndmask_b32_e32 v21, v23, v31, vcc_lo
	s_ctz_i32_b32 s11, s3
	s_cmp_lg_u32 s3, 0
	s_cselect_b32 s3, s11, 0
	s_add_i32 s10, s10, -1
	v_readlane_b32 s3, v24, s3
	s_delay_alu instid0(VALU_DEP_1)
	v_cmp_eq_u32_e32 vcc_lo, s3, v22
	s_and_b32 vcc_lo, s2, vcc_lo
	s_and_b32 s2, s3, 31
	v_cndmask_b32_e32 v21, 0, v21, vcc_lo
	v_add_co_ci_u32_e32 v7, vcc_lo, 0, v7, vcc_lo
	s_cmp_eq_u32 s10, 0
	s_delay_alu instid0(VALU_DEP_2) | instskip(SKIP_2) | instid1(VALU_DEP_3)
	v_readlane_b32 s11, v21, s2
	v_cmp_eq_u32_e64 s2, 0, v20
	v_add_nc_u32_e32 v20, -1, v20
	v_add_f32_e32 v6, s11, v6
	s_delay_alu instid0(VALU_DEP_3)
	v_cndmask_b32_e64 v2, v2, s11, s2
	v_cndmask_b32_e64 v1, v1, s3, s2
	s_cbranch_scc0 .LBB211_137
; %bb.138:
	s_mov_b32 s2, exec_lo
	v_cmpx_gt_i32_e64 s8, v0
	s_cbranch_execz .LBB211_140
.LBB211_139:
	s_load_b32 s2, s[0:1], 0x30
	v_max_f32_e32 v0, v6, v6
	s_load_b64 s[0:1], s[0:1], 0x20
	s_ashr_i32 s3, s15, 31
	s_delay_alu instid0(VALU_DEP_1) | instskip(SKIP_1) | instid1(VALU_DEP_1)
	v_max_f32_e32 v0, 0x1e3ce508, v0
	s_waitcnt lgkmcnt(0)
	v_div_scale_f32 v3, null, v0, v0, s2
	v_div_scale_f32 v6, vcc_lo, s2, v0, s2
	s_mul_i32 s1, s15, s1
	s_delay_alu instid0(VALU_DEP_2)
	v_rcp_f32_e32 v4, v3
	s_mul_hi_u32 s8, s15, s0
	s_mul_i32 s3, s3, s0
	s_add_i32 s1, s8, s1
	s_mul_i32 s0, s15, s0
	s_add_i32 s1, s1, s3
	s_delay_alu instid0(SALU_CYCLE_1) | instskip(SKIP_2) | instid1(VALU_DEP_1)
	s_lshl_b64 s[0:1], s[0:1], 2
	s_waitcnt_depctr 0xfff
	v_fma_f32 v5, -v3, v4, 1.0
	v_fmac_f32_e32 v4, v5, v4
	s_delay_alu instid0(VALU_DEP_1) | instskip(NEXT) | instid1(VALU_DEP_1)
	v_mul_f32_e32 v5, v6, v4
	v_fma_f32 v7, -v3, v5, v6
	s_delay_alu instid0(VALU_DEP_1) | instskip(NEXT) | instid1(VALU_DEP_1)
	v_fmac_f32_e32 v5, v7, v4
	v_fma_f32 v3, -v3, v5, v6
	s_delay_alu instid0(VALU_DEP_1) | instskip(NEXT) | instid1(VALU_DEP_1)
	v_div_fmas_f32 v3, v3, v4, v5
	v_div_fixup_f32 v0, v3, v0, s2
	s_add_u32 s2, s4, s0
	s_addc_u32 s3, s5, s1
	s_add_u32 s0, s6, s0
	s_addc_u32 s1, s7, s1
	v_mul_f32_e32 v0, v2, v0
	s_clause 0x1
	global_store_b32 v183, v0, s[2:3]
	global_store_b32 v183, v1, s[0:1]
.LBB211_140:
	s_endpgm
.LBB211_141:
	v_dual_mov_b32 v1, 0 :: v_dual_mov_b32 v2, 0
	s_mov_b32 s2, exec_lo
	v_cmpx_gt_i32_e64 s8, v0
	s_cbranch_execnz .LBB211_139
	s_branch .LBB211_140
	.section	.rodata,"a",@progbits
	.p2align	6, 0x0
	.amdhsa_kernel _ZN5aiter24topk_softplus_kernel_optI12hip_bfloat16fLi384ELb1ELi1EEEvPKT_PKT0_PfPimiif
		.amdhsa_group_segment_fixed_size 0
		.amdhsa_private_segment_fixed_size 196
		.amdhsa_kernarg_size 52
		.amdhsa_user_sgpr_count 15
		.amdhsa_user_sgpr_dispatch_ptr 0
		.amdhsa_user_sgpr_queue_ptr 0
		.amdhsa_user_sgpr_kernarg_segment_ptr 1
		.amdhsa_user_sgpr_dispatch_id 0
		.amdhsa_user_sgpr_private_segment_size 0
		.amdhsa_wavefront_size32 1
		.amdhsa_uses_dynamic_stack 0
		.amdhsa_enable_private_segment 1
		.amdhsa_system_sgpr_workgroup_id_x 1
		.amdhsa_system_sgpr_workgroup_id_y 0
		.amdhsa_system_sgpr_workgroup_id_z 0
		.amdhsa_system_sgpr_workgroup_info 0
		.amdhsa_system_vgpr_workitem_id 0
		.amdhsa_next_free_vgpr 184
		.amdhsa_next_free_sgpr 16
		.amdhsa_reserve_vcc 1
		.amdhsa_float_round_mode_32 0
		.amdhsa_float_round_mode_16_64 0
		.amdhsa_float_denorm_mode_32 3
		.amdhsa_float_denorm_mode_16_64 3
		.amdhsa_dx10_clamp 1
		.amdhsa_ieee_mode 1
		.amdhsa_fp16_overflow 0
		.amdhsa_workgroup_processor_mode 1
		.amdhsa_memory_ordered 1
		.amdhsa_forward_progress 0
		.amdhsa_shared_vgpr_count 0
		.amdhsa_exception_fp_ieee_invalid_op 0
		.amdhsa_exception_fp_denorm_src 0
		.amdhsa_exception_fp_ieee_div_zero 0
		.amdhsa_exception_fp_ieee_overflow 0
		.amdhsa_exception_fp_ieee_underflow 0
		.amdhsa_exception_fp_ieee_inexact 0
		.amdhsa_exception_int_div_zero 0
	.end_amdhsa_kernel
	.section	.text._ZN5aiter24topk_softplus_kernel_optI12hip_bfloat16fLi384ELb1ELi1EEEvPKT_PKT0_PfPimiif,"axG",@progbits,_ZN5aiter24topk_softplus_kernel_optI12hip_bfloat16fLi384ELb1ELi1EEEvPKT_PKT0_PfPimiif,comdat
.Lfunc_end211:
	.size	_ZN5aiter24topk_softplus_kernel_optI12hip_bfloat16fLi384ELb1ELi1EEEvPKT_PKT0_PfPimiif, .Lfunc_end211-_ZN5aiter24topk_softplus_kernel_optI12hip_bfloat16fLi384ELb1ELi1EEEvPKT_PKT0_PfPimiif
                                        ; -- End function
	.section	.AMDGPU.csdata,"",@progbits
; Kernel info:
; codeLenInByte = 27996
; NumSgprs: 18
; NumVgprs: 184
; ScratchSize: 196
; MemoryBound: 0
; FloatMode: 240
; IeeeMode: 1
; LDSByteSize: 0 bytes/workgroup (compile time only)
; SGPRBlocks: 2
; VGPRBlocks: 22
; NumSGPRsForWavesPerEU: 18
; NumVGPRsForWavesPerEU: 184
; Occupancy: 8
; WaveLimiterHint : 0
; COMPUTE_PGM_RSRC2:SCRATCH_EN: 1
; COMPUTE_PGM_RSRC2:USER_SGPR: 15
; COMPUTE_PGM_RSRC2:TRAP_HANDLER: 0
; COMPUTE_PGM_RSRC2:TGID_X_EN: 1
; COMPUTE_PGM_RSRC2:TGID_Y_EN: 0
; COMPUTE_PGM_RSRC2:TGID_Z_EN: 0
; COMPUTE_PGM_RSRC2:TIDIG_COMP_CNT: 0
	.section	.text._ZN5aiter24topk_softplus_kernel_optI12hip_bfloat16fLi384ELb0ELi1EEEvPKT_PKT0_PfPimiif,"axG",@progbits,_ZN5aiter24topk_softplus_kernel_optI12hip_bfloat16fLi384ELb0ELi1EEEvPKT_PKT0_PfPimiif,comdat
	.protected	_ZN5aiter24topk_softplus_kernel_optI12hip_bfloat16fLi384ELb0ELi1EEEvPKT_PKT0_PfPimiif ; -- Begin function _ZN5aiter24topk_softplus_kernel_optI12hip_bfloat16fLi384ELb0ELi1EEEvPKT_PKT0_PfPimiif
	.globl	_ZN5aiter24topk_softplus_kernel_optI12hip_bfloat16fLi384ELb0ELi1EEEvPKT_PKT0_PfPimiif
	.p2align	8
	.type	_ZN5aiter24topk_softplus_kernel_optI12hip_bfloat16fLi384ELb0ELi1EEEvPKT_PKT0_PfPimiif,@function
_ZN5aiter24topk_softplus_kernel_optI12hip_bfloat16fLi384ELb0ELi1EEEvPKT_PKT0_PfPimiif: ; @_ZN5aiter24topk_softplus_kernel_optI12hip_bfloat16fLi384ELb0ELi1EEEvPKT_PKT0_PfPimiif
; %bb.0:
	s_load_b128 s[4:7], s[0:1], 0x0
	s_mul_i32 s2, s15, 0x180
	v_lshlrev_b32_e32 v1, 1, v0
	s_ashr_i32 s3, s2, 31
	v_lshlrev_b32_e32 v183, 2, v0
	s_lshl_b64 s[2:3], s[2:3], 1
	s_waitcnt lgkmcnt(0)
	s_add_u32 s4, s4, s2
	s_addc_u32 s5, s5, s3
	s_cmp_lg_u64 s[6:7], 0
	global_load_u16 v2, v1, s[4:5]
	s_cselect_b32 s2, -1, 0
	s_waitcnt vmcnt(0)
	v_lshlrev_b32_e32 v2, 16, v2
	s_delay_alu instid0(VALU_DEP_1) | instskip(NEXT) | instid1(VALU_DEP_1)
	v_mul_f32_e32 v3, 0xbfb8aa3b, v2
	v_cmp_gt_f32_e32 vcc_lo, 0xc2fc0000, v3
	v_cndmask_b32_e64 v3, 0, 0x42800000, vcc_lo
	s_delay_alu instid0(VALU_DEP_1) | instskip(NEXT) | instid1(VALU_DEP_1)
	v_fmac_f32_e32 v3, 0xbfb8aa3b, v2
	v_exp_f32_e32 v2, v3
	v_cndmask_b32_e64 v3, 1.0, 0x1f800000, vcc_lo
	s_and_b32 vcc_lo, exec_lo, s2
	s_waitcnt_depctr 0xfff
	v_fma_f32 v2, v2, v3, 1.0
	s_delay_alu instid0(VALU_DEP_1) | instskip(SKIP_3) | instid1(VALU_DEP_1)
	v_rcp_f32_e32 v37, v2
	s_waitcnt_depctr 0xfff
	v_mov_b32_e32 v48, v37
	v_add_co_u32 v1, s3, s4, v1
	v_add_co_ci_u32_e64 v2, null, s5, 0, s3
	s_cbranch_vccz .LBB212_2
; %bb.1:
	global_load_b32 v3, v183, s[6:7]
	s_waitcnt vmcnt(0)
	v_add_f32_e32 v48, v37, v3
.LBB212_2:
	global_load_u16 v3, v[1:2], off offset:64
	s_waitcnt vmcnt(0)
	v_lshlrev_b32_e32 v3, 16, v3
	s_delay_alu instid0(VALU_DEP_1) | instskip(NEXT) | instid1(VALU_DEP_1)
	v_mul_f32_e32 v4, 0xbfb8aa3b, v3
	v_cmp_gt_f32_e32 vcc_lo, 0xc2fc0000, v4
	v_cndmask_b32_e64 v4, 0, 0x42800000, vcc_lo
	s_delay_alu instid0(VALU_DEP_1) | instskip(NEXT) | instid1(VALU_DEP_1)
	v_fmac_f32_e32 v4, 0xbfb8aa3b, v3
	v_exp_f32_e32 v3, v4
	v_cndmask_b32_e64 v4, 1.0, 0x1f800000, vcc_lo
	s_and_not1_b32 vcc_lo, exec_lo, s2
	s_waitcnt_depctr 0xfff
	v_fma_f32 v3, v3, v4, 1.0
	s_delay_alu instid0(VALU_DEP_1)
	v_rcp_f32_e32 v14, v3
	v_cndmask_b32_e64 v3, 0, 1, s2
	s_waitcnt_depctr 0xfff
	v_mov_b32_e32 v49, v14
	s_cbranch_vccnz .LBB212_4
; %bb.3:
	global_load_b32 v4, v183, s[6:7] offset:128
	s_waitcnt vmcnt(0)
	v_add_f32_e32 v49, v14, v4
.LBB212_4:
	global_load_u16 v4, v[1:2], off offset:128
	s_waitcnt vmcnt(0)
	v_lshlrev_b32_e32 v4, 16, v4
	s_delay_alu instid0(VALU_DEP_1) | instskip(NEXT) | instid1(VALU_DEP_1)
	v_mul_f32_e32 v5, 0xbfb8aa3b, v4
	v_cmp_gt_f32_e32 vcc_lo, 0xc2fc0000, v5
	v_cndmask_b32_e64 v5, 0, 0x42800000, vcc_lo
	s_delay_alu instid0(VALU_DEP_1) | instskip(NEXT) | instid1(VALU_DEP_1)
	v_fmac_f32_e32 v5, 0xbfb8aa3b, v4
	v_exp_f32_e32 v4, v5
	v_cndmask_b32_e64 v5, 1.0, 0x1f800000, vcc_lo
	v_cmp_ne_u32_e32 vcc_lo, 1, v3
	s_waitcnt_depctr 0xfff
	v_fma_f32 v4, v4, v5, 1.0
	s_delay_alu instid0(VALU_DEP_1)
	v_rcp_f32_e32 v15, v4
	s_waitcnt_depctr 0xfff
	v_mov_b32_e32 v50, v15
	s_cbranch_vccnz .LBB212_6
; %bb.5:
	global_load_b32 v4, v183, s[6:7] offset:256
	s_waitcnt vmcnt(0)
	v_add_f32_e32 v50, v15, v4
.LBB212_6:
	global_load_u16 v4, v[1:2], off offset:192
	s_waitcnt vmcnt(0)
	v_lshlrev_b32_e32 v4, 16, v4
	s_delay_alu instid0(VALU_DEP_1) | instskip(NEXT) | instid1(VALU_DEP_1)
	v_mul_f32_e32 v5, 0xbfb8aa3b, v4
	v_cmp_gt_f32_e32 vcc_lo, 0xc2fc0000, v5
	v_cndmask_b32_e64 v5, 0, 0x42800000, vcc_lo
	s_delay_alu instid0(VALU_DEP_1) | instskip(NEXT) | instid1(VALU_DEP_1)
	v_fmac_f32_e32 v5, 0xbfb8aa3b, v4
	v_exp_f32_e32 v4, v5
	v_cndmask_b32_e64 v5, 1.0, 0x1f800000, vcc_lo
	v_cmp_ne_u32_e32 vcc_lo, 1, v3
	s_waitcnt_depctr 0xfff
	v_fma_f32 v4, v4, v5, 1.0
	s_delay_alu instid0(VALU_DEP_1)
	v_rcp_f32_e32 v16, v4
	;; [unrolled: 24-line block ×10, first 2 shown]
	s_cbranch_vccnz .LBB212_24
; %bb.23:
	global_load_b32 v1, v183, s[6:7] offset:1408
	s_waitcnt vmcnt(0)
	v_add_f32_e32 v59, v24, v1
	s_branch .LBB212_25
.LBB212_24:
	s_waitcnt_depctr 0xfff
	v_mov_b32_e32 v59, v24
.LBB212_25:
	v_dual_mov_b32 v1, v48 :: v_dual_add_nc_u32 v26, 32, v0
	v_dual_mov_b32 v2, v49 :: v_dual_add_nc_u32 v27, 64, v0
	;; [unrolled: 1-line block ×11, first 2 shown]
	v_dual_mov_b32 v12, v59 :: v_dual_mov_b32 v13, v37
	v_mov_b32_e32 v25, v0
	s_mov_b32 s2, exec_lo
	v_cmpx_lt_f32_e32 v48, v49
	s_xor_b32 s2, exec_lo, s2
; %bb.26:
	v_dual_mov_b32 v1, v49 :: v_dual_mov_b32 v2, v48
	v_dual_mov_b32 v3, v50 :: v_dual_mov_b32 v4, v51
	v_dual_mov_b32 v5, v52 :: v_dual_mov_b32 v6, v53
	v_dual_mov_b32 v7, v54 :: v_dual_mov_b32 v8, v55
	v_dual_mov_b32 v9, v56 :: v_dual_mov_b32 v10, v57
	v_dual_mov_b32 v11, v58 :: v_dual_mov_b32 v12, v59
	v_mov_b32_e32 v49, v48
	v_dual_mov_b32 v13, v14 :: v_dual_mov_b32 v14, v37
	v_dual_mov_b32 v25, v26 :: v_dual_mov_b32 v26, v0
; %bb.27:
	s_or_b32 exec_lo, exec_lo, s2
	v_dual_mov_b32 v122, v24 :: v_dual_mov_b32 v119, v21
	v_dual_mov_b32 v86, v24 :: v_dual_mov_b32 v85, v23
	;; [unrolled: 1-line block ×37, first 2 shown]
	s_clause 0x8
	scratch_store_b128 off, v[13:16], off
	scratch_store_b128 off, v[17:20], off offset:16
	scratch_store_b128 off, v[21:24], off offset:32
	;; [unrolled: 1-line block ×8, first 2 shown]
	v_dual_mov_b32 v72, v34 :: v_dual_mov_b32 v69, v31
	v_dual_mov_b32 v70, v32 :: v_dual_mov_b32 v67, v29
	;; [unrolled: 1-line block ×29, first 2 shown]
	v_mov_b32_e32 v160, v26
	s_clause 0x2
	scratch_store_b128 off, v[25:28], off offset:144
	scratch_store_b128 off, v[29:32], off offset:160
	;; [unrolled: 1-line block ×3, first 2 shown]
	s_mov_b32 s2, exec_lo
	v_dual_mov_b32 v182, v36 :: v_dual_mov_b32 v179, v33
	v_dual_mov_b32 v181, v35 :: v_dual_mov_b32 v180, v34
	;; [unrolled: 1-line block ×6, first 2 shown]
	v_cmpx_lt_f32_e32 v49, v3
	s_cbranch_execz .LBB212_29
; %bb.28:
	v_dual_mov_b32 v182, v36 :: v_dual_mov_b32 v179, v33
	v_dual_mov_b32 v174, v28 :: v_dual_mov_b32 v171, v25
	;; [unrolled: 1-line block ×3, first 2 shown]
	v_mov_b32_e32 v172, v26
	v_dual_mov_b32 v62, v49 :: v_dual_mov_b32 v181, v35
	v_dual_mov_b32 v180, v34 :: v_dual_mov_b32 v177, v31
	;; [unrolled: 1-line block ×11, first 2 shown]
	v_mov_b32_e32 v125, v14
	v_dual_mov_b32 v162, v174 :: v_dual_mov_b32 v163, v175
	v_dual_mov_b32 v164, v176 :: v_dual_mov_b32 v165, v177
	;; [unrolled: 1-line block ×5, first 2 shown]
	v_mov_b32_e32 v162, v28
	v_dual_mov_b32 v170, v182 :: v_dual_mov_b32 v37, v159
	s_clause 0x2
	scratch_store_b128 off, v[123:126], off offset:96
	scratch_store_b128 off, v[127:130], off offset:112
	;; [unrolled: 1-line block ×3, first 2 shown]
	v_dual_mov_b32 v42, v164 :: v_dual_mov_b32 v47, v169
	v_dual_mov_b32 v126, v16 :: v_dual_mov_b32 v45, v167
	;; [unrolled: 1-line block ×5, first 2 shown]
	v_mov_b32_e32 v38, v160
	v_mov_b32_e32 v40, v162
	s_clause 0x2
	scratch_store_b128 off, v[37:40], off offset:144
	scratch_store_b128 off, v[41:44], off offset:160
	;; [unrolled: 1-line block ×3, first 2 shown]
	v_dual_mov_b32 v2, v3 :: v_dual_mov_b32 v3, v49
	v_mov_b32_e32 v147, v159
	v_mov_b32_e32 v127, v17
	;; [unrolled: 1-line block ×3, first 2 shown]
	v_dual_mov_b32 v151, v163 :: v_dual_mov_b32 v148, v160
	v_dual_mov_b32 v153, v165 :: v_dual_mov_b32 v152, v164
	v_dual_mov_b32 v157, v169 :: v_dual_mov_b32 v154, v166
	v_mov_b32_e32 v158, v170
	v_dual_mov_b32 v150, v162 :: v_dual_mov_b32 v155, v167
	v_mov_b32_e32 v156, v168
	v_mov_b32_e32 v152, v30
	;; [unrolled: 1-line block ×3, first 2 shown]
	v_dual_mov_b32 v27, v26 :: v_dual_mov_b32 v42, v128
	v_mov_b32_e32 v37, v123
	v_dual_mov_b32 v43, v129 :: v_dual_mov_b32 v44, v130
	v_mov_b32_e32 v39, v125
	v_dual_mov_b32 v45, v131 :: v_dual_mov_b32 v46, v132
	v_dual_mov_b32 v47, v133 :: v_dual_mov_b32 v48, v134
	v_mov_b32_e32 v38, v124
	v_mov_b32_e32 v40, v126
	s_clause 0x2
	scratch_store_b128 off, v[37:40], off offset:48
	scratch_store_b128 off, v[41:44], off offset:64
	;; [unrolled: 1-line block ×3, first 2 shown]
	v_mov_b32_e32 v37, v123
	v_mov_b32_e32 v39, v125
	v_dual_mov_b32 v41, v127 :: v_dual_mov_b32 v38, v124
	v_mov_b32_e32 v99, v147
	v_mov_b32_e32 v105, v153
	v_dual_mov_b32 v105, v31 :: v_dual_mov_b32 v106, v154
	v_dual_mov_b32 v40, v126 :: v_dual_mov_b32 v101, v149
	;; [unrolled: 1-line block ×3, first 2 shown]
	v_mov_b32_e32 v110, v158
	v_mov_b32_e32 v50, v123
	v_dual_mov_b32 v100, v148 :: v_dual_mov_b32 v107, v155
	v_dual_mov_b32 v102, v150 :: v_dual_mov_b32 v109, v157
	;; [unrolled: 1-line block ×7, first 2 shown]
	v_mov_b32_e32 v58, v131
	v_mov_b32_e32 v56, v19
	s_clause 0x2
	scratch_store_b128 off, v[37:40], off
	scratch_store_b128 off, v[41:44], off offset:16
	scratch_store_b128 off, v[45:48], off offset:32
	v_dual_mov_b32 v60, v133 :: v_dual_mov_b32 v55, v128
	v_mov_b32_e32 v37, v99
	v_mov_b32_e32 v41, v103
	;; [unrolled: 1-line block ×3, first 2 shown]
	v_dual_mov_b32 v43, v105 :: v_dual_mov_b32 v48, v110
	v_dual_mov_b32 v38, v100 :: v_dual_mov_b32 v45, v107
	v_mov_b32_e32 v44, v106
	v_dual_mov_b32 v122, v61 :: v_dual_mov_b32 v113, v52
	v_dual_mov_b32 v40, v102 :: v_dual_mov_b32 v47, v109
	;; [unrolled: 1-line block ×7, first 2 shown]
	v_mov_b32_e32 v114, v53
	v_mov_b32_e32 v116, v55
	;; [unrolled: 1-line block ×4, first 2 shown]
	v_dual_mov_b32 v98, v48 :: v_dual_mov_b32 v95, v45
	v_mov_b32_e32 v95, v33
	v_mov_b32_e32 v93, v43
	;; [unrolled: 1-line block ×4, first 2 shown]
	v_dual_mov_b32 v87, v37 :: v_dual_mov_b32 v146, v122
	v_dual_mov_b32 v137, v113 :: v_dual_mov_b32 v96, v46
	v_dual_mov_b32 v145, v121 :: v_dual_mov_b32 v144, v120
	v_mov_b32_e32 v135, v111
	v_dual_mov_b32 v97, v47 :: v_dual_mov_b32 v94, v44
	v_dual_mov_b32 v92, v42 :: v_dual_mov_b32 v143, v119
	;; [unrolled: 1-line block ×4, first 2 shown]
	v_mov_b32_e32 v138, v114
	v_dual_mov_b32 v142, v118 :: v_dual_mov_b32 v143, v21
	v_dual_mov_b32 v140, v116 :: v_dual_mov_b32 v63, v87
	;; [unrolled: 1-line block ×8, first 2 shown]
	v_mov_b32_e32 v86, v146
	v_dual_mov_b32 v64, v88 :: v_dual_mov_b32 v69, v93
	v_dual_mov_b32 v66, v90 :: v_dual_mov_b32 v71, v95
	;; [unrolled: 1-line block ×7, first 2 shown]
	v_mov_b32_e32 v82, v142
	v_mov_b32_e32 v84, v22
	;; [unrolled: 1-line block ×3, first 2 shown]
.LBB212_29:
	s_or_b32 exec_lo, exec_lo, s2
	v_mov_b32_e32 v13, v4
	s_mov_b32 s2, exec_lo
	v_cmpx_lt_f32_e32 v62, v4
	s_cbranch_execz .LBB212_31
; %bb.30:
	s_clause 0x2
	scratch_load_b128 v[37:40], off, off offset:96
	scratch_load_b128 v[41:44], off, off offset:112
	;; [unrolled: 1-line block ×3, first 2 shown]
	v_dual_mov_b32 v173, v28 :: v_dual_mov_b32 v28, v27
	v_mov_b32_e32 v3, v4
	s_waitcnt vmcnt(0)
	v_dual_mov_b32 v13, v62 :: v_dual_mov_b32 v134, v48
	v_dual_mov_b32 v133, v47 :: v_dual_mov_b32 v124, v38
	;; [unrolled: 1-line block ×3, first 2 shown]
	v_mov_b32_e32 v125, v16
	v_dual_mov_b32 v159, v171 :: v_dual_mov_b32 v160, v172
	s_delay_alu instid0(VALU_DEP_3) | instskip(NEXT) | instid1(VALU_DEP_3)
	v_dual_mov_b32 v162, v174 :: v_dual_mov_b32 v37, v123
	v_dual_mov_b32 v38, v124 :: v_dual_mov_b32 v39, v125
	v_dual_mov_b32 v127, v41 :: v_dual_mov_b32 v126, v40
	v_dual_mov_b32 v131, v45 :: v_dual_mov_b32 v130, v44
	v_dual_mov_b32 v129, v43 :: v_dual_mov_b32 v128, v42
	v_mov_b32_e32 v126, v15
	s_clause 0x2
	scratch_store_b128 off, v[37:40], off offset:96
	scratch_store_b128 off, v[41:44], off offset:112
	;; [unrolled: 1-line block ×3, first 2 shown]
	v_dual_mov_b32 v161, v173 :: v_dual_mov_b32 v164, v176
	v_dual_mov_b32 v167, v179 :: v_dual_mov_b32 v170, v182
	;; [unrolled: 1-line block ×5, first 2 shown]
	s_delay_alu instid0(VALU_DEP_2) | instskip(SKIP_2) | instid1(VALU_DEP_4)
	v_dual_mov_b32 v42, v164 :: v_dual_mov_b32 v43, v165
	v_dual_mov_b32 v48, v170 :: v_dual_mov_b32 v37, v159
	;; [unrolled: 1-line block ×6, first 2 shown]
	s_clause 0x2
	scratch_store_b128 off, v[37:40], off offset:144
	scratch_store_b128 off, v[41:44], off offset:160
	;; [unrolled: 1-line block ×3, first 2 shown]
	v_dual_mov_b32 v42, v128 :: v_dual_mov_b32 v43, v129
	v_dual_mov_b32 v48, v134 :: v_dual_mov_b32 v37, v123
	;; [unrolled: 1-line block ×6, first 2 shown]
	s_clause 0x2
	scratch_store_b128 off, v[37:40], off offset:48
	scratch_store_b128 off, v[41:44], off offset:64
	;; [unrolled: 1-line block ×3, first 2 shown]
	v_dual_mov_b32 v147, v159 :: v_dual_mov_b32 v148, v160
	v_dual_mov_b32 v151, v163 :: v_dual_mov_b32 v152, v164
	;; [unrolled: 1-line block ×10, first 2 shown]
	s_delay_alu instid0(VALU_DEP_4)
	v_dual_mov_b32 v106, v154 :: v_dual_mov_b32 v107, v155
	v_mov_b32_e32 v110, v158
	v_dual_mov_b32 v100, v148 :: v_dual_mov_b32 v101, v149
	v_dual_mov_b32 v104, v152 :: v_dual_mov_b32 v105, v153
	;; [unrolled: 1-line block ×5, first 2 shown]
	v_mov_b32_e32 v61, v134
	s_clause 0x2
	scratch_store_b128 off, v[37:40], off
	scratch_store_b128 off, v[41:44], off offset:16
	scratch_store_b128 off, v[45:48], off offset:32
	v_dual_mov_b32 v54, v127 :: v_dual_mov_b32 v55, v128
	v_dual_mov_b32 v56, v129 :: v_dual_mov_b32 v57, v130
	;; [unrolled: 1-line block ×8, first 2 shown]
	v_mov_b32_e32 v48, v110
	v_mov_b32_e32 v44, v32
	v_dual_mov_b32 v42, v104 :: v_dual_mov_b32 v43, v105
	v_dual_mov_b32 v46, v108 :: v_dual_mov_b32 v47, v109
	;; [unrolled: 1-line block ×9, first 2 shown]
	v_mov_b32_e32 v114, v53
	v_mov_b32_e32 v112, v51
	v_dual_mov_b32 v98, v48 :: v_dual_mov_b32 v91, v41
	v_dual_mov_b32 v94, v44 :: v_dual_mov_b32 v87, v37
	;; [unrolled: 1-line block ×3, first 2 shown]
	v_mov_b32_e32 v89, v39
	v_mov_b32_e32 v95, v45
	v_dual_mov_b32 v93, v43 :: v_dual_mov_b32 v146, v122
	v_dual_mov_b32 v143, v119 :: v_dual_mov_b32 v140, v116
	v_dual_mov_b32 v135, v111 :: v_dual_mov_b32 v88, v38
	v_dual_mov_b32 v145, v121 :: v_dual_mov_b32 v144, v120
	v_dual_mov_b32 v139, v115 :: v_dual_mov_b32 v142, v118
	v_dual_mov_b32 v137, v113 :: v_dual_mov_b32 v92, v42
	v_dual_mov_b32 v95, v33 :: v_dual_mov_b32 v90, v40
	v_dual_mov_b32 v16, v15 :: v_dual_mov_b32 v141, v117
	v_dual_mov_b32 v138, v114 :: v_dual_mov_b32 v143, v21
	v_dual_mov_b32 v136, v112 :: v_dual_mov_b32 v63, v87
	v_dual_mov_b32 v72, v96 :: v_dual_mov_b32 v73, v97
	v_dual_mov_b32 v72, v34 :: v_dual_mov_b32 v75, v135
	v_dual_mov_b32 v74, v98 :: v_dual_mov_b32 v73, v35
	v_dual_mov_b32 v82, v142 :: v_dual_mov_b32 v85, v145
	v_dual_mov_b32 v84, v144 :: v_dual_mov_b32 v85, v23
	v_mov_b32_e32 v86, v146
	v_dual_mov_b32 v64, v88 :: v_dual_mov_b32 v65, v89
	v_dual_mov_b32 v66, v90 :: v_dual_mov_b32 v67, v91
	;; [unrolled: 1-line block ×8, first 2 shown]
	v_mov_b32_e32 v84, v22
	v_mov_b32_e32 v86, v24
.LBB212_31:
	s_or_b32 exec_lo, exec_lo, s2
	v_mov_b32_e32 v14, v5
	s_mov_b32 s2, exec_lo
	v_cmpx_lt_f32_e32 v13, v5
	s_cbranch_execz .LBB212_33
; %bb.32:
	s_clause 0x2
	scratch_load_b128 v[37:40], off, off offset:96
	scratch_load_b128 v[41:44], off, off offset:112
	;; [unrolled: 1-line block ×3, first 2 shown]
	v_mov_b32_e32 v174, v29
	v_mov_b32_e32 v14, v13
	;; [unrolled: 1-line block ×3, first 2 shown]
	v_dual_mov_b32 v17, v16 :: v_dual_mov_b32 v4, v5
	v_mov_b32_e32 v29, v28
	s_waitcnt vmcnt(0)
	v_dual_mov_b32 v73, v48 :: v_dual_mov_b32 v64, v39
	v_dual_mov_b32 v70, v45 :: v_dual_mov_b32 v69, v44
	;; [unrolled: 1-line block ×18, first 2 shown]
	v_mov_b32_e32 v127, v16
	v_dual_mov_b32 v147, v159 :: v_dual_mov_b32 v148, v160
	v_dual_mov_b32 v149, v161 :: v_dual_mov_b32 v152, v164
	;; [unrolled: 1-line block ×19, first 2 shown]
	v_mov_b32_e32 v61, v134
	s_clause 0x2
	scratch_store_b128 off, v[37:40], off
	scratch_store_b128 off, v[41:44], off offset:16
	scratch_store_b128 off, v[45:48], off offset:32
	v_dual_mov_b32 v53, v126 :: v_dual_mov_b32 v54, v127
	v_dual_mov_b32 v101, v149 :: v_dual_mov_b32 v102, v150
	;; [unrolled: 1-line block ×10, first 2 shown]
	v_mov_b32_e32 v46, v108
	v_dual_mov_b32 v122, v61 :: v_dual_mov_b32 v121, v60
	v_dual_mov_b32 v43, v105 :: v_dual_mov_b32 v44, v106
	;; [unrolled: 1-line block ×8, first 2 shown]
	v_mov_b32_e32 v112, v51
	v_mov_b32_e32 v118, v20
	v_dual_mov_b32 v98, v48 :: v_dual_mov_b32 v93, v43
	v_dual_mov_b32 v92, v42 :: v_dual_mov_b32 v87, v37
	v_mov_b32_e32 v97, v47
	v_dual_mov_b32 v95, v45 :: v_dual_mov_b32 v146, v122
	v_dual_mov_b32 v143, v119 :: v_dual_mov_b32 v138, v114
	;; [unrolled: 1-line block ×7, first 2 shown]
	v_mov_b32_e32 v89, v39
	s_clause 0x5
	scratch_store_b128 off, v[62:65], off offset:48
	scratch_store_b128 off, v[66:69], off offset:64
	;; [unrolled: 1-line block ×6, first 2 shown]
	v_dual_mov_b32 v142, v118 :: v_dual_mov_b32 v139, v115
	v_dual_mov_b32 v140, v116 :: v_dual_mov_b32 v137, v113
	;; [unrolled: 1-line block ×17, first 2 shown]
	v_mov_b32_e32 v84, v22
	v_mov_b32_e32 v86, v24
.LBB212_33:
	s_or_b32 exec_lo, exec_lo, s2
	v_mov_b32_e32 v13, v6
	s_mov_b32 s2, exec_lo
	v_cmpx_lt_f32_e32 v14, v6
	s_cbranch_execz .LBB212_35
; %bb.34:
	s_clause 0x2
	scratch_load_b128 v[37:40], off, off offset:144
	scratch_load_b128 v[41:44], off, off offset:160
	;; [unrolled: 1-line block ×3, first 2 shown]
	v_mov_b32_e32 v5, v6
	s_waitcnt vmcnt(0)
	v_dual_mov_b32 v13, v14 :: v_dual_mov_b32 v170, v48
	v_dual_mov_b32 v169, v47 :: v_dual_mov_b32 v162, v40
	v_dual_mov_b32 v159, v37 :: v_dual_mov_b32 v168, v46
	v_dual_mov_b32 v167, v45 :: v_dual_mov_b32 v166, v44
	v_dual_mov_b32 v165, v43 :: v_dual_mov_b32 v164, v42
	v_dual_mov_b32 v161, v39 :: v_dual_mov_b32 v160, v38
	s_clause 0x2
	scratch_load_b128 v[37:40], off, off offset:48
	scratch_load_b128 v[41:44], off, off offset:64
	;; [unrolled: 1-line block ×3, first 2 shown]
	v_dual_mov_b32 v163, v30 :: v_dual_mov_b32 v30, v29
	s_waitcnt vmcnt(0)
	v_dual_mov_b32 v73, v48 :: v_dual_mov_b32 v72, v47
	v_dual_mov_b32 v65, v40 :: v_dual_mov_b32 v62, v37
	v_mov_b32_e32 v63, v38
	v_dual_mov_b32 v67, v42 :: v_dual_mov_b32 v64, v39
	v_dual_mov_b32 v71, v46 :: v_dual_mov_b32 v70, v45
	;; [unrolled: 1-line block ×4, first 2 shown]
	v_mov_b32_e32 v148, v160
	v_dual_mov_b32 v134, v73 :: v_dual_mov_b32 v133, v72
	v_dual_mov_b32 v124, v63 :: v_dual_mov_b32 v123, v62
	;; [unrolled: 1-line block ×11, first 2 shown]
	v_mov_b32_e32 v128, v17
	v_mov_b32_e32 v152, v29
	v_dual_mov_b32 v50, v123 :: v_dual_mov_b32 v51, v124
	v_mov_b32_e32 v99, v147
	s_delay_alu instid0(VALU_DEP_3)
	v_dual_mov_b32 v53, v126 :: v_dual_mov_b32 v104, v152
	v_dual_mov_b32 v105, v153 :: v_dual_mov_b32 v100, v148
	;; [unrolled: 1-line block ×7, first 2 shown]
	v_mov_b32_e32 v57, v130
	v_dual_mov_b32 v102, v150 :: v_dual_mov_b32 v103, v151
	v_dual_mov_b32 v108, v156 :: v_dual_mov_b32 v109, v157
	;; [unrolled: 1-line block ×3, first 2 shown]
	v_mov_b32_e32 v58, v131
	v_mov_b32_e32 v56, v19
	v_dual_mov_b32 v37, v99 :: v_dual_mov_b32 v38, v100
	v_mov_b32_e32 v39, v101
	v_dual_mov_b32 v43, v105 :: v_dual_mov_b32 v48, v110
	s_delay_alu instid0(VALU_DEP_4)
	v_dual_mov_b32 v122, v61 :: v_dual_mov_b32 v117, v56
	v_dual_mov_b32 v42, v104 :: v_dual_mov_b32 v45, v107
	;; [unrolled: 1-line block ×9, first 2 shown]
	v_mov_b32_e32 v118, v20
	v_mov_b32_e32 v44, v32
	;; [unrolled: 1-line block ×3, first 2 shown]
	v_dual_mov_b32 v98, v48 :: v_dual_mov_b32 v95, v45
	v_dual_mov_b32 v146, v122 :: v_dual_mov_b32 v145, v121
	s_delay_alu instid0(VALU_DEP_4)
	v_dual_mov_b32 v94, v44 :: v_dual_mov_b32 v87, v37
	v_dual_mov_b32 v97, v47 :: v_dual_mov_b32 v144, v120
	;; [unrolled: 1-line block ×5, first 2 shown]
	v_mov_b32_e32 v93, v43
	v_dual_mov_b32 v91, v41 :: v_dual_mov_b32 v90, v40
	v_dual_mov_b32 v141, v117 :: v_dual_mov_b32 v88, v38
	;; [unrolled: 1-line block ×6, first 2 shown]
	s_clause 0x2
	scratch_store_b128 off, v[62:65], off
	scratch_store_b128 off, v[66:69], off offset:16
	scratch_store_b128 off, v[70:73], off offset:32
	v_dual_mov_b32 v63, v87 :: v_dual_mov_b32 v74, v98
	v_dual_mov_b32 v75, v135 :: v_dual_mov_b32 v72, v96
	;; [unrolled: 1-line block ×14, first 2 shown]
	v_mov_b32_e32 v84, v22
	v_mov_b32_e32 v86, v24
	;; [unrolled: 1-line block ×3, first 2 shown]
.LBB212_35:
	s_or_b32 exec_lo, exec_lo, s2
	v_mov_b32_e32 v14, v7
	s_mov_b32 s2, exec_lo
	v_cmpx_lt_f32_e32 v13, v7
	s_cbranch_execz .LBB212_37
; %bb.36:
	s_clause 0x2
	scratch_load_b128 v[37:40], off, off
	scratch_load_b128 v[41:44], off, off offset:16
	scratch_load_b128 v[45:48], off, off offset:32
	v_mov_b32_e32 v164, v31
	v_dual_mov_b32 v14, v13 :: v_dual_mov_b32 v31, v30
	s_waitcnt vmcnt(0)
	v_dual_mov_b32 v134, v48 :: v_dual_mov_b32 v133, v47
	v_dual_mov_b32 v130, v44 :: v_dual_mov_b32 v127, v41
	;; [unrolled: 1-line block ×5, first 2 shown]
	v_mov_b32_e32 v125, v39
	v_dual_mov_b32 v99, v159 :: v_dual_mov_b32 v100, v160
	v_dual_mov_b32 v128, v19 :: v_dual_mov_b32 v101, v161
	v_mov_b32_e32 v110, v170
	v_dual_mov_b32 v50, v123 :: v_dual_mov_b32 v53, v126
	v_dual_mov_b32 v106, v166 :: v_dual_mov_b32 v107, v167
	;; [unrolled: 1-line block ×19, first 2 shown]
	v_mov_b32_e32 v47, v109
	v_dual_mov_b32 v114, v53 :: v_dual_mov_b32 v111, v50
	v_mov_b32_e32 v118, v20
	v_dual_mov_b32 v120, v59 :: v_dual_mov_b32 v117, v56
	v_dual_mov_b32 v116, v55 :: v_dual_mov_b32 v113, v52
	v_mov_b32_e32 v44, v32
	v_mov_b32_e32 v112, v51
	v_dual_mov_b32 v98, v48 :: v_dual_mov_b32 v95, v45
	v_dual_mov_b32 v146, v122 :: v_dual_mov_b32 v145, v121
	v_dual_mov_b32 v92, v42 :: v_dual_mov_b32 v87, v37
	v_dual_mov_b32 v97, v47 :: v_dual_mov_b32 v142, v118
	v_dual_mov_b32 v135, v111 :: v_dual_mov_b32 v96, v46
	v_dual_mov_b32 v91, v41 :: v_dual_mov_b32 v90, v40
	v_dual_mov_b32 v143, v119 :: v_dual_mov_b32 v144, v120
	v_dual_mov_b32 v137, v113 :: v_dual_mov_b32 v94, v44
	v_mov_b32_e32 v89, v39
	v_dual_mov_b32 v93, v43 :: v_dual_mov_b32 v88, v38
	v_dual_mov_b32 v141, v117 :: v_dual_mov_b32 v140, v116
	v_mov_b32_e32 v95, v33
	v_dual_mov_b32 v139, v115 :: v_dual_mov_b32 v138, v114
	v_dual_mov_b32 v143, v21 :: v_dual_mov_b32 v136, v112
	;; [unrolled: 1-line block ×24, first 2 shown]
	v_mov_b32_e32 v158, v170
.LBB212_37:
	s_or_b32 exec_lo, exec_lo, s2
	v_mov_b32_e32 v13, v8
	s_mov_b32 s2, exec_lo
	v_cmpx_lt_f32_e32 v14, v8
	s_cbranch_execz .LBB212_39
; %bb.38:
	v_mov_b32_e32 v129, v20
	v_mov_b32_e32 v153, v32
	v_dual_mov_b32 v111, v123 :: v_dual_mov_b32 v114, v126
	v_dual_mov_b32 v37, v147 :: v_dual_mov_b32 v38, v148
	v_dual_mov_b32 v45, v155 :: v_dual_mov_b32 v48, v158
	v_dual_mov_b32 v40, v150 :: v_dual_mov_b32 v117, v129
	v_dual_mov_b32 v122, v134 :: v_dual_mov_b32 v41, v151
	v_dual_mov_b32 v44, v154 :: v_dual_mov_b32 v47, v157
	v_dual_mov_b32 v112, v124 :: v_dual_mov_b32 v113, v125
	v_dual_mov_b32 v118, v130 :: v_dual_mov_b32 v39, v149
	v_dual_mov_b32 v42, v152 :: v_dual_mov_b32 v43, v153
	v_dual_mov_b32 v46, v156 :: v_dual_mov_b32 v115, v127
	v_mov_b32_e32 v120, v132
	v_dual_mov_b32 v116, v128 :: v_dual_mov_b32 v121, v133
	v_mov_b32_e32 v44, v31
	v_dual_mov_b32 v119, v131 :: v_dual_mov_b32 v98, v48
	v_dual_mov_b32 v118, v19 :: v_dual_mov_b32 v95, v45
	;; [unrolled: 1-line block ×13, first 2 shown]
	v_mov_b32_e32 v95, v33
	v_dual_mov_b32 v7, v8 :: v_dual_mov_b32 v8, v14
	v_mov_b32_e32 v143, v21
	v_dual_mov_b32 v63, v87 :: v_dual_mov_b32 v68, v92
	v_dual_mov_b32 v64, v88 :: v_dual_mov_b32 v75, v135
	v_dual_mov_b32 v80, v140 :: v_dual_mov_b32 v67, v91
	v_dual_mov_b32 v72, v96 :: v_dual_mov_b32 v69, v93
	v_dual_mov_b32 v74, v98 :: v_dual_mov_b32 v73, v97
	v_dual_mov_b32 v78, v138 :: v_dual_mov_b32 v79, v139
	v_dual_mov_b32 v84, v144 :: v_dual_mov_b32 v81, v141
	v_dual_mov_b32 v86, v146 :: v_dual_mov_b32 v85, v145
	v_mov_b32_e32 v74, v36
	v_dual_mov_b32 v50, v123 :: v_dual_mov_b32 v51, v124
	v_dual_mov_b32 v99, v147 :: v_dual_mov_b32 v100, v148
	v_dual_mov_b32 v65, v89 :: v_dual_mov_b32 v70, v94
	v_dual_mov_b32 v66, v90 :: v_dual_mov_b32 v71, v95
	v_dual_mov_b32 v76, v136 :: v_dual_mov_b32 v77, v137
	v_dual_mov_b32 v82, v142 :: v_dual_mov_b32 v83, v143
	v_dual_mov_b32 v72, v34 :: v_dual_mov_b32 v73, v35
	;; [unrolled: 9-line block ×3, first 2 shown]
	v_dual_mov_b32 v105, v153 :: v_dual_mov_b32 v106, v154
	v_dual_mov_b32 v107, v155 :: v_dual_mov_b32 v108, v156
	;; [unrolled: 1-line block ×4, first 2 shown]
	v_mov_b32_e32 v32, v31
.LBB212_39:
	s_or_b32 exec_lo, exec_lo, s2
	v_mov_b32_e32 v14, v9
	s_mov_b32 s2, exec_lo
	v_cmpx_lt_f32_e32 v13, v9
	s_cbranch_execz .LBB212_41
; %bb.40:
	v_mov_b32_e32 v57, v21
	v_mov_b32_e32 v106, v33
	v_dual_mov_b32 v146, v61 :: v_dual_mov_b32 v145, v60
	v_dual_mov_b32 v87, v99 :: v_dual_mov_b32 v90, v102
	v_mov_b32_e32 v88, v100
	v_dual_mov_b32 v136, v51 :: v_dual_mov_b32 v135, v50
	v_dual_mov_b32 v91, v103 :: v_dual_mov_b32 v94, v106
	;; [unrolled: 1-line block ×7, first 2 shown]
	v_mov_b32_e32 v139, v54
	v_dual_mov_b32 v89, v101 :: v_dual_mov_b32 v92, v104
	v_dual_mov_b32 v138, v53 :: v_dual_mov_b32 v137, v52
	;; [unrolled: 1-line block ×3, first 2 shown]
	v_mov_b32_e32 v143, v20
	s_delay_alu instid0(VALU_DEP_4)
	v_dual_mov_b32 v63, v87 :: v_dual_mov_b32 v68, v92
	v_dual_mov_b32 v66, v90 :: v_dual_mov_b32 v75, v135
	;; [unrolled: 1-line block ×8, first 2 shown]
	v_mov_b32_e32 v74, v36
	v_dual_mov_b32 v122, v61 :: v_dual_mov_b32 v121, v60
	v_dual_mov_b32 v37, v99 :: v_dual_mov_b32 v38, v100
	;; [unrolled: 1-line block ×20, first 2 shown]
	v_mov_b32_e32 v33, v32
.LBB212_41:
	s_or_b32 exec_lo, exec_lo, s2
	v_mov_b32_e32 v15, v10
	s_mov_b32 s2, exec_lo
	v_cmpx_lt_f32_e32 v14, v10
	s_cbranch_execz .LBB212_43
; %bb.42:
	v_mov_b32_e32 v45, v34
	v_dual_mov_b32 v9, v10 :: v_dual_mov_b32 v74, v48
	v_mov_b32_e32 v72, v46
	v_mov_b32_e32 v72, v33
	s_delay_alu instid0(VALU_DEP_4) | instskip(SKIP_4) | instid1(VALU_DEP_4)
	v_mov_b32_e32 v71, v45
	v_dual_mov_b32 v119, v22 :: v_dual_mov_b32 v70, v44
	v_dual_mov_b32 v75, v111 :: v_dual_mov_b32 v78, v114
	v_dual_mov_b32 v10, v14 :: v_dual_mov_b32 v73, v47
	v_dual_mov_b32 v81, v117 :: v_dual_mov_b32 v84, v120
	v_dual_mov_b32 v83, v119 :: v_dual_mov_b32 v86, v122
	v_dual_mov_b32 v85, v121 :: v_dual_mov_b32 v86, v24
	v_dual_mov_b32 v146, v122 :: v_dual_mov_b32 v145, v121
	v_dual_mov_b32 v98, v48 :: v_dual_mov_b32 v97, v47
	v_dual_mov_b32 v69, v43 :: v_dual_mov_b32 v68, v42
	v_dual_mov_b32 v67, v41 :: v_dual_mov_b32 v66, v40
	v_dual_mov_b32 v65, v39 :: v_dual_mov_b32 v64, v38
	v_dual_mov_b32 v63, v37 :: v_dual_mov_b32 v74, v36
	v_dual_mov_b32 v73, v35 :: v_dual_mov_b32 v76, v112
	v_dual_mov_b32 v77, v113 :: v_dual_mov_b32 v80, v116
	v_dual_mov_b32 v79, v115 :: v_dual_mov_b32 v82, v118
	v_dual_mov_b32 v84, v21 :: v_dual_mov_b32 v85, v23
	v_dual_mov_b32 v144, v120 :: v_dual_mov_b32 v143, v119
	v_dual_mov_b32 v142, v118 :: v_dual_mov_b32 v141, v117
	v_dual_mov_b32 v140, v116 :: v_dual_mov_b32 v139, v115
	v_dual_mov_b32 v138, v114 :: v_dual_mov_b32 v137, v113
	v_dual_mov_b32 v136, v112 :: v_dual_mov_b32 v135, v111
	v_dual_mov_b32 v96, v46 :: v_dual_mov_b32 v95, v45
	v_dual_mov_b32 v94, v44 :: v_dual_mov_b32 v93, v43
	v_dual_mov_b32 v92, v42 :: v_dual_mov_b32 v91, v41
	v_dual_mov_b32 v90, v40 :: v_dual_mov_b32 v89, v39
	v_dual_mov_b32 v88, v38 :: v_dual_mov_b32 v87, v37
	v_dual_mov_b32 v15, v14 :: v_dual_mov_b32 v22, v21
	v_mov_b32_e32 v34, v33
.LBB212_43:
	s_or_b32 exec_lo, exec_lo, s2
	v_mov_b32_e32 v13, v11
	s_mov_b32 s2, exec_lo
	v_cmpx_lt_f32_e32 v15, v11
	s_cbranch_execz .LBB212_45
; %bb.44:
	v_dual_mov_b32 v144, v23 :: v_dual_mov_b32 v145, v22
	v_dual_mov_b32 v96, v35 :: v_dual_mov_b32 v97, v34
	v_mov_b32_e32 v146, v24
	v_mov_b32_e32 v10, v11
	v_dual_mov_b32 v11, v15 :: v_dual_mov_b32 v98, v36
	v_dual_mov_b32 v75, v135 :: v_dual_mov_b32 v84, v144
	;; [unrolled: 1-line block ×3, first 2 shown]
	v_mov_b32_e32 v79, v139
	v_dual_mov_b32 v77, v137 :: v_dual_mov_b32 v78, v138
	v_dual_mov_b32 v81, v141 :: v_dual_mov_b32 v80, v140
	v_dual_mov_b32 v83, v143 :: v_dual_mov_b32 v82, v142
	v_dual_mov_b32 v85, v145 :: v_dual_mov_b32 v86, v146
	v_dual_mov_b32 v65, v89 :: v_dual_mov_b32 v64, v88
	v_dual_mov_b32 v67, v91 :: v_dual_mov_b32 v66, v90
	v_dual_mov_b32 v69, v93 :: v_dual_mov_b32 v68, v92
	v_dual_mov_b32 v71, v95 :: v_dual_mov_b32 v70, v94
	v_dual_mov_b32 v73, v97 :: v_dual_mov_b32 v72, v96
	v_dual_mov_b32 v13, v15 :: v_dual_mov_b32 v74, v98
.LBB212_45:
	s_or_b32 exec_lo, exec_lo, s2
	s_delay_alu instid0(VALU_DEP_1)
	v_cmp_lt_f32_e32 vcc_lo, v13, v12
	v_cmp_lt_f32_e64 s2, v1, v2
	v_dual_mov_b32 v40, v76 :: v_dual_mov_b32 v41, v77
	v_dual_mov_b32 v43, v79 :: v_dual_mov_b32 v44, v80
	v_dual_cndmask_b32 v23, v12, v13 :: v_dual_mov_b32 v42, v78
	v_dual_cndmask_b32 v11, v11, v12 :: v_dual_cndmask_b32 v62, v74, v73
	s_delay_alu instid0(VALU_DEP_2) | instskip(SKIP_3) | instid1(VALU_DEP_4)
	v_dual_cndmask_b32 v49, v85, v86 :: v_dual_mov_b32 v12, v23
	v_dual_cndmask_b32 v61, v73, v74 :: v_dual_cndmask_b32 v50, v86, v85
	v_mov_b32_e32 v39, v75
	v_dual_mov_b32 v45, v81 :: v_dual_mov_b32 v48, v84
	v_dual_mov_b32 v38, v12 :: v_dual_mov_b32 v37, v11
	;; [unrolled: 1-line block ×13, first 2 shown]
	s_and_saveexec_b32 s3, s2
	s_delay_alu instid0(SALU_CYCLE_1)
	s_xor_b32 s2, exec_lo, s3
	s_cbranch_execz .LBB212_47
; %bb.46:
	v_dual_mov_b32 v12, v2 :: v_dual_mov_b32 v13, v1
	v_dual_mov_b32 v14, v3 :: v_dual_mov_b32 v15, v4
	;; [unrolled: 1-line block ×6, first 2 shown]
	s_delay_alu instid0(VALU_DEP_2) | instskip(NEXT) | instid1(VALU_DEP_2)
	v_dual_mov_b32 v38, v23 :: v_dual_mov_b32 v35, v20
	v_dual_mov_b32 v36, v21 :: v_dual_mov_b32 v37, v22
	;; [unrolled: 1-line block ×15, first 2 shown]
	v_mov_b32_e32 v58, v70
	v_mov_b32_e32 v60, v72
.LBB212_47:
	s_or_b32 exec_lo, exec_lo, s2
	v_dual_mov_b32 v1, v29 :: v_dual_mov_b32 v122, v50
	v_dual_mov_b32 v15, v39 :: v_dual_mov_b32 v16, v40
	;; [unrolled: 1-line block ×30, first 2 shown]
	v_mov_b32_e32 v135, v39
	s_clause 0x2
	scratch_store_b128 off, v[39:42], off offset:48
	scratch_store_b128 off, v[43:46], off offset:64
	;; [unrolled: 1-line block ×3, first 2 shown]
	v_dual_mov_b32 v3, v51 :: v_dual_mov_b32 v6, v54
	v_dual_mov_b32 v13, v61 :: v_dual_mov_b32 v74, v62
	;; [unrolled: 1-line block ×34, first 2 shown]
	v_mov_b32_e32 v159, v51
	s_mov_b32 s2, exec_lo
	v_dual_mov_b32 v73, v61 :: v_dual_mov_b32 v72, v60
	v_mov_b32_e32 v4, v52
	s_clause 0x2
	scratch_store_b128 off, v[51:54], off
	scratch_store_b128 off, v[55:58], off offset:16
	scratch_store_b128 off, v[59:62], off offset:32
	v_dual_mov_b32 v182, v50 :: v_dual_mov_b32 v181, v49
	v_dual_mov_b32 v180, v48 :: v_dual_mov_b32 v179, v47
	;; [unrolled: 1-line block ×6, first 2 shown]
	v_cmpx_lt_f32_e32 v2, v29
	s_cbranch_execz .LBB212_49
; %bb.48:
	v_dual_mov_b32 v170, v62 :: v_dual_mov_b32 v169, v61
	v_dual_mov_b32 v162, v54 :: v_dual_mov_b32 v161, v53
	;; [unrolled: 1-line block ×7, first 2 shown]
	s_clause 0x2
	scratch_store_b128 off, v[159:162], off
	scratch_store_b128 off, v[163:166], off offset:16
	scratch_store_b128 off, v[167:170], off offset:32
	v_dual_mov_b32 v182, v50 :: v_dual_mov_b32 v181, v49
	v_dual_mov_b32 v172, v40 :: v_dual_mov_b32 v171, v39
	;; [unrolled: 1-line block ×8, first 2 shown]
	s_delay_alu instid0(VALU_DEP_3)
	v_dual_mov_b32 v140, v176 :: v_dual_mov_b32 v141, v177
	v_dual_mov_b32 v138, v174 :: v_dual_mov_b32 v139, v175
	;; [unrolled: 1-line block ×3, first 2 shown]
	v_mov_b32_e32 v146, v182
	v_dual_mov_b32 v136, v172 :: v_dual_mov_b32 v137, v173
	v_mov_b32_e32 v138, v42
	v_dual_mov_b32 v142, v178 :: v_dual_mov_b32 v143, v179
	v_mov_b32_e32 v53, v52
	v_mov_b32_e32 v139, v43
	;; [unrolled: 1-line block ×3, first 2 shown]
	v_dual_mov_b32 v147, v159 :: v_dual_mov_b32 v148, v160
	v_mov_b32_e32 v151, v163
	v_dual_mov_b32 v149, v161 :: v_dual_mov_b32 v150, v162
	v_dual_mov_b32 v153, v165 :: v_dual_mov_b32 v152, v164
	;; [unrolled: 1-line block ×16, first 2 shown]
	v_mov_b32_e32 v122, v146
	v_dual_mov_b32 v114, v138 :: v_dual_mov_b32 v117, v141
	v_dual_mov_b32 v116, v140 :: v_dual_mov_b32 v119, v143
	;; [unrolled: 1-line block ×14, first 2 shown]
	v_mov_b32_e32 v82, v118
	v_dual_mov_b32 v76, v112 :: v_dual_mov_b32 v81, v117
	v_dual_mov_b32 v80, v116 :: v_dual_mov_b32 v85, v121
	;; [unrolled: 1-line block ×6, first 2 shown]
	v_mov_b32_e32 v81, v45
	v_dual_mov_b32 v65, v89 :: v_dual_mov_b32 v72, v96
	v_mov_b32_e32 v29, v2
	s_delay_alu instid0(VALU_DEP_3)
	v_dual_mov_b32 v110, v86 :: v_dual_mov_b32 v105, v81
	v_dual_mov_b32 v70, v94 :: v_dual_mov_b32 v73, v97
	;; [unrolled: 1-line block ×11, first 2 shown]
	v_mov_b32_e32 v106, v46
	s_clause 0x2
	scratch_store_b128 off, v[3:6], off offset:48
	scratch_store_b128 off, v[7:10], off offset:64
	;; [unrolled: 1-line block ×3, first 2 shown]
	v_dual_mov_b32 v100, v76 :: v_dual_mov_b32 v3, v63
	v_dual_mov_b32 v12, v72 :: v_dual_mov_b32 v5, v65
	;; [unrolled: 1-line block ×16, first 2 shown]
	v_mov_b32_e32 v26, v50
.LBB212_49:
	s_or_b32 exec_lo, exec_lo, s2
	v_mov_b32_e32 v2, v30
	s_mov_b32 s2, exec_lo
	v_cmpx_lt_f32_e32 v1, v30
	s_cbranch_execz .LBB212_51
; %bb.50:
	s_clause 0x2
	scratch_load_b128 v[2:5], off, off
	scratch_load_b128 v[6:9], off, off offset:16
	scratch_load_b128 v[10:13], off, off offset:32
	v_dual_mov_b32 v29, v30 :: v_dual_mov_b32 v30, v1
	v_dual_mov_b32 v161, v54 :: v_dual_mov_b32 v54, v53
	s_waitcnt vmcnt(0)
	v_dual_mov_b32 v170, v13 :: v_dual_mov_b32 v169, v12
	v_mov_b32_e32 v160, v3
	v_dual_mov_b32 v162, v5 :: v_dual_mov_b32 v159, v2
	v_dual_mov_b32 v173, v42 :: v_dual_mov_b32 v168, v11
	;; [unrolled: 1-line block ×3, first 2 shown]
	s_delay_alu instid0(VALU_DEP_3)
	v_dual_mov_b32 v165, v8 :: v_dual_mov_b32 v2, v159
	v_dual_mov_b32 v3, v160 :: v_dual_mov_b32 v4, v161
	;; [unrolled: 1-line block ×3, first 2 shown]
	s_clause 0x2
	scratch_store_b128 off, v[2:5], off
	scratch_store_b128 off, v[6:9], off offset:16
	scratch_store_b128 off, v[10:13], off offset:32
	v_dual_mov_b32 v162, v53 :: v_dual_mov_b32 v135, v171
	v_dual_mov_b32 v140, v176 :: v_dual_mov_b32 v141, v177
	;; [unrolled: 1-line block ×14, first 2 shown]
	v_mov_b32_e32 v137, v173
	v_dual_mov_b32 v123, v147 :: v_dual_mov_b32 v126, v150
	v_dual_mov_b32 v124, v148 :: v_dual_mov_b32 v111, v135
	s_delay_alu instid0(VALU_DEP_4)
	v_dual_mov_b32 v112, v136 :: v_dual_mov_b32 v125, v149
	v_dual_mov_b32 v128, v152 :: v_dual_mov_b32 v115, v139
	;; [unrolled: 1-line block ×7, first 2 shown]
	v_mov_b32_e32 v128, v56
	v_dual_mov_b32 v116, v44 :: v_dual_mov_b32 v87, v123
	v_dual_mov_b32 v113, v137 :: v_dual_mov_b32 v114, v138
	;; [unrolled: 1-line block ×21, first 2 shown]
	v_mov_b32_e32 v81, v45
	v_dual_mov_b32 v63, v87 :: v_dual_mov_b32 v66, v90
	v_mov_b32_e32 v64, v88
	v_dual_mov_b32 v110, v86 :: v_dual_mov_b32 v109, v85
	v_dual_mov_b32 v65, v89 :: v_dual_mov_b32 v68, v92
	;; [unrolled: 1-line block ×9, first 2 shown]
	v_mov_b32_e32 v102, v78
	v_dual_mov_b32 v42, v41 :: v_dual_mov_b32 v103, v79
	v_mov_b32_e32 v100, v76
	v_mov_b32_e32 v106, v46
	s_clause 0x2
	scratch_store_b128 off, v[2:5], off offset:48
	scratch_store_b128 off, v[6:9], off offset:64
	;; [unrolled: 1-line block ×3, first 2 shown]
	v_dual_mov_b32 v2, v1 :: v_dual_mov_b32 v107, v83
	v_mov_b32_e32 v3, v63
	v_mov_b32_e32 v5, v65
	v_dual_mov_b32 v7, v67 :: v_dual_mov_b32 v14, v74
	v_dual_mov_b32 v15, v99 :: v_dual_mov_b32 v6, v66
	;; [unrolled: 1-line block ×14, first 2 shown]
	v_mov_b32_e32 v24, v48
	v_mov_b32_e32 v26, v50
.LBB212_51:
	s_or_b32 exec_lo, exec_lo, s2
	v_mov_b32_e32 v1, v31
	s_mov_b32 s2, exec_lo
	v_cmpx_lt_f32_e32 v2, v31
	s_cbranch_execz .LBB212_53
; %bb.52:
	s_clause 0x2
	scratch_load_b128 v[3:6], off, off
	scratch_load_b128 v[7:10], off, off offset:16
	scratch_load_b128 v[11:14], off, off offset:32
	v_dual_mov_b32 v30, v31 :: v_dual_mov_b32 v31, v2
	v_mov_b32_e32 v1, v2
	s_waitcnt vmcnt(0)
	v_dual_mov_b32 v170, v14 :: v_dual_mov_b32 v169, v13
	v_dual_mov_b32 v161, v5 :: v_dual_mov_b32 v160, v4
	v_dual_mov_b32 v168, v12 :: v_dual_mov_b32 v167, v11
	v_dual_mov_b32 v166, v10 :: v_dual_mov_b32 v165, v9
	v_dual_mov_b32 v164, v8 :: v_dual_mov_b32 v163, v7
	v_mov_b32_e32 v174, v43
	v_mov_b32_e32 v159, v3
	;; [unrolled: 1-line block ×3, first 2 shown]
	v_dual_mov_b32 v135, v171 :: v_dual_mov_b32 v136, v172
	v_mov_b32_e32 v137, v173
	s_delay_alu instid0(VALU_DEP_4) | instskip(NEXT) | instid1(VALU_DEP_4)
	v_dual_mov_b32 v147, v159 :: v_dual_mov_b32 v148, v160
	v_dual_mov_b32 v149, v161 :: v_dual_mov_b32 v150, v162
	;; [unrolled: 1-line block ×10, first 2 shown]
	v_mov_b32_e32 v139, v42
	v_mov_b32_e32 v151, v54
	v_dual_mov_b32 v146, v182 :: v_dual_mov_b32 v123, v147
	v_dual_mov_b32 v111, v135 :: v_dual_mov_b32 v112, v136
	;; [unrolled: 1-line block ×3, first 2 shown]
	s_delay_alu instid0(VALU_DEP_4)
	v_dual_mov_b32 v124, v148 :: v_dual_mov_b32 v127, v151
	v_dual_mov_b32 v128, v152 :: v_dual_mov_b32 v131, v155
	;; [unrolled: 1-line block ×9, first 2 shown]
	v_mov_b32_e32 v120, v144
	v_dual_mov_b32 v116, v44 :: v_dual_mov_b32 v87, v123
	v_mov_b32_e32 v114, v138
	v_dual_mov_b32 v98, v134 :: v_dual_mov_b32 v75, v111
	v_dual_mov_b32 v88, v124 :: v_dual_mov_b32 v89, v125
	;; [unrolled: 1-line block ×3, first 2 shown]
	v_mov_b32_e32 v86, v122
	v_dual_mov_b32 v90, v126 :: v_dual_mov_b32 v91, v127
	v_dual_mov_b32 v92, v128 :: v_dual_mov_b32 v93, v129
	v_dual_mov_b32 v94, v130 :: v_dual_mov_b32 v95, v131
	v_dual_mov_b32 v82, v118 :: v_dual_mov_b32 v83, v119
	v_dual_mov_b32 v80, v116 :: v_dual_mov_b32 v81, v117
	v_dual_mov_b32 v84, v120 :: v_dual_mov_b32 v85, v121
	v_dual_mov_b32 v93, v57 :: v_dual_mov_b32 v76, v112
	v_dual_mov_b32 v77, v113 :: v_dual_mov_b32 v78, v114
	v_mov_b32_e32 v79, v115
	v_mov_b32_e32 v81, v45
	v_dual_mov_b32 v63, v87 :: v_dual_mov_b32 v66, v90
	v_dual_mov_b32 v64, v88 :: v_dual_mov_b32 v73, v97
	;; [unrolled: 1-line block ×9, first 2 shown]
	v_mov_b32_e32 v108, v84
	v_dual_mov_b32 v106, v46 :: v_dual_mov_b32 v3, v63
	v_dual_mov_b32 v105, v81 :: v_dual_mov_b32 v104, v80
	;; [unrolled: 1-line block ×19, first 2 shown]
	v_mov_b32_e32 v26, v50
	v_mov_b32_e32 v43, v42
	;; [unrolled: 1-line block ×3, first 2 shown]
	s_clause 0x2
	scratch_store_b128 off, v[171:174], off offset:48
	scratch_store_b128 off, v[175:178], off offset:64
	;; [unrolled: 1-line block ×3, first 2 shown]
.LBB212_53:
	s_or_b32 exec_lo, exec_lo, s2
	v_mov_b32_e32 v2, v32
	s_mov_b32 s2, exec_lo
	v_cmpx_lt_f32_e32 v1, v32
	s_cbranch_execz .LBB212_55
; %bb.54:
	s_clause 0x2
	scratch_load_b128 v[2:5], off, off offset:48
	scratch_load_b128 v[6:9], off, off offset:64
	;; [unrolled: 1-line block ×3, first 2 shown]
	v_dual_mov_b32 v163, v56 :: v_dual_mov_b32 v56, v55
	s_waitcnt vmcnt(0)
	v_dual_mov_b32 v31, v32 :: v_dual_mov_b32 v146, v13
	v_dual_mov_b32 v138, v5 :: v_dual_mov_b32 v137, v4
	;; [unrolled: 1-line block ×6, first 2 shown]
	v_mov_b32_e32 v139, v44
	v_dual_mov_b32 v123, v159 :: v_dual_mov_b32 v124, v160
	v_dual_mov_b32 v125, v161 :: v_dual_mov_b32 v128, v164
	;; [unrolled: 1-line block ×12, first 2 shown]
	v_mov_b32_e32 v120, v144
	v_mov_b32_e32 v116, v43
	v_dual_mov_b32 v87, v123 :: v_dual_mov_b32 v88, v124
	v_dual_mov_b32 v89, v125 :: v_dual_mov_b32 v98, v134
	;; [unrolled: 1-line block ×12, first 2 shown]
	v_mov_b32_e32 v79, v115
	v_mov_b32_e32 v81, v45
	v_dual_mov_b32 v63, v87 :: v_dual_mov_b32 v66, v90
	v_dual_mov_b32 v64, v88 :: v_dual_mov_b32 v73, v97
	;; [unrolled: 1-line block ×8, first 2 shown]
	v_mov_b32_e32 v70, v58
	v_dual_mov_b32 v106, v46 :: v_dual_mov_b32 v65, v89
	v_dual_mov_b32 v68, v92 :: v_dual_mov_b32 v105, v81
	;; [unrolled: 1-line block ×4, first 2 shown]
	v_mov_b32_e32 v100, v76
	v_dual_mov_b32 v32, v1 :: v_dual_mov_b32 v3, v63
	v_dual_mov_b32 v14, v74 :: v_dual_mov_b32 v15, v99
	v_mov_b32_e32 v26, v110
	v_dual_mov_b32 v10, v70 :: v_dual_mov_b32 v11, v71
	v_dual_mov_b32 v12, v72 :: v_dual_mov_b32 v13, v73
	;; [unrolled: 1-line block ×20, first 2 shown]
	v_mov_b32_e32 v2, v1
	v_mov_b32_e32 v44, v43
.LBB212_55:
	s_or_b32 exec_lo, exec_lo, s2
	v_mov_b32_e32 v1, v33
	s_mov_b32 s2, exec_lo
	v_cmpx_lt_f32_e32 v2, v33
	s_cbranch_execz .LBB212_57
; %bb.56:
	v_mov_b32_e32 v140, v45
	v_dual_mov_b32 v152, v57 :: v_dual_mov_b32 v75, v135
	v_dual_mov_b32 v87, v147 :: v_dual_mov_b32 v90, v150
	;; [unrolled: 1-line block ×3, first 2 shown]
	s_delay_alu instid0(VALU_DEP_3)
	v_dual_mov_b32 v92, v152 :: v_dual_mov_b32 v93, v153
	v_dual_mov_b32 v76, v136 :: v_dual_mov_b32 v79, v139
	;; [unrolled: 1-line block ×6, first 2 shown]
	v_mov_b32_e32 v93, v56
	v_dual_mov_b32 v84, v144 :: v_dual_mov_b32 v63, v87
	v_dual_mov_b32 v78, v138 :: v_dual_mov_b32 v81, v141
	;; [unrolled: 1-line block ×5, first 2 shown]
	s_delay_alu instid0(VALU_DEP_3) | instskip(SKIP_1) | instid1(VALU_DEP_4)
	v_dual_mov_b32 v110, v86 :: v_dual_mov_b32 v109, v85
	v_dual_mov_b32 v100, v76 :: v_dual_mov_b32 v99, v75
	;; [unrolled: 1-line block ×11, first 2 shown]
	v_mov_b32_e32 v106, v46
	v_dual_mov_b32 v70, v58 :: v_dual_mov_b32 v15, v99
	v_dual_mov_b32 v3, v63 :: v_dual_mov_b32 v24, v108
	;; [unrolled: 1-line block ×3, first 2 shown]
	s_delay_alu instid0(VALU_DEP_3)
	v_dual_mov_b32 v10, v70 :: v_dual_mov_b32 v11, v71
	v_dual_mov_b32 v12, v72 :: v_dual_mov_b32 v13, v73
	;; [unrolled: 1-line block ×26, first 2 shown]
	v_mov_b32_e32 v1, v2
	v_dual_mov_b32 v134, v158 :: v_dual_mov_b32 v45, v44
	v_mov_b32_e32 v57, v56
.LBB212_57:
	s_or_b32 exec_lo, exec_lo, s2
	v_mov_b32_e32 v2, v34
	s_mov_b32 s2, exec_lo
	v_cmpx_lt_f32_e32 v1, v34
	s_cbranch_execz .LBB212_59
; %bb.58:
	v_mov_b32_e32 v129, v58
	v_dual_mov_b32 v63, v123 :: v_dual_mov_b32 v70, v130
	v_dual_mov_b32 v70, v57 :: v_dual_mov_b32 v71, v131
	;; [unrolled: 1-line block ×22, first 2 shown]
	v_mov_b32_e32 v34, v1
	v_dual_mov_b32 v5, v65 :: v_dual_mov_b32 v6, v66
	v_dual_mov_b32 v7, v67 :: v_dual_mov_b32 v8, v68
	;; [unrolled: 1-line block ×20, first 2 shown]
	v_mov_b32_e32 v2, v1
	v_mov_b32_e32 v46, v45
	;; [unrolled: 1-line block ×3, first 2 shown]
.LBB212_59:
	s_or_b32 exec_lo, exec_lo, s2
	v_mov_b32_e32 v1, v35
	s_mov_b32 s2, exec_lo
	v_cmpx_lt_f32_e32 v2, v35
	s_cbranch_execz .LBB212_61
; %bb.60:
	v_mov_b32_e32 v94, v59
	v_dual_mov_b32 v34, v35 :: v_dual_mov_b32 v35, v2
	v_mov_b32_e32 v82, v47
	v_dual_mov_b32 v3, v87 :: v_dual_mov_b32 v4, v88
	v_dual_mov_b32 v12, v96 :: v_dual_mov_b32 v9, v93
	;; [unrolled: 1-line block ×13, first 2 shown]
	v_mov_b32_e32 v7, v91
	v_mov_b32_e32 v11, v58
	v_dual_mov_b32 v14, v62 :: v_dual_mov_b32 v17, v77
	v_dual_mov_b32 v16, v76 :: v_dual_mov_b32 v19, v79
	;; [unrolled: 1-line block ×14, first 2 shown]
	v_mov_b32_e32 v47, v46
	v_mov_b32_e32 v59, v58
	;; [unrolled: 1-line block ×3, first 2 shown]
.LBB212_61:
	s_or_b32 exec_lo, exec_lo, s2
	v_mov_b32_e32 v39, v36
	s_mov_b32 s2, exec_lo
	v_cmpx_lt_f32_e32 v1, v36
	s_cbranch_execz .LBB212_63
; %bb.62:
	v_dual_mov_b32 v71, v60 :: v_dual_mov_b32 v72, v59
	v_dual_mov_b32 v73, v61 :: v_dual_mov_b32 v108, v47
	;; [unrolled: 1-line block ×17, first 2 shown]
	v_mov_b32_e32 v39, v1
.LBB212_63:
	s_or_b32 exec_lo, exec_lo, s2
	s_delay_alu instid0(VALU_DEP_1)
	v_cmp_lt_f32_e32 vcc_lo, v39, v37
	v_dual_mov_b32 v40, v28 :: v_dual_mov_b32 v43, v31
	v_dual_mov_b32 v42, v30 :: v_dual_mov_b32 v45, v33
	v_dual_cndmask_b32 v1, v25, v24 :: v_dual_cndmask_b32 v24, v24, v25
	v_cndmask_b32_e32 v2, v13, v12, vcc_lo
	v_dual_cndmask_b32 v12, v12, v13 :: v_dual_cndmask_b32 v49, v37, v39
	v_dual_cndmask_b32 v48, v36, v37 :: v_dual_mov_b32 v41, v29
	v_dual_mov_b32 v39, v27 :: v_dual_mov_b32 v44, v32
	v_dual_mov_b32 v47, v35 :: v_dual_mov_b32 v46, v34
	v_mov_b32_e32 v50, v38
	s_mov_b32 s2, exec_lo
	v_cmpx_lt_f32_e32 v27, v28
	s_cbranch_execz .LBB212_65
; %bb.64:
	v_dual_mov_b32 v28, v40 :: v_dual_mov_b32 v29, v39
	v_dual_mov_b32 v38, v49 :: v_dual_mov_b32 v39, v50
	;; [unrolled: 1-line block ×6, first 2 shown]
	v_mov_b32_e32 v50, v39
	v_mov_b32_e32 v13, v15
	v_dual_mov_b32 v25, v3 :: v_dual_mov_b32 v44, v33
	v_swap_b32 v15, v16
	v_swap_b32 v3, v4
	v_dual_mov_b32 v49, v38 :: v_dual_mov_b32 v46, v35
	v_dual_mov_b32 v48, v37 :: v_dual_mov_b32 v47, v36
	;; [unrolled: 1-line block ×4, first 2 shown]
	v_mov_b32_e32 v41, v30
	v_dual_mov_b32 v39, v28 :: v_dual_mov_b32 v28, v27
.LBB212_65:
	s_or_b32 exec_lo, exec_lo, s2
	v_mov_b32_e32 v13, v2
	v_dual_mov_b32 v25, v1 :: v_dual_mov_b32 v62, v14
	v_dual_mov_b32 v74, v26 :: v_dual_mov_b32 v63, v15
	v_mov_b32_e32 v86, v26
	v_dual_mov_b32 v72, v24 :: v_dual_mov_b32 v75, v15
	v_dual_mov_b32 v110, v26 :: v_dual_mov_b32 v53, v5
	;; [unrolled: 1-line block ×61, first 2 shown]
	v_mov_b32_e32 v149, v5
	v_mov_b32_e32 v147, v3
	;; [unrolled: 1-line block ×3, first 2 shown]
	s_mov_b32 s2, exec_lo
	v_dual_mov_b32 v85, v25 :: v_dual_mov_b32 v84, v24
	v_dual_mov_b32 v83, v23 :: v_dual_mov_b32 v82, v22
	s_clause 0x2
	scratch_store_b128 off, v[3:6], off
	scratch_store_b128 off, v[7:10], off offset:16
	scratch_store_b128 off, v[11:14], off offset:32
	v_cmpx_lt_f32_e32 v28, v41
	s_cbranch_execz .LBB212_67
; %bb.66:
	v_dual_mov_b32 v158, v14 :: v_dual_mov_b32 v157, v13
	v_dual_mov_b32 v150, v6 :: v_dual_mov_b32 v149, v5
	;; [unrolled: 1-line block ×7, first 2 shown]
	s_clause 0x2
	scratch_store_b128 off, v[147:150], off
	scratch_store_b128 off, v[151:154], off offset:16
	scratch_store_b128 off, v[155:158], off offset:32
	v_dual_mov_b32 v182, v26 :: v_dual_mov_b32 v181, v25
	v_dual_mov_b32 v172, v16 :: v_dual_mov_b32 v171, v15
	;; [unrolled: 1-line block ×8, first 2 shown]
	s_delay_alu instid0(VALU_DEP_4) | instskip(SKIP_1) | instid1(VALU_DEP_4)
	v_dual_mov_b32 v160, v172 :: v_dual_mov_b32 v161, v173
	v_dual_mov_b32 v162, v174 :: v_dual_mov_b32 v163, v175
	;; [unrolled: 1-line block ×4, first 2 shown]
	v_mov_b32_e32 v170, v182
	v_dual_mov_b32 v166, v178 :: v_dual_mov_b32 v167, v179
	v_mov_b32_e32 v162, v18
	v_dual_mov_b32 v40, v41 :: v_dual_mov_b32 v41, v28
	v_mov_b32_e32 v5, v4
	v_mov_b32_e32 v17, v16
	;; [unrolled: 1-line block ×3, first 2 shown]
	v_dual_mov_b32 v137, v149 :: v_dual_mov_b32 v144, v156
	v_dual_mov_b32 v123, v159 :: v_dual_mov_b32 v136, v148
	;; [unrolled: 1-line block ×12, first 2 shown]
	v_mov_b32_e32 v133, v169
	v_dual_mov_b32 v111, v135 :: v_dual_mov_b32 v112, v136
	v_dual_mov_b32 v99, v123 :: v_dual_mov_b32 v100, v124
	;; [unrolled: 1-line block ×12, first 2 shown]
	v_mov_b32_e32 v104, v20
	v_dual_mov_b32 v116, v8 :: v_dual_mov_b32 v75, v99
	v_mov_b32_e32 v87, v111
	v_dual_mov_b32 v93, v117 :: v_dual_mov_b32 v78, v102
	s_delay_alu instid0(VALU_DEP_3)
	v_dual_mov_b32 v81, v105 :: v_dual_mov_b32 v92, v116
	v_dual_mov_b32 v90, v114 :: v_dual_mov_b32 v91, v115
	;; [unrolled: 1-line block ×11, first 2 shown]
	v_mov_b32_e32 v51, v87
	v_dual_mov_b32 v63, v75 :: v_dual_mov_b32 v66, v78
	v_dual_mov_b32 v55, v91 :: v_dual_mov_b32 v58, v94
	;; [unrolled: 1-line block ×14, first 2 shown]
	v_mov_b32_e32 v72, v24
	v_dual_mov_b32 v62, v14 :: v_dual_mov_b32 v71, v23
	v_dual_mov_b32 v70, v22 :: v_dual_mov_b32 v73, v1
	v_mov_b32_e32 v74, v26
.LBB212_67:
	s_or_b32 exec_lo, exec_lo, s2
	v_mov_b32_e32 v3, v42
	v_cmp_lt_f32_e32 vcc_lo, v13, v42
	s_mov_b32 s2, exec_lo
	s_clause 0x2
	scratch_load_b128 v[27:30], off, off
	scratch_load_b128 v[31:34], off, off offset:16
	scratch_load_b128 v[35:38], off, off offset:32
	s_and_b32 s3, s2, vcc_lo
	s_delay_alu instid0(SALU_CYCLE_1)
	s_mov_b32 exec_lo, s3
	s_cbranch_execz .LBB212_69
; %bb.68:
	v_mov_b32_e32 v173, v18
	s_waitcnt vmcnt(2)
	v_mov_b32_e32 v29, v6
	v_dual_mov_b32 v159, v171 :: v_dual_mov_b32 v160, v172
	s_waitcnt vmcnt(0)
	v_dual_mov_b32 v158, v38 :: v_dual_mov_b32 v157, v37
	v_dual_mov_b32 v156, v36 :: v_dual_mov_b32 v147, v27
	;; [unrolled: 1-line block ×6, first 2 shown]
	v_mov_b32_e32 v168, v180
	v_dual_mov_b32 v164, v176 :: v_dual_mov_b32 v165, v177
	v_dual_mov_b32 v170, v182 :: v_dual_mov_b32 v155, v35
	;; [unrolled: 1-line block ×4, first 2 shown]
	v_mov_b32_e32 v150, v5
	v_mov_b32_e32 v169, v181
	v_dual_mov_b32 v162, v17 :: v_dual_mov_b32 v135, v147
	v_dual_mov_b32 v136, v148 :: v_dual_mov_b32 v123, v159
	;; [unrolled: 1-line block ×13, first 2 shown]
	v_mov_b32_e32 v139, v7
	v_dual_mov_b32 v99, v123 :: v_dual_mov_b32 v100, v124
	v_dual_mov_b32 v111, v135 :: v_dual_mov_b32 v114, v138
	;; [unrolled: 1-line block ×4, first 2 shown]
	v_mov_b32_e32 v120, v144
	v_dual_mov_b32 v104, v128 :: v_dual_mov_b32 v105, v129
	v_dual_mov_b32 v110, v134 :: v_dual_mov_b32 v115, v139
	v_dual_mov_b32 v118, v142 :: v_dual_mov_b32 v119, v143
	v_dual_mov_b32 v122, v146 :: v_dual_mov_b32 v121, v145
	v_dual_mov_b32 v102, v126 :: v_dual_mov_b32 v101, v125
	v_dual_mov_b32 v106, v130 :: v_dual_mov_b32 v103, v127
	v_dual_mov_b32 v108, v132 :: v_dual_mov_b32 v107, v131
	v_dual_mov_b32 v116, v8 :: v_dual_mov_b32 v109, v133
	v_dual_mov_b32 v104, v20 :: v_dual_mov_b32 v87, v111
	v_dual_mov_b32 v88, v112 :: v_dual_mov_b32 v75, v99
	v_dual_mov_b32 v76, v100 :: v_dual_mov_b32 v93, v117
	v_dual_mov_b32 v94, v118 :: v_dual_mov_b32 v81, v105
	v_dual_mov_b32 v82, v106 :: v_dual_mov_b32 v89, v113
	v_dual_mov_b32 v90, v114 :: v_dual_mov_b32 v91, v115
	v_dual_mov_b32 v92, v116 :: v_dual_mov_b32 v95, v119
	v_dual_mov_b32 v96, v120 :: v_dual_mov_b32 v97, v121
	v_dual_mov_b32 v98, v122 :: v_dual_mov_b32 v77, v101
	v_dual_mov_b32 v78, v102 :: v_dual_mov_b32 v79, v103
	v_dual_mov_b32 v80, v104 :: v_dual_mov_b32 v83, v107
	v_dual_mov_b32 v84, v108 :: v_dual_mov_b32 v85, v109
	v_dual_mov_b32 v86, v110 :: v_dual_mov_b32 v81, v21
	v_mov_b32_e32 v93, v9
	v_dual_mov_b32 v63, v75 :: v_dual_mov_b32 v64, v76
	v_dual_mov_b32 v51, v87 :: v_dual_mov_b32 v54, v90
	;; [unrolled: 1-line block ×3, first 2 shown]
	s_delay_alu instid0(VALU_DEP_4)
	v_dual_mov_b32 v58, v94 :: v_dual_mov_b32 v57, v93
	v_dual_mov_b32 v60, v96 :: v_dual_mov_b32 v59, v95
	;; [unrolled: 1-line block ×9, first 2 shown]
	v_mov_b32_e32 v42, v13
	v_dual_mov_b32 v53, v89 :: v_dual_mov_b32 v56, v92
	v_dual_mov_b32 v68, v80 :: v_dual_mov_b32 v59, v11
	v_mov_b32_e32 v62, v14
	v_dual_mov_b32 v61, v2 :: v_dual_mov_b32 v72, v24
	v_dual_mov_b32 v70, v22 :: v_dual_mov_b32 v71, v23
	;; [unrolled: 1-line block ×3, first 2 shown]
	v_mov_b32_e32 v3, v13
	v_mov_b32_e32 v18, v17
	v_mov_b32_e32 v6, v5
.LBB212_69:
	s_or_b32 exec_lo, exec_lo, s2
	v_mov_b32_e32 v4, v43
	s_mov_b32 s2, exec_lo
	v_cmpx_lt_f32_e32 v3, v43
	s_cbranch_execz .LBB212_71
; %bb.70:
	v_mov_b32_e32 v174, v19
	s_waitcnt vmcnt(2)
	v_mov_b32_e32 v30, v7
	v_mov_b32_e32 v123, v171
	s_waitcnt vmcnt(0)
	v_dual_mov_b32 v125, v173 :: v_dual_mov_b32 v146, v38
	s_delay_alu instid0(VALU_DEP_3)
	v_dual_mov_b32 v143, v35 :: v_dual_mov_b32 v138, v30
	v_mov_b32_e32 v135, v27
	v_dual_mov_b32 v145, v37 :: v_dual_mov_b32 v142, v34
	v_dual_mov_b32 v139, v31 :: v_dual_mov_b32 v136, v28
	;; [unrolled: 1-line block ×6, first 2 shown]
	v_mov_b32_e32 v139, v6
	v_dual_mov_b32 v127, v18 :: v_dual_mov_b32 v124, v172
	v_dual_mov_b32 v126, v174 :: v_dual_mov_b32 v129, v177
	;; [unrolled: 1-line block ×15, first 2 shown]
	v_mov_b32_e32 v110, v134
	v_mov_b32_e32 v104, v20
	v_dual_mov_b32 v116, v8 :: v_dual_mov_b32 v75, v99
	v_mov_b32_e32 v87, v111
	v_dual_mov_b32 v93, v117 :: v_dual_mov_b32 v78, v102
	s_delay_alu instid0(VALU_DEP_3)
	v_dual_mov_b32 v81, v105 :: v_dual_mov_b32 v92, v116
	v_dual_mov_b32 v80, v104 :: v_dual_mov_b32 v83, v107
	;; [unrolled: 1-line block ×11, first 2 shown]
	v_mov_b32_e32 v63, v75
	s_delay_alu instid0(VALU_DEP_3)
	v_dual_mov_b32 v51, v87 :: v_dual_mov_b32 v54, v90
	v_dual_mov_b32 v71, v83 :: v_dual_mov_b32 v72, v84
	;; [unrolled: 1-line block ×14, first 2 shown]
	v_mov_b32_e32 v68, v80
	v_dual_mov_b32 v58, v10 :: v_dual_mov_b32 v59, v11
	v_dual_mov_b32 v60, v12 :: v_dual_mov_b32 v61, v2
	;; [unrolled: 1-line block ×14, first 2 shown]
	v_mov_b32_e32 v150, v30
	v_dual_mov_b32 v148, v28 :: v_dual_mov_b32 v19, v18
	v_dual_mov_b32 v4, v3 :: v_dual_mov_b32 v7, v6
.LBB212_71:
	s_or_b32 exec_lo, exec_lo, s2
	v_mov_b32_e32 v3, v44
	s_mov_b32 s2, exec_lo
	s_delay_alu instid0(VALU_DEP_2)
	v_cmpx_lt_f32_e32 v4, v44
	s_cbranch_execz .LBB212_73
; %bb.72:
	v_mov_b32_e32 v163, v20
	v_mov_b32_e32 v151, v8
	v_dual_mov_b32 v99, v159 :: v_dual_mov_b32 v102, v162
	v_dual_mov_b32 v111, v147 :: v_dual_mov_b32 v112, v148
	;; [unrolled: 1-line block ×10, first 2 shown]
	v_mov_b32_e32 v108, v168
	v_dual_mov_b32 v104, v164 :: v_dual_mov_b32 v109, v169
	v_mov_b32_e32 v116, v7
	v_mov_b32_e32 v107, v167
	;; [unrolled: 1-line block ×3, first 2 shown]
	v_dual_mov_b32 v87, v111 :: v_dual_mov_b32 v90, v114
	v_dual_mov_b32 v88, v112 :: v_dual_mov_b32 v89, v113
	;; [unrolled: 1-line block ×12, first 2 shown]
	v_mov_b32_e32 v93, v9
	v_mov_b32_e32 v43, v44
	v_dual_mov_b32 v44, v4 :: v_dual_mov_b32 v81, v21
	v_dual_mov_b32 v51, v87 :: v_dual_mov_b32 v56, v92
	v_dual_mov_b32 v52, v88 :: v_dual_mov_b32 v63, v75
	v_dual_mov_b32 v68, v80 :: v_dual_mov_b32 v53, v89
	v_dual_mov_b32 v58, v94 :: v_dual_mov_b32 v55, v91
	v_dual_mov_b32 v60, v96 :: v_dual_mov_b32 v57, v93
	v_dual_mov_b32 v62, v98 :: v_dual_mov_b32 v59, v95
	v_dual_mov_b32 v64, v76 :: v_dual_mov_b32 v61, v97
	v_dual_mov_b32 v66, v78 :: v_dual_mov_b32 v65, v77
	v_dual_mov_b32 v70, v82 :: v_dual_mov_b32 v67, v79
	v_dual_mov_b32 v72, v84 :: v_dual_mov_b32 v69, v81
	v_dual_mov_b32 v74, v86 :: v_dual_mov_b32 v71, v83
	v_dual_mov_b32 v58, v10 :: v_dual_mov_b32 v73, v85
	v_dual_mov_b32 v60, v12 :: v_dual_mov_b32 v123, v159
	v_dual_mov_b32 v124, v160 :: v_dual_mov_b32 v135, v147
	v_mov_b32_e32 v136, v148
	v_dual_mov_b32 v54, v90 :: v_dual_mov_b32 v59, v11
	v_mov_b32_e32 v62, v14
	v_dual_mov_b32 v61, v2 :: v_dual_mov_b32 v72, v24
	v_dual_mov_b32 v70, v22 :: v_dual_mov_b32 v71, v23
	;; [unrolled: 1-line block ×14, first 2 shown]
	v_mov_b32_e32 v8, v7
.LBB212_73:
	s_or_b32 exec_lo, exec_lo, s2
	v_mov_b32_e32 v4, v45
	s_mov_b32 s2, exec_lo
	v_cmpx_lt_f32_e32 v3, v45
	s_cbranch_execz .LBB212_75
; %bb.74:
	v_mov_b32_e32 v140, v9
	v_dual_mov_b32 v128, v21 :: v_dual_mov_b32 v87, v135
	v_mov_b32_e32 v93, v141
	v_dual_mov_b32 v93, v8 :: v_dual_mov_b32 v94, v142
	v_dual_mov_b32 v96, v144 :: v_dual_mov_b32 v97, v145
	v_mov_b32_e32 v98, v146
	v_dual_mov_b32 v44, v45 :: v_dual_mov_b32 v75, v123
	v_dual_mov_b32 v84, v132 :: v_dual_mov_b32 v85, v133
	;; [unrolled: 1-line block ×8, first 2 shown]
	v_mov_b32_e32 v81, v20
	v_dual_mov_b32 v51, v87 :: v_dual_mov_b32 v52, v88
	v_dual_mov_b32 v76, v124 :: v_dual_mov_b32 v77, v125
	;; [unrolled: 1-line block ×30, first 2 shown]
	v_mov_b32_e32 v120, v144
	v_dual_mov_b32 v122, v146 :: v_dual_mov_b32 v21, v20
	v_dual_mov_b32 v4, v3 :: v_dual_mov_b32 v9, v8
.LBB212_75:
	s_or_b32 exec_lo, exec_lo, s2
	v_mov_b32_e32 v3, v46
	s_mov_b32 s2, exec_lo
	s_delay_alu instid0(VALU_DEP_2)
	v_cmpx_lt_f32_e32 v4, v46
	s_cbranch_execz .LBB212_77
; %bb.76:
	v_mov_b32_e32 v117, v10
	v_dual_mov_b32 v45, v46 :: v_dual_mov_b32 v46, v4
	v_mov_b32_e32 v105, v22
	v_dual_mov_b32 v51, v111 :: v_dual_mov_b32 v54, v114
	v_dual_mov_b32 v56, v116 :: v_dual_mov_b32 v63, v99
	;; [unrolled: 1-line block ×6, first 2 shown]
	v_mov_b32_e32 v58, v9
	v_dual_mov_b32 v61, v121 :: v_dual_mov_b32 v60, v12
	v_dual_mov_b32 v67, v103 :: v_dual_mov_b32 v70, v106
	;; [unrolled: 1-line block ×8, first 2 shown]
	v_mov_b32_e32 v62, v14
	v_dual_mov_b32 v61, v2 :: v_dual_mov_b32 v64, v100
	v_dual_mov_b32 v65, v101 :: v_dual_mov_b32 v68, v104
	;; [unrolled: 1-line block ×15, first 2 shown]
	v_mov_b32_e32 v98, v122
.LBB212_77:
	s_or_b32 exec_lo, exec_lo, s2
	v_mov_b32_e32 v4, v47
	s_mov_b32 s2, exec_lo
	v_cmpx_lt_f32_e32 v3, v47
	s_cbranch_execz .LBB212_79
; %bb.78:
	v_dual_mov_b32 v84, v24 :: v_dual_mov_b32 v85, v1
	v_dual_mov_b32 v94, v11 :: v_dual_mov_b32 v95, v10
	;; [unrolled: 1-line block ×4, first 2 shown]
	v_mov_b32_e32 v86, v26
	v_mov_b32_e32 v46, v47
	v_dual_mov_b32 v47, v3 :: v_dual_mov_b32 v98, v14
	v_dual_mov_b32 v63, v75 :: v_dual_mov_b32 v72, v84
	;; [unrolled: 1-line block ×3, first 2 shown]
	v_mov_b32_e32 v67, v79
	v_dual_mov_b32 v65, v77 :: v_dual_mov_b32 v66, v78
	v_dual_mov_b32 v69, v81 :: v_dual_mov_b32 v68, v80
	;; [unrolled: 1-line block ×9, first 2 shown]
	v_mov_b32_e32 v62, v98
	v_mov_b32_e32 v4, v3
.LBB212_79:
	s_or_b32 exec_lo, exec_lo, s2
	s_delay_alu instid0(VALU_DEP_1)
	v_cmp_lt_f32_e32 vcc_lo, v4, v48
	v_dual_mov_b32 v3, v41 :: v_dual_mov_b32 v8, v46
	v_dual_mov_b32 v5, v43 :: v_dual_mov_b32 v12, v50
	s_waitcnt vmcnt(0)
	v_cndmask_b32_e32 v37, v72, v71, vcc_lo
	v_dual_cndmask_b32 v71, v71, v72 :: v_dual_cndmask_b32 v38, v60, v59
	v_dual_cndmask_b32 v59, v59, v60 :: v_dual_mov_b32 v2, v40
	v_dual_cndmask_b32 v10, v48, v4 :: v_dual_mov_b32 v1, v39
	;; [unrolled: 1-line block ×3, first 2 shown]
	v_dual_mov_b32 v4, v42 :: v_dual_mov_b32 v7, v45
	v_mov_b32_e32 v11, v49
	s_mov_b32 s2, exec_lo
	v_cmpx_lt_f32_e32 v39, v40
	s_cbranch_execz .LBB212_81
; %bb.80:
	v_dual_mov_b32 v13, v2 :: v_dual_mov_b32 v14, v1
	v_dual_mov_b32 v15, v3 :: v_dual_mov_b32 v16, v4
	;; [unrolled: 1-line block ×6, first 2 shown]
	v_mov_b32_e32 v25, v63
	v_dual_mov_b32 v26, v51 :: v_dual_mov_b32 v1, v13
	v_swap_b32 v63, v64
	v_swap_b32 v51, v52
	v_dual_mov_b32 v2, v14 :: v_dual_mov_b32 v3, v15
	v_dual_mov_b32 v4, v16 :: v_dual_mov_b32 v5, v17
	;; [unrolled: 1-line block ×5, first 2 shown]
	v_mov_b32_e32 v12, v24
	v_mov_b32_e32 v40, v39
.LBB212_81:
	s_or_b32 exec_lo, exec_lo, s2
	v_mov_b32_e32 v60, v38
	v_dual_mov_b32 v72, v37 :: v_dual_mov_b32 v13, v51
	v_dual_mov_b32 v25, v63 :: v_dual_mov_b32 v98, v74
	;; [unrolled: 1-line block ×60, first 2 shown]
	s_mov_b32 s2, exec_lo
	v_dual_mov_b32 v96, v72 :: v_dual_mov_b32 v93, v69
	v_cmpx_lt_f32_e32 v40, v3
	s_cbranch_execz .LBB212_83
; %bb.82:
	v_dual_mov_b32 v134, v62 :: v_dual_mov_b32 v133, v61
	v_dual_mov_b32 v124, v52 :: v_dual_mov_b32 v123, v51
	v_mov_b32_e32 v124, v53
	v_dual_mov_b32 v128, v56 :: v_dual_mov_b32 v127, v55
	v_dual_mov_b32 v132, v60 :: v_dual_mov_b32 v131, v59
	;; [unrolled: 1-line block ×11, first 2 shown]
	v_mov_b32_e32 v141, v69
	v_dual_mov_b32 v136, v65 :: v_dual_mov_b32 v137, v64
	v_dual_mov_b32 v160, v124 :: v_dual_mov_b32 v159, v123
	;; [unrolled: 1-line block ×40, first 2 shown]
	v_mov_b32_e32 v22, v84
	v_dual_mov_b32 v22, v38 :: v_dual_mov_b32 v25, v87
	v_dual_mov_b32 v16, v78 :: v_dual_mov_b32 v19, v81
	;; [unrolled: 1-line block ×16, first 2 shown]
	v_mov_b32_e32 v35, v73
	v_dual_mov_b32 v34, v37 :: v_dual_mov_b32 v39, v40
	v_dual_mov_b32 v36, v74 :: v_dual_mov_b32 v65, v64
	v_mov_b32_e32 v53, v52
.LBB212_83:
	s_or_b32 exec_lo, exec_lo, s2
	v_mov_b32_e32 v40, v4
	s_mov_b32 s2, exec_lo
	v_cmpx_lt_f32_e32 v39, v4
	s_cbranch_execz .LBB212_85
; %bb.84:
	v_mov_b32_e32 v137, v66
	v_mov_b32_e32 v125, v54
	;; [unrolled: 1-line block ×4, first 2 shown]
	v_dual_mov_b32 v170, v134 :: v_dual_mov_b32 v169, v133
	v_dual_mov_b32 v168, v132 :: v_dual_mov_b32 v159, v123
	;; [unrolled: 1-line block ×9, first 2 shown]
	v_mov_b32_e32 v157, v145
	v_dual_mov_b32 v155, v143 :: v_dual_mov_b32 v152, v140
	v_mov_b32_e32 v162, v53
	v_mov_b32_e32 v149, v137
	v_dual_mov_b32 v150, v65 :: v_dual_mov_b32 v111, v159
	v_dual_mov_b32 v112, v160 :: v_dual_mov_b32 v99, v147
	;; [unrolled: 1-line block ×13, first 2 shown]
	v_mov_b32_e32 v115, v55
	v_dual_mov_b32 v87, v99 :: v_dual_mov_b32 v88, v100
	v_dual_mov_b32 v75, v111 :: v_dual_mov_b32 v78, v114
	;; [unrolled: 1-line block ×3, first 2 shown]
	s_delay_alu instid0(VALU_DEP_4)
	v_dual_mov_b32 v80, v116 :: v_dual_mov_b32 v79, v115
	v_dual_mov_b32 v82, v118 :: v_dual_mov_b32 v81, v117
	;; [unrolled: 1-line block ×6, first 2 shown]
	v_mov_b32_e32 v96, v108
	v_dual_mov_b32 v92, v104 :: v_dual_mov_b32 v93, v105
	v_dual_mov_b32 v98, v110 :: v_dual_mov_b32 v95, v107
	;; [unrolled: 1-line block ×21, first 2 shown]
	v_mov_b32_e32 v34, v37
	v_dual_mov_b32 v35, v73 :: v_dual_mov_b32 v36, v74
	v_mov_b32_e32 v40, v39
	v_mov_b32_e32 v66, v65
	;; [unrolled: 1-line block ×3, first 2 shown]
.LBB212_85:
	s_or_b32 exec_lo, exec_lo, s2
	v_mov_b32_e32 v39, v5
	s_mov_b32 s2, exec_lo
	v_cmpx_lt_f32_e32 v40, v5
	s_cbranch_execz .LBB212_87
; %bb.86:
	v_mov_b32_e32 v126, v55
	v_mov_b32_e32 v111, v123
	;; [unrolled: 1-line block ×3, first 2 shown]
	v_dual_mov_b32 v115, v54 :: v_dual_mov_b32 v116, v128
	v_dual_mov_b32 v138, v67 :: v_dual_mov_b32 v113, v125
	v_mov_b32_e32 v112, v124
	v_dual_mov_b32 v118, v130 :: v_dual_mov_b32 v119, v131
	v_dual_mov_b32 v120, v132 :: v_dual_mov_b32 v121, v133
	;; [unrolled: 1-line block ×24, first 2 shown]
	v_mov_b32_e32 v22, v84
	v_dual_mov_b32 v22, v38 :: v_dual_mov_b32 v25, v87
	v_dual_mov_b32 v16, v78 :: v_dual_mov_b32 v19, v81
	;; [unrolled: 1-line block ×18, first 2 shown]
	v_mov_b32_e32 v35, v73
	v_dual_mov_b32 v34, v37 :: v_dual_mov_b32 v155, v143
	v_dual_mov_b32 v36, v74 :: v_dual_mov_b32 v157, v145
	;; [unrolled: 1-line block ×12, first 2 shown]
	v_mov_b32_e32 v55, v54
.LBB212_87:
	s_or_b32 exec_lo, exec_lo, s2
	v_mov_b32_e32 v40, v6
	s_mov_b32 s2, exec_lo
	v_cmpx_lt_f32_e32 v39, v6
	s_cbranch_execz .LBB212_89
; %bb.88:
	v_mov_b32_e32 v163, v56
	v_dual_mov_b32 v75, v159 :: v_dual_mov_b32 v80, v164
	v_dual_mov_b32 v80, v55 :: v_dual_mov_b32 v81, v165
	;; [unrolled: 1-line block ×7, first 2 shown]
	v_mov_b32_e32 v85, v169
	v_dual_mov_b32 v89, v149 :: v_dual_mov_b32 v92, v152
	v_dual_mov_b32 v91, v151 :: v_dual_mov_b32 v94, v154
	;; [unrolled: 1-line block ×6, first 2 shown]
	v_mov_b32_e32 v88, v148
	v_mov_b32_e32 v6, v39
	s_delay_alu instid0(VALU_DEP_3) | instskip(NEXT) | instid1(VALU_DEP_3)
	v_dual_mov_b32 v13, v75 :: v_dual_mov_b32 v14, v76
	v_dual_mov_b32 v25, v87 :: v_dual_mov_b32 v26, v88
	;; [unrolled: 1-line block ×30, first 2 shown]
	v_mov_b32_e32 v40, v39
	v_mov_b32_e32 v68, v67
	;; [unrolled: 1-line block ×3, first 2 shown]
.LBB212_89:
	s_or_b32 exec_lo, exec_lo, s2
	v_mov_b32_e32 v39, v7
	s_mov_b32 s2, exec_lo
	v_cmpx_lt_f32_e32 v40, v7
	s_cbranch_execz .LBB212_91
; %bb.90:
	v_mov_b32_e32 v116, v57
	v_dual_mov_b32 v6, v7 :: v_dual_mov_b32 v7, v40
	v_dual_mov_b32 v104, v69 :: v_dual_mov_b32 v13, v111
	v_mov_b32_e32 v22, v120
	v_dual_mov_b32 v22, v38 :: v_dual_mov_b32 v25, v99
	v_mov_b32_e32 v34, v108
	v_dual_mov_b32 v34, v37 :: v_dual_mov_b32 v87, v99
	v_dual_mov_b32 v16, v114 :: v_dual_mov_b32 v19, v117
	;; [unrolled: 1-line block ×12, first 2 shown]
	v_mov_b32_e32 v23, v61
	v_dual_mov_b32 v21, v59 :: v_dual_mov_b32 v24, v62
	v_dual_mov_b32 v27, v101 :: v_dual_mov_b32 v26, v100
	;; [unrolled: 1-line block ×3, first 2 shown]
	v_mov_b32_e32 v35, v73
	v_dual_mov_b32 v33, v71 :: v_dual_mov_b32 v36, v74
	v_dual_mov_b32 v89, v101 :: v_dual_mov_b32 v88, v100
	;; [unrolled: 1-line block ×9, first 2 shown]
	v_mov_b32_e32 v39, v40
	v_mov_b32_e32 v69, v68
	v_dual_mov_b32 v57, v56 :: v_dual_mov_b32 v94, v106
	v_dual_mov_b32 v97, v109 :: v_dual_mov_b32 v82, v118
	;; [unrolled: 1-line block ×3, first 2 shown]
.LBB212_91:
	s_or_b32 exec_lo, exec_lo, s2
	v_mov_b32_e32 v40, v8
	s_mov_b32 s2, exec_lo
	v_cmpx_lt_f32_e32 v39, v8
	s_cbranch_execz .LBB212_93
; %bb.92:
	v_dual_mov_b32 v81, v58 :: v_dual_mov_b32 v82, v57
	v_dual_mov_b32 v83, v59 :: v_dual_mov_b32 v84, v38
	v_dual_mov_b32 v85, v61 :: v_dual_mov_b32 v98, v74
	v_dual_mov_b32 v93, v70 :: v_dual_mov_b32 v94, v69
	v_dual_mov_b32 v95, v71 :: v_dual_mov_b32 v96, v37
	v_dual_mov_b32 v97, v73 :: v_dual_mov_b32 v86, v62
	v_dual_mov_b32 v25, v87 :: v_dual_mov_b32 v26, v88
	v_dual_mov_b32 v13, v75 :: v_dual_mov_b32 v14, v76
	v_dual_mov_b32 v7, v8 :: v_dual_mov_b32 v8, v39
	v_dual_mov_b32 v27, v89 :: v_dual_mov_b32 v28, v90
	v_dual_mov_b32 v29, v91 :: v_dual_mov_b32 v30, v92
	v_dual_mov_b32 v31, v93 :: v_dual_mov_b32 v32, v94
	v_dual_mov_b32 v33, v95 :: v_dual_mov_b32 v34, v96
	v_dual_mov_b32 v35, v97 :: v_dual_mov_b32 v36, v98
	v_dual_mov_b32 v15, v77 :: v_dual_mov_b32 v16, v78
	v_dual_mov_b32 v17, v79 :: v_dual_mov_b32 v18, v80
	v_dual_mov_b32 v19, v81 :: v_dual_mov_b32 v20, v82
	v_dual_mov_b32 v21, v83 :: v_dual_mov_b32 v22, v84
	v_dual_mov_b32 v23, v85 :: v_dual_mov_b32 v24, v86
	v_mov_b32_e32 v40, v39
.LBB212_93:
	s_or_b32 exec_lo, exec_lo, s2
	s_delay_alu instid0(VALU_DEP_1)
	v_cmp_lt_f32_e32 vcc_lo, v40, v9
	v_dual_mov_b32 v38, v2 :: v_dual_mov_b32 v41, v5
	v_dual_mov_b32 v42, v6 :: v_dual_mov_b32 v47, v11
	v_dual_cndmask_b32 v145, v33, v32 :: v_dual_cndmask_b32 v32, v32, v33
	v_dual_cndmask_b32 v146, v21, v20 :: v_dual_mov_b32 v39, v3
	v_dual_cndmask_b32 v20, v20, v21 :: v_dual_cndmask_b32 v45, v9, v40
	v_dual_cndmask_b32 v44, v8, v9 :: v_dual_mov_b32 v37, v1
	v_dual_mov_b32 v40, v4 :: v_dual_mov_b32 v43, v7
	v_mov_b32_e32 v46, v10
	v_mov_b32_e32 v48, v12
	s_mov_b32 s2, exec_lo
	v_cmpx_lt_f32_e32 v1, v2
	s_cbranch_execz .LBB212_95
; %bb.94:
	v_dual_mov_b32 v49, v38 :: v_dual_mov_b32 v50, v37
	v_dual_mov_b32 v51, v39 :: v_dual_mov_b32 v52, v40
	;; [unrolled: 1-line block ×6, first 2 shown]
	v_mov_b32_e32 v3, v25
	v_mov_b32_e32 v4, v13
	v_dual_mov_b32 v37, v49 :: v_dual_mov_b32 v40, v52
	v_swap_b32 v25, v26
	v_swap_b32 v13, v14
	v_dual_mov_b32 v38, v50 :: v_dual_mov_b32 v39, v51
	v_dual_mov_b32 v41, v53 :: v_dual_mov_b32 v42, v54
	;; [unrolled: 1-line block ×5, first 2 shown]
	v_mov_b32_e32 v2, v1
.LBB212_95:
	s_or_b32 exec_lo, exec_lo, s2
	v_mov_b32_e32 v21, v146
	v_dual_mov_b32 v33, v145 :: v_dual_mov_b32 v60, v24
	v_dual_mov_b32 v72, v36 :: v_dual_mov_b32 v61, v25
	;; [unrolled: 1-line block ×43, first 2 shown]
	v_mov_b32_e32 v97, v13
	v_mov_b32_e32 v1, v39
	s_mov_b32 s2, exec_lo
	v_dual_mov_b32 v95, v35 :: v_dual_mov_b32 v94, v34
	v_dual_mov_b32 v93, v33 :: v_dual_mov_b32 v92, v32
	;; [unrolled: 1-line block ×5, first 2 shown]
	v_cmpx_lt_f32_e32 v2, v39
	s_cbranch_execz .LBB212_97
; %bb.96:
	v_dual_mov_b32 v108, v24 :: v_dual_mov_b32 v107, v23
	v_dual_mov_b32 v98, v14 :: v_dual_mov_b32 v97, v13
	v_mov_b32_e32 v98, v15
	v_dual_mov_b32 v104, v20 :: v_dual_mov_b32 v103, v19
	v_dual_mov_b32 v100, v16 :: v_dual_mov_b32 v99, v15
	;; [unrolled: 1-line block ×26, first 2 shown]
	v_mov_b32_e32 v84, v144
	v_dual_mov_b32 v74, v134 :: v_dual_mov_b32 v77, v137
	v_mov_b32_e32 v75, v135
	v_dual_mov_b32 v38, v39 :: v_dual_mov_b32 v85, v121
	v_dual_mov_b32 v76, v136 :: v_dual_mov_b32 v79, v139
	;; [unrolled: 1-line block ×10, first 2 shown]
	v_mov_b32_e32 v39, v2
	v_dual_mov_b32 v49, v73 :: v_dual_mov_b32 v50, v74
	v_dual_mov_b32 v59, v83 :: v_dual_mov_b32 v60, v84
	;; [unrolled: 1-line block ×18, first 2 shown]
	v_mov_b32_e32 v70, v34
	v_dual_mov_b32 v72, v36 :: v_dual_mov_b32 v1, v2
	v_mov_b32_e32 v27, v26
	v_mov_b32_e32 v15, v14
.LBB212_97:
	s_or_b32 exec_lo, exec_lo, s2
	v_mov_b32_e32 v2, v40
	s_mov_b32 s2, exec_lo
	v_cmpx_lt_f32_e32 v1, v40
	s_cbranch_execz .LBB212_99
; %bb.98:
	v_mov_b32_e32 v99, v16
	v_mov_b32_e32 v144, v108
	;; [unrolled: 1-line block ×3, first 2 shown]
	v_dual_mov_b32 v136, v15 :: v_dual_mov_b32 v111, v28
	v_dual_mov_b32 v142, v106 :: v_dual_mov_b32 v133, v97
	;; [unrolled: 1-line block ×4, first 2 shown]
	v_mov_b32_e32 v135, v99
	v_dual_mov_b32 v125, v113 :: v_dual_mov_b32 v124, v112
	v_mov_b32_e32 v143, v107
	v_dual_mov_b32 v141, v105 :: v_dual_mov_b32 v140, v104
	v_dual_mov_b32 v139, v103 :: v_dual_mov_b32 v138, v102
	;; [unrolled: 1-line block ×18, first 2 shown]
	v_mov_b32_e32 v95, v131
	v_dual_mov_b32 v89, v29 :: v_dual_mov_b32 v88, v124
	v_dual_mov_b32 v49, v73 :: v_dual_mov_b32 v54, v78
	v_mov_b32_e32 v50, v74
	v_dual_mov_b32 v52, v76 :: v_dual_mov_b32 v61, v85
	s_delay_alu instid0(VALU_DEP_4)
	v_dual_mov_b32 v64, v88 :: v_dual_mov_b32 v51, v75
	v_dual_mov_b32 v56, v80 :: v_dual_mov_b32 v53, v77
	;; [unrolled: 1-line block ×12, first 2 shown]
	v_mov_b32_e32 v58, v22
	v_dual_mov_b32 v57, v146 :: v_dual_mov_b32 v60, v24
	v_dual_mov_b32 v59, v23 :: v_dual_mov_b32 v62, v86
	;; [unrolled: 1-line block ×5, first 2 shown]
	v_mov_b32_e32 v2, v1
	v_mov_b32_e32 v28, v27
	;; [unrolled: 1-line block ×3, first 2 shown]
.LBB212_99:
	s_or_b32 exec_lo, exec_lo, s2
	v_mov_b32_e32 v1, v41
	s_mov_b32 s2, exec_lo
	v_cmpx_lt_f32_e32 v2, v41
	s_cbranch_execz .LBB212_101
; %bb.100:
	v_mov_b32_e32 v100, v17
	v_mov_b32_e32 v73, v97
	;; [unrolled: 1-line block ×3, first 2 shown]
	v_dual_mov_b32 v77, v16 :: v_dual_mov_b32 v78, v102
	v_dual_mov_b32 v112, v29 :: v_dual_mov_b32 v75, v99
	;; [unrolled: 1-line block ×3, first 2 shown]
	v_mov_b32_e32 v84, v108
	v_dual_mov_b32 v74, v98 :: v_dual_mov_b32 v85, v109
	v_mov_b32_e32 v86, v110
	v_dual_mov_b32 v76, v100 :: v_dual_mov_b32 v79, v103
	v_dual_mov_b32 v80, v104 :: v_dual_mov_b32 v81, v105
	;; [unrolled: 1-line block ×8, first 2 shown]
	v_mov_b32_e32 v49, v73
	v_dual_mov_b32 v89, v28 :: v_dual_mov_b32 v50, v74
	v_dual_mov_b32 v59, v83 :: v_dual_mov_b32 v60, v84
	;; [unrolled: 1-line block ×32, first 2 shown]
	v_mov_b32_e32 v17, v16
.LBB212_101:
	s_or_b32 exec_lo, exec_lo, s2
	v_mov_b32_e32 v2, v42
	s_mov_b32 s2, exec_lo
	v_cmpx_lt_f32_e32 v1, v42
	s_cbranch_execz .LBB212_103
; %bb.102:
	v_mov_b32_e32 v137, v18
	v_mov_b32_e32 v125, v30
	v_dual_mov_b32 v41, v42 :: v_dual_mov_b32 v42, v1
	v_dual_mov_b32 v49, v133 :: v_dual_mov_b32 v50, v134
	;; [unrolled: 1-line block ×13, first 2 shown]
	v_mov_b32_e32 v66, v29
	v_dual_mov_b32 v85, v121 :: v_dual_mov_b32 v86, v122
	v_dual_mov_b32 v73, v133 :: v_dual_mov_b32 v74, v134
	;; [unrolled: 1-line block ×4, first 2 shown]
	v_mov_b32_e32 v64, v124
	v_dual_mov_b32 v58, v22 :: v_dual_mov_b32 v59, v23
	v_dual_mov_b32 v67, v31 :: v_dual_mov_b32 v68, v32
	;; [unrolled: 1-line block ×8, first 2 shown]
	v_mov_b32_e32 v2, v1
	v_mov_b32_e32 v30, v29
	v_dual_mov_b32 v18, v17 :: v_dual_mov_b32 v91, v127
	v_dual_mov_b32 v92, v128 :: v_dual_mov_b32 v93, v129
	;; [unrolled: 1-line block ×6, first 2 shown]
	v_mov_b32_e32 v84, v144
.LBB212_103:
	s_or_b32 exec_lo, exec_lo, s2
	v_mov_b32_e32 v1, v43
	s_mov_b32 s2, exec_lo
	v_cmpx_lt_f32_e32 v2, v43
	s_cbranch_execz .LBB212_105
; %bb.104:
	v_dual_mov_b32 v94, v34 :: v_dual_mov_b32 v95, v35
	v_dual_mov_b32 v78, v19 :: v_dual_mov_b32 v79, v18
	v_dual_mov_b32 v80, v20 :: v_dual_mov_b32 v81, v146
	v_dual_mov_b32 v82, v22 :: v_dual_mov_b32 v83, v23
	v_dual_mov_b32 v90, v31 :: v_dual_mov_b32 v91, v30
	v_dual_mov_b32 v92, v32 :: v_dual_mov_b32 v93, v145
	v_mov_b32_e32 v96, v36
	v_dual_mov_b32 v42, v43 :: v_dual_mov_b32 v43, v2
	v_dual_mov_b32 v84, v24 :: v_dual_mov_b32 v61, v85
	v_dual_mov_b32 v70, v94 :: v_dual_mov_b32 v49, v73
	v_dual_mov_b32 v62, v86 :: v_dual_mov_b32 v63, v87
	v_dual_mov_b32 v64, v88 :: v_dual_mov_b32 v67, v91
	v_dual_mov_b32 v65, v89 :: v_dual_mov_b32 v66, v90
	v_dual_mov_b32 v69, v93 :: v_dual_mov_b32 v68, v92
	v_dual_mov_b32 v71, v95 :: v_dual_mov_b32 v72, v96
	v_dual_mov_b32 v51, v75 :: v_dual_mov_b32 v50, v74
	v_dual_mov_b32 v53, v77 :: v_dual_mov_b32 v52, v76
	v_dual_mov_b32 v55, v79 :: v_dual_mov_b32 v54, v78
	v_dual_mov_b32 v57, v81 :: v_dual_mov_b32 v56, v80
	v_dual_mov_b32 v59, v83 :: v_dual_mov_b32 v58, v82
	v_dual_mov_b32 v60, v84 :: v_dual_mov_b32 v1, v2
.LBB212_105:
	s_or_b32 exec_lo, exec_lo, s2
	s_delay_alu instid0(VALU_DEP_1)
	v_cmp_lt_f32_e32 vcc_lo, v1, v44
	v_dual_mov_b32 v3, v39 :: v_dual_mov_b32 v10, v46
	v_dual_mov_b32 v5, v41 :: v_dual_mov_b32 v12, v48
	v_dual_cndmask_b32 v121, v68, v67 :: v_dual_mov_b32 v2, v38
	v_dual_cndmask_b32 v67, v67, v68 :: v_dual_cndmask_b32 v122, v56, v55
	v_dual_cndmask_b32 v55, v55, v56 :: v_dual_cndmask_b32 v8, v44, v1
	v_dual_cndmask_b32 v7, v43, v44 :: v_dual_mov_b32 v4, v40
	v_dual_mov_b32 v1, v37 :: v_dual_mov_b32 v6, v42
	v_mov_b32_e32 v9, v45
	v_mov_b32_e32 v11, v47
	s_mov_b32 s2, exec_lo
	v_cmpx_lt_f32_e32 v37, v38
	s_cbranch_execz .LBB212_107
; %bb.106:
	v_dual_mov_b32 v13, v2 :: v_dual_mov_b32 v14, v1
	v_dual_mov_b32 v15, v3 :: v_dual_mov_b32 v16, v4
	;; [unrolled: 1-line block ×6, first 2 shown]
	v_mov_b32_e32 v25, v61
	v_mov_b32_e32 v26, v49
	v_dual_mov_b32 v1, v13 :: v_dual_mov_b32 v4, v16
	v_swap_b32 v61, v62
	v_swap_b32 v49, v50
	v_dual_mov_b32 v2, v14 :: v_dual_mov_b32 v3, v15
	v_dual_mov_b32 v5, v17 :: v_dual_mov_b32 v6, v18
	;; [unrolled: 1-line block ×5, first 2 shown]
	v_mov_b32_e32 v38, v37
.LBB212_107:
	s_or_b32 exec_lo, exec_lo, s2
	v_mov_b32_e32 v56, v122
	v_mov_b32_e32 v68, v121
	;; [unrolled: 1-line block ×3, first 2 shown]
	v_dual_mov_b32 v27, v51 :: v_dual_mov_b32 v84, v72
	v_mov_b32_e32 v81, v69
	v_dual_mov_b32 v83, v71 :: v_dual_mov_b32 v96, v60
	v_dual_mov_b32 v91, v55 :: v_dual_mov_b32 v120, v72
	v_dual_mov_b32 v117, v69 :: v_dual_mov_b32 v108, v72
	v_dual_mov_b32 v105, v69 :: v_dual_mov_b32 v88, v52
	v_dual_mov_b32 v13, v49 :: v_dual_mov_b32 v82, v70
	v_dual_mov_b32 v79, v67 :: v_dual_mov_b32 v80, v68
	v_dual_mov_b32 v77, v65 :: v_dual_mov_b32 v78, v66
	v_dual_mov_b32 v75, v63 :: v_dual_mov_b32 v76, v64
	v_dual_mov_b32 v73, v61 :: v_dual_mov_b32 v74, v62
	v_dual_mov_b32 v119, v71 :: v_dual_mov_b32 v114, v66
	v_dual_mov_b32 v111, v63 :: v_dual_mov_b32 v112, v64
	v_dual_mov_b32 v109, v61 :: v_dual_mov_b32 v110, v62
	v_dual_mov_b32 v107, v71 :: v_dual_mov_b32 v106, v70
	v_dual_mov_b32 v103, v67 :: v_dual_mov_b32 v104, v68
	v_dual_mov_b32 v101, v65 :: v_dual_mov_b32 v102, v66
	v_dual_mov_b32 v99, v63 :: v_dual_mov_b32 v100, v64
	v_dual_mov_b32 v97, v61 :: v_dual_mov_b32 v98, v62
	v_dual_mov_b32 v29, v53 :: v_dual_mov_b32 v26, v50
	v_dual_mov_b32 v28, v52 :: v_dual_mov_b32 v31, v55
	v_dual_mov_b32 v30, v54 :: v_dual_mov_b32 v33, v57
	v_dual_mov_b32 v32, v56 :: v_dual_mov_b32 v35, v59
	v_dual_mov_b32 v34, v58 :: v_dual_mov_b32 v95, v59
	v_dual_mov_b32 v36, v60 :: v_dual_mov_b32 v93, v57
	v_dual_mov_b32 v92, v56 :: v_dual_mov_b32 v87, v51
	v_dual_mov_b32 v90, v54 :: v_dual_mov_b32 v85, v49
	v_dual_mov_b32 v86, v50 :: v_dual_mov_b32 v15, v51
	v_dual_mov_b32 v14, v50 :: v_dual_mov_b32 v17, v53
	v_dual_mov_b32 v16, v52 :: v_dual_mov_b32 v19, v55
	v_dual_mov_b32 v18, v54 :: v_dual_mov_b32 v21, v57
	v_dual_mov_b32 v20, v56 :: v_dual_mov_b32 v23, v59
	v_dual_mov_b32 v22, v58 :: v_dual_mov_b32 v37, v3
	v_mov_b32_e32 v24, v60
	s_mov_b32 s2, exec_lo
	v_dual_mov_b32 v118, v70 :: v_dual_mov_b32 v115, v67
	v_dual_mov_b32 v116, v68 :: v_dual_mov_b32 v113, v65
	;; [unrolled: 1-line block ×3, first 2 shown]
	v_cmpx_lt_f32_e32 v38, v3
	s_cbranch_execz .LBB212_109
; %bb.108:
	v_dual_mov_b32 v13, v49 :: v_dual_mov_b32 v14, v50
	v_dual_mov_b32 v23, v59 :: v_dual_mov_b32 v24, v60
	;; [unrolled: 1-line block ×30, first 2 shown]
	v_mov_b32_e32 v112, v64
	v_dual_mov_b32 v34, v94 :: v_dual_mov_b32 v35, v95
	v_dual_mov_b32 v35, v59 :: v_dual_mov_b32 v34, v58
	;; [unrolled: 1-line block ×15, first 2 shown]
	v_mov_b32_e32 v81, v69
	v_dual_mov_b32 v80, v121 :: v_dual_mov_b32 v83, v71
	v_mov_b32_e32 v82, v70
	v_dual_mov_b32 v84, v72 :: v_dual_mov_b32 v37, v38
	v_mov_b32_e32 v63, v62
	v_mov_b32_e32 v51, v50
.LBB212_109:
	s_or_b32 exec_lo, exec_lo, s2
	v_mov_b32_e32 v38, v4
	s_mov_b32 s2, exec_lo
	v_cmpx_lt_f32_e32 v37, v4
	s_cbranch_execz .LBB212_111
; %bb.110:
	v_mov_b32_e32 v15, v52
	v_mov_b32_e32 v96, v24
	;; [unrolled: 1-line block ×3, first 2 shown]
	v_dual_mov_b32 v88, v51 :: v_dual_mov_b32 v99, v64
	v_dual_mov_b32 v94, v22 :: v_dual_mov_b32 v85, v13
	v_dual_mov_b32 v120, v108 :: v_dual_mov_b32 v109, v97
	v_mov_b32_e32 v95, v23
	v_dual_mov_b32 v93, v21 :: v_dual_mov_b32 v92, v20
	v_dual_mov_b32 v91, v19 :: v_dual_mov_b32 v90, v18
	;; [unrolled: 1-line block ×7, first 2 shown]
	v_mov_b32_e32 v87, v15
	v_dual_mov_b32 v111, v99 :: v_dual_mov_b32 v110, v98
	v_dual_mov_b32 v112, v63 :: v_dual_mov_b32 v25, v85
	;; [unrolled: 1-line block ×3, first 2 shown]
	s_delay_alu instid0(VALU_DEP_3)
	v_dual_mov_b32 v74, v110 :: v_dual_mov_b32 v29, v89
	v_dual_mov_b32 v30, v90 :: v_dual_mov_b32 v31, v91
	v_dual_mov_b32 v32, v92 :: v_dual_mov_b32 v33, v93
	v_dual_mov_b32 v34, v94 :: v_dual_mov_b32 v35, v95
	v_dual_mov_b32 v36, v96 :: v_dual_mov_b32 v77, v113
	v_dual_mov_b32 v78, v114 :: v_dual_mov_b32 v79, v115
	v_dual_mov_b32 v80, v116 :: v_dual_mov_b32 v81, v117
	v_dual_mov_b32 v82, v118 :: v_dual_mov_b32 v83, v119
	v_mov_b32_e32 v84, v120
	v_dual_mov_b32 v3, v4 :: v_dual_mov_b32 v4, v37
	v_dual_mov_b32 v27, v87 :: v_dual_mov_b32 v28, v88
	;; [unrolled: 1-line block ×11, first 2 shown]
	v_mov_b32_e32 v38, v37
	v_mov_b32_e32 v64, v63
	;; [unrolled: 1-line block ×3, first 2 shown]
.LBB212_111:
	s_or_b32 exec_lo, exec_lo, s2
	v_mov_b32_e32 v16, v5
	s_mov_b32 s2, exec_lo
	v_cmpx_lt_f32_e32 v38, v5
	s_cbranch_execz .LBB212_113
; %bb.112:
	v_mov_b32_e32 v100, v65
	v_mov_b32_e32 v16, v53
	v_dual_mov_b32 v4, v5 :: v_dual_mov_b32 v5, v38
	v_dual_mov_b32 v36, v24 :: v_dual_mov_b32 v33, v21
	;; [unrolled: 1-line block ×3, first 2 shown]
	v_mov_b32_e32 v31, v19
	v_dual_mov_b32 v35, v59 :: v_dual_mov_b32 v34, v58
	v_dual_mov_b32 v73, v97 :: v_dual_mov_b32 v32, v20
	;; [unrolled: 1-line block ×8, first 2 shown]
	v_mov_b32_e32 v77, v64
	v_dual_mov_b32 v84, v108 :: v_dual_mov_b32 v79, v67
	v_dual_mov_b32 v120, v108 :: v_dual_mov_b32 v115, v103
	;; [unrolled: 1-line block ×19, first 2 shown]
	v_mov_b32_e32 v88, v16
	v_dual_mov_b32 v86, v14 :: v_dual_mov_b32 v65, v64
	v_dual_mov_b32 v16, v38 :: v_dual_mov_b32 v53, v52
	v_dual_mov_b32 v118, v106 :: v_dual_mov_b32 v113, v101
.LBB212_113:
	s_or_b32 exec_lo, exec_lo, s2
	v_mov_b32_e32 v13, v6
	s_mov_b32 s2, exec_lo
	v_cmpx_lt_f32_e32 v16, v6
	s_cbranch_execz .LBB212_115
; %bb.114:
	v_dual_mov_b32 v89, v54 :: v_dual_mov_b32 v90, v53
	v_dual_mov_b32 v91, v55 :: v_dual_mov_b32 v92, v122
	;; [unrolled: 1-line block ×21, first 2 shown]
	v_mov_b32_e32 v13, v16
.LBB212_115:
	s_or_b32 exec_lo, exec_lo, s2
	s_delay_alu instid0(VALU_DEP_1)
	v_cmp_lt_f32_e32 vcc_lo, v13, v7
	v_dual_mov_b32 v14, v2 :: v_dual_mov_b32 v17, v5
	v_dual_mov_b32 v16, v4 :: v_dual_mov_b32 v21, v9
	v_dual_cndmask_b32 v37, v79, v78 :: v_dual_cndmask_b32 v78, v78, v79
	v_cndmask_b32_e32 v38, v31, v30, vcc_lo
	v_dual_cndmask_b32 v30, v30, v31 :: v_dual_cndmask_b32 v19, v7, v13
	v_dual_cndmask_b32 v18, v6, v7 :: v_dual_mov_b32 v15, v3
	v_dual_mov_b32 v13, v1 :: v_dual_mov_b32 v20, v8
	v_dual_mov_b32 v23, v11 :: v_dual_mov_b32 v22, v10
	v_mov_b32_e32 v24, v12
	s_mov_b32 s2, exec_lo
	v_cmpx_lt_f32_e32 v1, v2
	s_cbranch_execz .LBB212_117
; %bb.116:
	v_dual_mov_b32 v2, v14 :: v_dual_mov_b32 v3, v13
	v_dual_mov_b32 v12, v23 :: v_dual_mov_b32 v13, v24
	;; [unrolled: 1-line block ×6, first 2 shown]
	v_mov_b32_e32 v24, v13
	v_mov_b32_e32 v31, v73
	v_dual_mov_b32 v39, v25 :: v_dual_mov_b32 v18, v7
	v_swap_b32 v73, v74
	v_swap_b32 v25, v26
	v_dual_mov_b32 v23, v12 :: v_dual_mov_b32 v20, v9
	v_dual_mov_b32 v22, v11 :: v_dual_mov_b32 v21, v10
	;; [unrolled: 1-line block ×4, first 2 shown]
	v_mov_b32_e32 v15, v4
	v_dual_mov_b32 v13, v2 :: v_dual_mov_b32 v2, v1
.LBB212_117:
	s_or_b32 exec_lo, exec_lo, s2
	v_mov_b32_e32 v31, v38
	v_dual_mov_b32 v79, v37 :: v_dual_mov_b32 v50, v36
	v_dual_mov_b32 v51, v73 :: v_dual_mov_b32 v52, v74
	;; [unrolled: 1-line block ×24, first 2 shown]
	v_mov_b32_e32 v85, v25
	v_mov_b32_e32 v1, v15
	s_mov_b32 s2, exec_lo
	v_cmpx_lt_f32_e32 v2, v15
	s_cbranch_execz .LBB212_119
; %bb.118:
	v_dual_mov_b32 v96, v36 :: v_dual_mov_b32 v95, v35
	v_dual_mov_b32 v86, v26 :: v_dual_mov_b32 v85, v25
	;; [unrolled: 1-line block ×8, first 2 shown]
	v_mov_b32_e32 v105, v81
	v_dual_mov_b32 v43, v89 :: v_dual_mov_b32 v44, v90
	v_dual_mov_b32 v100, v76 :: v_dual_mov_b32 v97, v73
	;; [unrolled: 1-line block ×6, first 2 shown]
	v_mov_b32_e32 v98, v74
	v_dual_mov_b32 v98, v75 :: v_dual_mov_b32 v99, v74
	v_dual_mov_b32 v49, v95 :: v_dual_mov_b32 v50, v96
	;; [unrolled: 1-line block ×12, first 2 shown]
	v_mov_b32_e32 v40, v86
	v_dual_mov_b32 v42, v28 :: v_dual_mov_b32 v43, v29
	v_dual_mov_b32 v45, v38 :: v_dual_mov_b32 v46, v32
	v_dual_mov_b32 v47, v33 :: v_dual_mov_b32 v48, v34
	v_dual_mov_b32 v49, v35 :: v_dual_mov_b32 v52, v98
	v_dual_mov_b32 v53, v99 :: v_dual_mov_b32 v54, v76
	v_dual_mov_b32 v57, v37 :: v_dual_mov_b32 v56, v78
	v_dual_mov_b32 v59, v81 :: v_dual_mov_b32 v58, v80
	v_dual_mov_b32 v61, v83 :: v_dual_mov_b32 v60, v82
	v_dual_mov_b32 v62, v84 :: v_dual_mov_b32 v1, v2
	v_mov_b32_e32 v75, v74
	v_mov_b32_e32 v27, v26
.LBB212_119:
	s_or_b32 exec_lo, exec_lo, s2
	v_mov_b32_e32 v2, v16
	s_mov_b32 s2, exec_lo
	v_cmpx_lt_f32_e32 v1, v16
	s_cbranch_execz .LBB212_121
; %bb.120:
	v_mov_b32_e32 v87, v28
	v_mov_b32_e32 v99, v76
	v_dual_mov_b32 v15, v16 :: v_dual_mov_b32 v16, v1
	v_dual_mov_b32 v39, v85 :: v_dual_mov_b32 v42, v88
	;; [unrolled: 1-line block ×13, first 2 shown]
	v_mov_b32_e32 v56, v78
	v_mov_b32_e32 v40, v86
	v_dual_mov_b32 v42, v27 :: v_dual_mov_b32 v43, v29
	v_dual_mov_b32 v45, v38 :: v_dual_mov_b32 v46, v32
	;; [unrolled: 1-line block ×8, first 2 shown]
	v_mov_b32_e32 v2, v1
	v_mov_b32_e32 v76, v75
	;; [unrolled: 1-line block ×3, first 2 shown]
.LBB212_121:
	s_or_b32 exec_lo, exec_lo, s2
	v_mov_b32_e32 v1, v17
	s_mov_b32 s2, exec_lo
	v_cmpx_lt_f32_e32 v2, v17
	s_cbranch_execz .LBB212_123
; %bb.122:
	v_dual_mov_b32 v106, v82 :: v_dual_mov_b32 v107, v83
	v_dual_mov_b32 v88, v29 :: v_dual_mov_b32 v89, v28
	;; [unrolled: 1-line block ×8, first 2 shown]
	v_mov_b32_e32 v108, v84
	v_dual_mov_b32 v16, v17 :: v_dual_mov_b32 v17, v2
	v_dual_mov_b32 v96, v36 :: v_dual_mov_b32 v51, v97
	;; [unrolled: 1-line block ×14, first 2 shown]
.LBB212_123:
	s_or_b32 exec_lo, exec_lo, s2
	s_delay_alu instid0(VALU_DEP_1)
	v_cmp_lt_f32_e32 vcc_lo, v1, v18
	v_dual_mov_b32 v27, v13 :: v_dual_mov_b32 v34, v20
	v_dual_mov_b32 v29, v15 :: v_dual_mov_b32 v36, v22
	v_dual_cndmask_b32 v63, v56, v55 :: v_dual_cndmask_b32 v32, v18, v1
	v_dual_cndmask_b32 v55, v55, v56 :: v_dual_cndmask_b32 v64, v44, v43
	v_dual_cndmask_b32 v43, v43, v44 :: v_dual_mov_b32 v28, v14
	v_dual_cndmask_b32 v31, v17, v18 :: v_dual_mov_b32 v30, v16
	v_dual_mov_b32 v33, v19 :: v_dual_mov_b32 v38, v24
	v_mov_b32_e32 v35, v21
	v_mov_b32_e32 v37, v23
	s_mov_b32 s2, exec_lo
	v_cmpx_lt_f32_e32 v13, v14
	s_cbranch_execz .LBB212_125
; %bb.124:
	s_delay_alu instid0(VALU_DEP_2)
	v_dual_mov_b32 v11, v37 :: v_dual_mov_b32 v12, v38
	v_dual_mov_b32 v1, v28 :: v_dual_mov_b32 v2, v27
	v_dual_mov_b32 v3, v29 :: v_dual_mov_b32 v4, v30
	v_dual_mov_b32 v5, v31 :: v_dual_mov_b32 v6, v32
	v_dual_mov_b32 v7, v33 :: v_dual_mov_b32 v8, v34
	v_dual_mov_b32 v9, v35 :: v_dual_mov_b32 v10, v36
	v_dual_mov_b32 v15, v51 :: v_dual_mov_b32 v38, v12
	s_delay_alu instid0(VALU_DEP_2)
	v_dual_mov_b32 v16, v39 :: v_dual_mov_b32 v35, v9
	v_swap_b32 v51, v52
	v_swap_b32 v39, v40
	v_dual_mov_b32 v37, v11 :: v_dual_mov_b32 v36, v10
	v_dual_mov_b32 v34, v8 :: v_dual_mov_b32 v33, v7
	;; [unrolled: 1-line block ×5, first 2 shown]
	v_mov_b32_e32 v14, v13
.LBB212_125:
	s_or_b32 exec_lo, exec_lo, s2
	v_mov_b32_e32 v44, v64
	v_mov_b32_e32 v56, v63
	;; [unrolled: 1-line block ×4, first 2 shown]
	v_dual_mov_b32 v15, v51 :: v_dual_mov_b32 v2, v40
	v_dual_mov_b32 v16, v52 :: v_dual_mov_b32 v17, v53
	;; [unrolled: 1-line block ×11, first 2 shown]
	v_mov_b32_e32 v12, v50
	s_mov_b32 s2, exec_lo
	v_cmpx_lt_f32_e32 v14, v29
	s_cbranch_execz .LBB212_127
; %bb.126:
	v_dual_mov_b32 v1, v39 :: v_dual_mov_b32 v2, v40
	v_dual_mov_b32 v11, v49 :: v_dual_mov_b32 v12, v50
	;; [unrolled: 1-line block ×25, first 2 shown]
	v_mov_b32_e32 v41, v40
.LBB212_127:
	s_or_b32 exec_lo, exec_lo, s2
	v_mov_b32_e32 v39, v30
	s_mov_b32 s2, exec_lo
	v_cmpx_lt_f32_e32 v13, v30
	s_cbranch_execz .LBB212_129
; %bb.128:
	v_dual_mov_b32 v29, v30 :: v_dual_mov_b32 v30, v13
	v_dual_mov_b32 v3, v42 :: v_dual_mov_b32 v4, v41
	;; [unrolled: 1-line block ×11, first 2 shown]
	v_mov_b32_e32 v39, v13
.LBB212_129:
	s_or_b32 exec_lo, exec_lo, s2
	s_delay_alu instid0(VALU_DEP_1)
	v_cmp_lt_f32_e32 vcc_lo, v39, v31
	v_dual_mov_b32 v40, v28 :: v_dual_mov_b32 v45, v33
	v_dual_mov_b32 v44, v32 :: v_dual_mov_b32 v47, v35
	v_dual_cndmask_b32 v13, v19, v18 :: v_dual_cndmask_b32 v18, v18, v19
	v_dual_cndmask_b32 v14, v5, v4 :: v_dual_cndmask_b32 v43, v31, v39
	v_dual_cndmask_b32 v4, v4, v5 :: v_dual_mov_b32 v39, v27
	v_dual_cndmask_b32 v42, v30, v31 :: v_dual_mov_b32 v41, v29
	v_dual_mov_b32 v46, v34 :: v_dual_mov_b32 v49, v37
	v_mov_b32_e32 v48, v36
	v_mov_b32_e32 v50, v38
	s_mov_b32 s2, exec_lo
	v_cmpx_lt_f32_e32 v27, v28
	s_cbranch_execz .LBB212_131
; %bb.130:
	v_dual_mov_b32 v28, v40 :: v_dual_mov_b32 v29, v39
	v_dual_mov_b32 v38, v49 :: v_dual_mov_b32 v39, v50
	;; [unrolled: 1-line block ×7, first 2 shown]
	v_mov_b32_e32 v5, v15
	v_swap_b32 v15, v16
	s_delay_alu instid0(VALU_DEP_4)
	v_mov_b32_e32 v48, v37
	v_swap_b32 v1, v2
	v_dual_mov_b32 v49, v38 :: v_dual_mov_b32 v46, v35
	v_dual_mov_b32 v47, v36 :: v_dual_mov_b32 v44, v33
	;; [unrolled: 1-line block ×4, first 2 shown]
	v_mov_b32_e32 v41, v30
	v_dual_mov_b32 v39, v28 :: v_dual_mov_b32 v28, v27
.LBB212_131:
	s_or_b32 exec_lo, exec_lo, s2
	v_mov_b32_e32 v5, v14
	v_mov_b32_e32 v19, v13
	;; [unrolled: 1-line block ×3, first 2 shown]
	s_mov_b32 s2, exec_lo
	v_cmpx_lt_f32_e32 v28, v41
	s_cbranch_execz .LBB212_133
; %bb.132:
	v_dual_mov_b32 v74, v26 :: v_dual_mov_b32 v73, v25
	v_dual_mov_b32 v62, v12 :: v_dual_mov_b32 v61, v11
	;; [unrolled: 1-line block ×22, first 2 shown]
	v_mov_b32_e32 v74, v26
	v_dual_mov_b32 v40, v41 :: v_dual_mov_b32 v41, v28
	v_dual_mov_b32 v62, v12 :: v_dual_mov_b32 v15, v63
	;; [unrolled: 1-line block ×14, first 2 shown]
.LBB212_133:
	s_or_b32 exec_lo, exec_lo, s2
	s_delay_alu instid0(VALU_DEP_1)
	v_cmp_lt_f32_e32 vcc_lo, v27, v42
	v_dual_mov_b32 v28, v23 :: v_dual_mov_b32 v29, v24
	v_dual_mov_b32 v30, v25 :: v_dual_mov_b32 v31, v26
	v_dual_cndmask_b32 v13, v18, v17 :: v_dual_cndmask_b32 v14, v4, v3
	v_dual_cndmask_b32 v51, v17, v18 :: v_dual_cndmask_b32 v56, v3, v4
	;; [unrolled: 1-line block ×3, first 2 shown]
	v_cmp_lt_f32_e32 vcc_lo, v39, v40
	v_dual_mov_b32 v4, v19 :: v_dual_mov_b32 v17, v20
	v_dual_mov_b32 v18, v21 :: v_dual_mov_b32 v27, v22
	;; [unrolled: 1-line block ×10, first 2 shown]
	v_mov_b32_e32 v59, v50
	s_and_saveexec_b32 s2, vcc_lo
	s_cbranch_execz .LBB212_135
; %bb.134:
	v_dual_mov_b32 v42, v40 :: v_dual_mov_b32 v27, v22
	v_dual_mov_b32 v4, v15 :: v_dual_mov_b32 v17, v20
	;; [unrolled: 1-line block ×3, first 2 shown]
	v_swap_b32 v15, v16
	v_swap_b32 v1, v2
	v_dual_mov_b32 v40, v39 :: v_dual_mov_b32 v29, v24
	v_dual_mov_b32 v4, v19 :: v_dual_mov_b32 v31, v26
	;; [unrolled: 1-line block ×11, first 2 shown]
	v_mov_b32_e32 v54, v46
	v_mov_b32_e32 v58, v49
.LBB212_135:
	s_or_b32 exec_lo, exec_lo, s2
	s_clause 0x1
	s_load_b32 s8, s[0:1], 0x28
	s_load_b128 s[4:7], s[0:1], 0x10
	s_waitcnt lgkmcnt(0)
	s_cmp_lt_i32 s8, 1
	s_cbranch_scc1 .LBB212_141
; %bb.136:
	v_cmp_lt_f32_e32 vcc_lo, v40, v60
	v_dual_mov_b32 v7, 0 :: v_dual_mov_b32 v6, 0
	s_mov_b32 s9, 0x76543210
	s_mov_b32 s10, s8
	v_dual_cndmask_b32 v5, v56, v2 :: v_dual_cndmask_b32 v12, v61, v60
	v_dual_cndmask_b32 v10, v2, v56 :: v_dual_cndmask_b32 v19, v16, v51
	v_cndmask_b32_e32 v2, v60, v40, vcc_lo
	v_cndmask_b32_e32 v8, v51, v16, vcc_lo
	s_delay_alu instid0(VALU_DEP_4) | instskip(NEXT) | instid1(VALU_DEP_1)
	v_cmp_lt_f32_e64 s2, v39, v12
	v_cndmask_b32_e64 v9, v10, v1, s2
	v_cndmask_b32_e64 v10, v1, v10, s2
	;; [unrolled: 1-line block ×6, first 2 shown]
	v_mov_b32_e32 v19, v0
	v_mov_b32_e32 v1, 0
.LBB212_137:                            ; =>This Inner Loop Header: Depth=1
	v_cmp_eq_u32_e32 vcc_lo, 1, v7
	v_cmp_eq_u32_e64 s2, 2, v7
	v_cmp_gt_u32_e64 s3, 12, v7
	v_dual_cndmask_b32 v20, v12, v11 :: v_dual_cndmask_b32 v21, v10, v9
	s_delay_alu instid0(VALU_DEP_1) | instskip(NEXT) | instid1(VALU_DEP_2)
	v_cndmask_b32_e64 v20, v20, v2, s2
	v_cndmask_b32_e64 v21, v21, v5, s2
	v_cndmask_b32_e32 v22, v15, v16, vcc_lo
	v_cmp_eq_u32_e32 vcc_lo, 3, v7
	s_delay_alu instid0(VALU_DEP_3) | instskip(NEXT) | instid1(VALU_DEP_3)
	v_cndmask_b32_e32 v21, v21, v14, vcc_lo
	v_cndmask_b32_e64 v22, v22, v8, s2
	v_cmp_eq_u32_e64 s2, 4, v7
	s_delay_alu instid0(VALU_DEP_2) | instskip(NEXT) | instid1(VALU_DEP_2)
	v_cndmask_b32_e32 v22, v22, v13, vcc_lo
	v_cndmask_b32_e64 v21, v21, v32, s2
	v_cndmask_b32_e32 v20, v20, v3, vcc_lo
	v_cmp_eq_u32_e32 vcc_lo, 5, v7
	s_delay_alu instid0(VALU_DEP_4) | instskip(NEXT) | instid1(VALU_DEP_4)
	v_cndmask_b32_e64 v22, v22, v4, s2
	v_cndmask_b32_e32 v21, v21, v33, vcc_lo
	s_delay_alu instid0(VALU_DEP_4) | instskip(SKIP_1) | instid1(VALU_DEP_4)
	v_cndmask_b32_e64 v20, v20, v42, s2
	v_cmp_eq_u32_e64 s2, 6, v7
	v_cndmask_b32_e32 v22, v22, v17, vcc_lo
	s_delay_alu instid0(VALU_DEP_3) | instskip(SKIP_1) | instid1(VALU_DEP_4)
	v_cndmask_b32_e32 v20, v20, v52, vcc_lo
	v_cmp_eq_u32_e32 vcc_lo, 7, v7
	v_cndmask_b32_e64 v21, v21, v34, s2
	s_delay_alu instid0(VALU_DEP_4) | instskip(NEXT) | instid1(VALU_DEP_4)
	v_cndmask_b32_e64 v22, v22, v18, s2
	v_cndmask_b32_e64 v20, v20, v53, s2
	v_cmp_eq_u32_e64 s2, 8, v7
	s_delay_alu instid0(VALU_DEP_4) | instskip(NEXT) | instid1(VALU_DEP_4)
	v_cndmask_b32_e32 v21, v21, v35, vcc_lo
	v_cndmask_b32_e32 v22, v22, v27, vcc_lo
	s_delay_alu instid0(VALU_DEP_4) | instskip(SKIP_1) | instid1(VALU_DEP_4)
	v_cndmask_b32_e32 v20, v20, v54, vcc_lo
	v_cmp_eq_u32_e32 vcc_lo, 9, v7
	v_cndmask_b32_e64 v21, v21, v36, s2
	s_delay_alu instid0(VALU_DEP_4) | instskip(NEXT) | instid1(VALU_DEP_4)
	v_cndmask_b32_e64 v22, v22, v28, s2
	v_cndmask_b32_e64 v20, v20, v55, s2
	v_cmp_eq_u32_e64 s2, 10, v7
	s_delay_alu instid0(VALU_DEP_4) | instskip(NEXT) | instid1(VALU_DEP_4)
	v_cndmask_b32_e32 v21, v21, v37, vcc_lo
	v_cndmask_b32_e32 v22, v22, v29, vcc_lo
	s_delay_alu instid0(VALU_DEP_4) | instskip(SKIP_1) | instid1(VALU_DEP_4)
	v_cndmask_b32_e32 v20, v20, v57, vcc_lo
	v_cmp_eq_u32_e32 vcc_lo, 11, v7
	v_cndmask_b32_e64 v21, v21, v38, s2
	s_delay_alu instid0(VALU_DEP_3) | instskip(NEXT) | instid1(VALU_DEP_1)
	v_cndmask_b32_e64 v20, v20, v58, s2
	v_dual_cndmask_b32 v21, v21, v41 :: v_dual_cndmask_b32 v20, v20, v59
	s_delay_alu instid0(VALU_DEP_1)
	v_cndmask_b32_e64 v20, 0xff800000, v20, s3
	;;#ASMSTART
	v_max_f32 v23, v20, v20 quad_perm:[1,0,3,2] row_mask:0xf bank_mask:0xf bound_ctrl:1
	;;#ASMEND
	;;#ASMSTART
	v_max_f32 v24, v23, v23 quad_perm:[2,3,0,1] row_mask:0xf bank_mask:0xf bound_ctrl:1
	;;#ASMEND
	;;#ASMSTART
	v_max_f32 v23, v24, v24 row_half_mirror row_mask:0xf bank_mask:0xf bound_ctrl:1
	;;#ASMEND
	;;#ASMSTART
	v_max_f32 v24, v23, v23 row_mirror row_mask:0xf bank_mask:0xf bound_ctrl:1
	;;#ASMEND
	v_permlanex16_b32 v23, v24, s9, 0xfedcba98 op_sel:[1,1]
	s_delay_alu instid0(VALU_DEP_1) | instskip(NEXT) | instid1(VALU_DEP_1)
	v_dual_max_f32 v24, v24, v24 :: v_dual_max_f32 v23, v23, v23
	v_max_f32_e32 v23, v24, v23
	v_cndmask_b32_e64 v22, v22, v30, s2
	s_delay_alu instid0(VALU_DEP_2) | instskip(SKIP_1) | instid1(VALU_DEP_2)
	v_cmp_eq_f32_e64 s2, v20, v23
	v_cndmask_b32_e64 v20, 0, v21, s3
	s_ctz_i32_b32 s11, s2
	s_cmp_lg_u32 s2, 0
	s_cselect_b32 s2, s11, 0
	s_add_i32 s10, s10, -1
	v_readlane_b32 s11, v20, s2
	v_cndmask_b32_e32 v20, v22, v31, vcc_lo
	s_delay_alu instid0(VALU_DEP_2)
	v_cmp_eq_u32_e32 vcc_lo, s11, v21
	s_and_b32 s2, s11, 31
	s_and_b32 vcc_lo, s3, vcc_lo
	s_cmp_eq_u32 s10, 0
	v_cndmask_b32_e32 v20, 0, v20, vcc_lo
	v_add_co_ci_u32_e32 v7, vcc_lo, 0, v7, vcc_lo
	s_delay_alu instid0(VALU_DEP_2) | instskip(SKIP_2) | instid1(VALU_DEP_2)
	v_readlane_b32 s3, v20, s2
	v_cmp_eq_u32_e64 s2, 0, v19
	v_add_nc_u32_e32 v19, -1, v19
	v_cndmask_b32_e64 v6, v6, s3, s2
	v_cndmask_b32_e64 v1, v1, s11, s2
	s_cbranch_scc0 .LBB212_137
; %bb.138:
	s_mov_b32 s2, exec_lo
	v_cmpx_gt_i32_e64 s8, v0
	s_cbranch_execz .LBB212_140
.LBB212_139:
	s_clause 0x1
	s_load_b64 s[2:3], s[0:1], 0x20
	s_load_b32 s8, s[0:1], 0x30
	s_ashr_i32 s0, s15, 31
	s_waitcnt lgkmcnt(0)
	s_mul_i32 s1, s15, s3
	s_mul_hi_u32 s3, s15, s2
	s_mul_i32 s0, s0, s2
	s_add_i32 s1, s3, s1
	v_mul_f32_e32 v0, s8, v6
	s_add_i32 s1, s1, s0
	s_mul_i32 s0, s15, s2
	s_delay_alu instid0(SALU_CYCLE_1) | instskip(NEXT) | instid1(SALU_CYCLE_1)
	s_lshl_b64 s[0:1], s[0:1], 2
	s_add_u32 s2, s4, s0
	s_addc_u32 s3, s5, s1
	s_add_u32 s0, s6, s0
	s_addc_u32 s1, s7, s1
	s_clause 0x1
	global_store_b32 v183, v0, s[2:3]
	global_store_b32 v183, v1, s[0:1]
.LBB212_140:
	s_endpgm
.LBB212_141:
	v_dual_mov_b32 v1, 0 :: v_dual_mov_b32 v6, 0
	s_mov_b32 s2, exec_lo
	v_cmpx_gt_i32_e64 s8, v0
	s_cbranch_execnz .LBB212_139
	s_branch .LBB212_140
	.section	.rodata,"a",@progbits
	.p2align	6, 0x0
	.amdhsa_kernel _ZN5aiter24topk_softplus_kernel_optI12hip_bfloat16fLi384ELb0ELi1EEEvPKT_PKT0_PfPimiif
		.amdhsa_group_segment_fixed_size 0
		.amdhsa_private_segment_fixed_size 196
		.amdhsa_kernarg_size 52
		.amdhsa_user_sgpr_count 15
		.amdhsa_user_sgpr_dispatch_ptr 0
		.amdhsa_user_sgpr_queue_ptr 0
		.amdhsa_user_sgpr_kernarg_segment_ptr 1
		.amdhsa_user_sgpr_dispatch_id 0
		.amdhsa_user_sgpr_private_segment_size 0
		.amdhsa_wavefront_size32 1
		.amdhsa_uses_dynamic_stack 0
		.amdhsa_enable_private_segment 1
		.amdhsa_system_sgpr_workgroup_id_x 1
		.amdhsa_system_sgpr_workgroup_id_y 0
		.amdhsa_system_sgpr_workgroup_id_z 0
		.amdhsa_system_sgpr_workgroup_info 0
		.amdhsa_system_vgpr_workitem_id 0
		.amdhsa_next_free_vgpr 184
		.amdhsa_next_free_sgpr 16
		.amdhsa_reserve_vcc 1
		.amdhsa_float_round_mode_32 0
		.amdhsa_float_round_mode_16_64 0
		.amdhsa_float_denorm_mode_32 3
		.amdhsa_float_denorm_mode_16_64 3
		.amdhsa_dx10_clamp 1
		.amdhsa_ieee_mode 1
		.amdhsa_fp16_overflow 0
		.amdhsa_workgroup_processor_mode 1
		.amdhsa_memory_ordered 1
		.amdhsa_forward_progress 0
		.amdhsa_shared_vgpr_count 0
		.amdhsa_exception_fp_ieee_invalid_op 0
		.amdhsa_exception_fp_denorm_src 0
		.amdhsa_exception_fp_ieee_div_zero 0
		.amdhsa_exception_fp_ieee_overflow 0
		.amdhsa_exception_fp_ieee_underflow 0
		.amdhsa_exception_fp_ieee_inexact 0
		.amdhsa_exception_int_div_zero 0
	.end_amdhsa_kernel
	.section	.text._ZN5aiter24topk_softplus_kernel_optI12hip_bfloat16fLi384ELb0ELi1EEEvPKT_PKT0_PfPimiif,"axG",@progbits,_ZN5aiter24topk_softplus_kernel_optI12hip_bfloat16fLi384ELb0ELi1EEEvPKT_PKT0_PfPimiif,comdat
.Lfunc_end212:
	.size	_ZN5aiter24topk_softplus_kernel_optI12hip_bfloat16fLi384ELb0ELi1EEEvPKT_PKT0_PfPimiif, .Lfunc_end212-_ZN5aiter24topk_softplus_kernel_optI12hip_bfloat16fLi384ELb0ELi1EEEvPKT_PKT0_PfPimiif
                                        ; -- End function
	.section	.AMDGPU.csdata,"",@progbits
; Kernel info:
; codeLenInByte = 27872
; NumSgprs: 18
; NumVgprs: 184
; ScratchSize: 196
; MemoryBound: 0
; FloatMode: 240
; IeeeMode: 1
; LDSByteSize: 0 bytes/workgroup (compile time only)
; SGPRBlocks: 2
; VGPRBlocks: 22
; NumSGPRsForWavesPerEU: 18
; NumVGPRsForWavesPerEU: 184
; Occupancy: 8
; WaveLimiterHint : 0
; COMPUTE_PGM_RSRC2:SCRATCH_EN: 1
; COMPUTE_PGM_RSRC2:USER_SGPR: 15
; COMPUTE_PGM_RSRC2:TRAP_HANDLER: 0
; COMPUTE_PGM_RSRC2:TGID_X_EN: 1
; COMPUTE_PGM_RSRC2:TGID_Y_EN: 0
; COMPUTE_PGM_RSRC2:TGID_Z_EN: 0
; COMPUTE_PGM_RSRC2:TIDIG_COMP_CNT: 0
	.section	.text._ZN5aiter20topk_softplus_kernelI12hip_bfloat16fDv4_fLb1ELi1EEEvPKT_PKT0_PfPimiiif,"axG",@progbits,_ZN5aiter20topk_softplus_kernelI12hip_bfloat16fDv4_fLb1ELi1EEEvPKT_PKT0_PfPimiiif,comdat
	.protected	_ZN5aiter20topk_softplus_kernelI12hip_bfloat16fDv4_fLb1ELi1EEEvPKT_PKT0_PfPimiiif ; -- Begin function _ZN5aiter20topk_softplus_kernelI12hip_bfloat16fDv4_fLb1ELi1EEEvPKT_PKT0_PfPimiiif
	.globl	_ZN5aiter20topk_softplus_kernelI12hip_bfloat16fDv4_fLb1ELi1EEEvPKT_PKT0_PfPimiiif
	.p2align	8
	.type	_ZN5aiter20topk_softplus_kernelI12hip_bfloat16fDv4_fLb1ELi1EEEvPKT_PKT0_PfPimiiif,@function
_ZN5aiter20topk_softplus_kernelI12hip_bfloat16fDv4_fLb1ELi1EEEvPKT_PKT0_PfPimiiif: ; @_ZN5aiter20topk_softplus_kernelI12hip_bfloat16fDv4_fLb1ELi1EEEvPKT_PKT0_PfPimiiif
; %bb.0:
	s_clause 0x1
	s_load_b64 s[12:13], s[0:1], 0x28
	s_load_b256 s[4:11], s[0:1], 0x0
	v_lshlrev_b32_e32 v11, 2, v0
	v_lshl_add_u32 v12, v0, 4, 0
	s_waitcnt lgkmcnt(0)
	s_ashr_i32 s2, s12, 31
	s_mul_i32 s16, s15, s12
	s_lshr_b32 s2, s2, 30
	s_ashr_i32 s17, s16, 31
	s_add_i32 s2, s12, s2
	s_delay_alu instid0(SALU_CYCLE_1) | instskip(NEXT) | instid1(SALU_CYCLE_1)
	s_ashr_i32 s14, s2, 2
	v_cmp_gt_i32_e64 s2, s14, v0
	s_delay_alu instid0(VALU_DEP_1)
	s_and_saveexec_b32 s18, s2
	s_cbranch_execz .LBB213_11
; %bb.1:
	s_load_b32 s3, s[0:1], 0x44
	s_cmp_lg_u64 s[6:7], 0
	v_dual_mov_b32 v6, 0 :: v_dual_lshlrev_b32 v1, 3, v0
	s_cselect_b32 s20, -1, 0
	v_dual_mov_b32 v14, v0 :: v_dual_lshlrev_b32 v5, 2, v0
	v_lshl_add_u32 v13, v0, 4, 0
	s_mov_b32 s19, 0
	s_waitcnt lgkmcnt(0)
	s_and_b32 s21, s3, 0xffff
	s_add_u32 s22, s6, 4
	s_addc_u32 s23, s7, 0
	s_add_u32 s24, s6, 8
	s_addc_u32 s25, s7, 0
	;; [unrolled: 2-line block ×3, first 2 shown]
	s_lshl_b64 s[28:29], s[16:17], 1
	s_delay_alu instid0(SALU_CYCLE_1) | instskip(SKIP_2) | instid1(VALU_DEP_1)
	s_add_u32 s3, s4, s28
	s_addc_u32 s28, s5, s29
	v_add_co_u32 v7, s3, s3, v1
	v_add_co_ci_u32_e64 v8, null, s28, 0, s3
	s_lshl_b32 s28, s21, 3
	s_lshl_b32 s29, s21, 2
	s_lshl_b32 s30, s21, 4
	s_branch .LBB213_3
.LBB213_2:                              ;   in Loop: Header=BB213_3 Depth=1
	v_add_nc_u32_e32 v14, s21, v14
	v_add_co_u32 v7, s3, v7, s28
	ds_store_b128 v13, v[1:4]
	v_add_co_ci_u32_e64 v8, s3, 0, v8, s3
	v_cmp_le_i32_e32 vcc_lo, s14, v14
	v_add_nc_u32_e32 v5, s29, v5
	v_add_nc_u32_e32 v13, s30, v13
	s_or_b32 s19, vcc_lo, s19
	s_delay_alu instid0(SALU_CYCLE_1)
	s_and_not1_b32 exec_lo, exec_lo, s19
	s_cbranch_execz .LBB213_11
.LBB213_3:                              ; =>This Inner Loop Header: Depth=1
	global_load_b64 v[3:4], v[7:8], off
	v_lshlrev_b64 v[9:10], 2, v[5:6]
	s_waitcnt vmcnt(0)
	v_and_b32_e32 v1, 0xffff, v3
	s_delay_alu instid0(VALU_DEP_1) | instskip(NEXT) | instid1(VALU_DEP_1)
	v_cvt_f32_u32_e32 v1, v1
	v_mul_f32_e32 v2, 0xbfb8aa3b, v1
	s_delay_alu instid0(VALU_DEP_1) | instskip(SKIP_1) | instid1(VALU_DEP_1)
	v_cmp_gt_f32_e32 vcc_lo, 0xc2fc0000, v2
	v_cndmask_b32_e64 v2, 0, 0x42800000, vcc_lo
	v_fmac_f32_e32 v2, 0xbfb8aa3b, v1
	s_delay_alu instid0(VALU_DEP_1) | instskip(SKIP_4) | instid1(VALU_DEP_1)
	v_exp_f32_e32 v1, v2
	v_cndmask_b32_e64 v2, 1.0, 0x1f800000, vcc_lo
	s_and_not1_b32 vcc_lo, exec_lo, s20
	s_waitcnt_depctr 0xfff
	v_fma_f32 v1, v1, v2, 1.0
	v_rcp_f32_e32 v1, v1
	s_cbranch_vccnz .LBB213_5
; %bb.4:                                ;   in Loop: Header=BB213_3 Depth=1
	v_add_co_u32 v15, vcc_lo, s6, v9
	v_add_co_ci_u32_e32 v16, vcc_lo, s7, v10, vcc_lo
	global_load_b32 v2, v[15:16], off
	s_waitcnt vmcnt(0)
	v_add_f32_e32 v1, v1, v2
.LBB213_5:                              ;   in Loop: Header=BB213_3 Depth=1
	v_lshrrev_b32_e32 v2, 16, v3
	s_delay_alu instid0(VALU_DEP_1) | instskip(NEXT) | instid1(VALU_DEP_1)
	v_cvt_f32_u32_e32 v2, v2
	v_mul_f32_e32 v3, 0xbfb8aa3b, v2
	s_delay_alu instid0(VALU_DEP_1) | instskip(SKIP_1) | instid1(VALU_DEP_1)
	v_cmp_gt_f32_e32 vcc_lo, 0xc2fc0000, v3
	v_cndmask_b32_e64 v3, 0, 0x42800000, vcc_lo
	v_fmac_f32_e32 v3, 0xbfb8aa3b, v2
	s_delay_alu instid0(VALU_DEP_1) | instskip(SKIP_4) | instid1(VALU_DEP_1)
	v_exp_f32_e32 v2, v3
	v_cndmask_b32_e64 v3, 1.0, 0x1f800000, vcc_lo
	s_and_not1_b32 vcc_lo, exec_lo, s20
	s_waitcnt_depctr 0xfff
	v_fma_f32 v2, v2, v3, 1.0
	v_rcp_f32_e32 v2, v2
	s_cbranch_vccnz .LBB213_7
; %bb.6:                                ;   in Loop: Header=BB213_3 Depth=1
	v_add_co_u32 v15, vcc_lo, s22, v9
	v_add_co_ci_u32_e32 v16, vcc_lo, s23, v10, vcc_lo
	global_load_b32 v3, v[15:16], off
	s_waitcnt vmcnt(0)
	v_add_f32_e32 v2, v2, v3
.LBB213_7:                              ;   in Loop: Header=BB213_3 Depth=1
	v_and_b32_e32 v3, 0xffff, v4
	s_delay_alu instid0(VALU_DEP_1) | instskip(NEXT) | instid1(VALU_DEP_1)
	v_cvt_f32_u32_e32 v3, v3
	v_mul_f32_e32 v15, 0xbfb8aa3b, v3
	s_delay_alu instid0(VALU_DEP_1) | instskip(SKIP_1) | instid1(VALU_DEP_1)
	v_cmp_gt_f32_e32 vcc_lo, 0xc2fc0000, v15
	v_cndmask_b32_e64 v15, 0, 0x42800000, vcc_lo
	v_fmac_f32_e32 v15, 0xbfb8aa3b, v3
	s_delay_alu instid0(VALU_DEP_1) | instskip(SKIP_4) | instid1(VALU_DEP_1)
	v_exp_f32_e32 v3, v15
	v_cndmask_b32_e64 v15, 1.0, 0x1f800000, vcc_lo
	s_and_not1_b32 vcc_lo, exec_lo, s20
	s_waitcnt_depctr 0xfff
	v_fma_f32 v3, v3, v15, 1.0
	v_rcp_f32_e32 v3, v3
	s_cbranch_vccnz .LBB213_9
; %bb.8:                                ;   in Loop: Header=BB213_3 Depth=1
	v_add_co_u32 v15, vcc_lo, s24, v9
	v_add_co_ci_u32_e32 v16, vcc_lo, s25, v10, vcc_lo
	global_load_b32 v15, v[15:16], off
	s_waitcnt vmcnt(0)
	v_add_f32_e32 v3, v3, v15
.LBB213_9:                              ;   in Loop: Header=BB213_3 Depth=1
	v_lshrrev_b32_e32 v4, 16, v4
	s_delay_alu instid0(VALU_DEP_1) | instskip(NEXT) | instid1(VALU_DEP_1)
	v_cvt_f32_u32_e32 v4, v4
	v_mul_f32_e32 v15, 0xbfb8aa3b, v4
	s_delay_alu instid0(VALU_DEP_1) | instskip(SKIP_1) | instid1(VALU_DEP_1)
	v_cmp_gt_f32_e32 vcc_lo, 0xc2fc0000, v15
	v_cndmask_b32_e64 v15, 0, 0x42800000, vcc_lo
	v_fmac_f32_e32 v15, 0xbfb8aa3b, v4
	s_delay_alu instid0(VALU_DEP_1) | instskip(SKIP_4) | instid1(VALU_DEP_1)
	v_exp_f32_e32 v4, v15
	v_cndmask_b32_e64 v15, 1.0, 0x1f800000, vcc_lo
	s_and_not1_b32 vcc_lo, exec_lo, s20
	s_waitcnt_depctr 0xfff
	v_fma_f32 v4, v4, v15, 1.0
	v_rcp_f32_e32 v4, v4
	s_cbranch_vccnz .LBB213_2
; %bb.10:                               ;   in Loop: Header=BB213_3 Depth=1
	v_add_co_u32 v9, vcc_lo, s26, v9
	v_add_co_ci_u32_e32 v10, vcc_lo, s27, v10, vcc_lo
	global_load_b32 v9, v[9:10], off
	s_waitcnt vmcnt(0)
	v_add_f32_e32 v4, v4, v9
	s_branch .LBB213_2
.LBB213_11:
	s_or_b32 exec_lo, exec_lo, s18
	v_lshl_add_u32 v1, s14, 2, v0
	s_mov_b32 s3, exec_lo
	s_delay_alu instid0(VALU_DEP_1)
	v_cmpx_gt_i32_e64 s12, v1
	s_cbranch_execz .LBB213_16
; %bb.12:
	s_load_b32 s18, s[0:1], 0x44
	s_lshl_b64 s[16:17], s[16:17], 1
	v_lshlrev_b32_e32 v2, 2, v0
	s_add_u32 s4, s4, s16
	s_addc_u32 s5, s5, s17
	s_cmp_lg_u64 s[6:7], 0
	s_cselect_b32 s16, -1, 0
	s_lshl_b32 s17, s14, 4
	s_delay_alu instid0(SALU_CYCLE_1)
	v_add3_u32 v3, 0, s17, v2
	s_waitcnt lgkmcnt(0)
	s_and_b32 s17, s18, 0xffff
	s_mov_b32 s18, 0
	s_lshl_b32 s19, s17, 2
	s_set_inst_prefetch_distance 0x1
	s_branch .LBB213_14
	.p2align	6
.LBB213_13:                             ;   in Loop: Header=BB213_14 Depth=1
	v_add_nc_u32_e32 v1, s17, v1
	v_add_nc_u32_e32 v3, s19, v3
	s_delay_alu instid0(VALU_DEP_2) | instskip(SKIP_1) | instid1(SALU_CYCLE_1)
	v_cmp_le_i32_e32 vcc_lo, s12, v1
	s_or_b32 s18, vcc_lo, s18
	s_and_not1_b32 exec_lo, exec_lo, s18
	s_cbranch_execz .LBB213_16
.LBB213_14:                             ; =>This Inner Loop Header: Depth=1
	v_ashrrev_i32_e32 v2, 31, v1
	s_delay_alu instid0(VALU_DEP_1) | instskip(NEXT) | instid1(VALU_DEP_1)
	v_lshlrev_b64 v[4:5], 1, v[1:2]
	v_add_co_u32 v4, vcc_lo, s4, v4
	s_delay_alu instid0(VALU_DEP_2) | instskip(SKIP_3) | instid1(VALU_DEP_1)
	v_add_co_ci_u32_e32 v5, vcc_lo, s5, v5, vcc_lo
	global_load_u16 v4, v[4:5], off
	s_waitcnt vmcnt(0)
	v_lshlrev_b32_e32 v4, 16, v4
	v_mul_f32_e32 v5, 0xbfb8aa3b, v4
	s_delay_alu instid0(VALU_DEP_1) | instskip(SKIP_1) | instid1(VALU_DEP_1)
	v_cmp_gt_f32_e32 vcc_lo, 0xc2fc0000, v5
	v_cndmask_b32_e64 v5, 0, 0x42800000, vcc_lo
	v_fmac_f32_e32 v5, 0xbfb8aa3b, v4
	s_delay_alu instid0(VALU_DEP_1) | instskip(SKIP_4) | instid1(VALU_DEP_1)
	v_exp_f32_e32 v4, v5
	v_cndmask_b32_e64 v5, 1.0, 0x1f800000, vcc_lo
	s_and_not1_b32 vcc_lo, exec_lo, s16
	s_waitcnt_depctr 0xfff
	v_fma_f32 v4, v4, v5, 1.0
	v_rcp_f32_e32 v4, v4
	ds_store_b32 v3, v4
	s_cbranch_vccnz .LBB213_13
; %bb.15:                               ;   in Loop: Header=BB213_14 Depth=1
	v_lshlrev_b64 v[5:6], 2, v[1:2]
	s_delay_alu instid0(VALU_DEP_1) | instskip(NEXT) | instid1(VALU_DEP_2)
	v_add_co_u32 v5, vcc_lo, s6, v5
	v_add_co_ci_u32_e32 v6, vcc_lo, s7, v6, vcc_lo
	global_load_b32 v2, v[5:6], off
	s_waitcnt vmcnt(0)
	v_add_f32_e32 v2, v4, v2
	ds_store_b32 v3, v2
	s_branch .LBB213_13
.LBB213_16:
	s_set_inst_prefetch_distance 0x2
	s_or_b32 exec_lo, exec_lo, s3
	v_mov_b32_e32 v2, 0
	s_cmp_lt_i32 s13, 1
	s_waitcnt lgkmcnt(0)
	s_barrier
	buffer_gl0_inv
	s_cbranch_scc1 .LBB213_25
; %bb.17:
	s_add_u32 s4, s0, 56
	s_addc_u32 s5, s1, 0
	v_dual_mov_b32 v2, 0 :: v_dual_mov_b32 v1, 0
	v_dual_mov_b32 v4, 0xff800000 :: v_dual_mov_b32 v3, 0
	s_cmp_lg_u64 s[6:7], 0
	s_mov_b32 s18, 0
	s_cselect_b32 s12, -1, 0
	s_mov_b32 s19, 0x76543210
	s_branch .LBB213_19
.LBB213_18:                             ;   in Loop: Header=BB213_19 Depth=1
	v_cmp_eq_u32_e32 vcc_lo, s18, v0
	s_delay_alu instid0(VALU_DEP_2) | instskip(NEXT) | instid1(VALU_DEP_2)
	s_lshl_b32 s3, s16, 2
	v_add_f32_e32 v3, v3, v7
	s_add_i32 s3, s3, 0
	s_add_i32 s18, s18, 1
	v_cndmask_b32_e64 v1, v1, s16, vcc_lo
	v_dual_mov_b32 v5, s3 :: v_dual_cndmask_b32 v2, v2, v7
	s_cmp_eq_u32 s18, s13
	ds_store_b32 v5, v4
	s_cbranch_scc1 .LBB213_26
.LBB213_19:                             ; =>This Loop Header: Depth=1
                                        ;     Child Loop BB213_21 Depth 2
	v_dual_mov_b32 v5, s18 :: v_dual_mov_b32 v6, 0xff800000
	s_and_saveexec_b32 s16, s2
	s_cbranch_execz .LBB213_23
; %bb.20:                               ;   in Loop: Header=BB213_19 Depth=1
	s_load_b32 s3, s[4:5], 0xc
	v_dual_mov_b32 v5, s18 :: v_dual_mov_b32 v6, 0xff800000
	v_dual_mov_b32 v7, v12 :: v_dual_mov_b32 v8, v11
	v_mov_b32_e32 v9, v0
	s_mov_b32 s21, 0
	s_waitcnt lgkmcnt(0)
	s_and_b32 s17, s3, 0xffff
	s_delay_alu instid0(SALU_CYCLE_1)
	s_lshl_b32 s20, s17, 2
	s_lshl_b32 s22, s17, 4
	.p2align	6
.LBB213_21:                             ;   Parent Loop BB213_19 Depth=1
                                        ; =>  This Inner Loop Header: Depth=2
	ds_load_b128 v[13:16], v7
	v_add_nc_u32_e32 v7, s22, v7
	s_waitcnt lgkmcnt(0)
	v_cmp_gt_f32_e32 vcc_lo, v13, v6
	v_dual_cndmask_b32 v6, v6, v13 :: v_dual_cndmask_b32 v5, v5, v8
	v_add_nc_u32_e32 v13, 2, v8
	v_add_nc_u32_e32 v10, 1, v8
	s_delay_alu instid0(VALU_DEP_3) | instskip(SKIP_1) | instid1(VALU_DEP_3)
	v_cmp_gt_f32_e32 vcc_lo, v14, v6
	v_cndmask_b32_e32 v6, v6, v14, vcc_lo
	v_dual_cndmask_b32 v5, v5, v10 :: v_dual_add_nc_u32 v10, 3, v8
	s_delay_alu instid0(VALU_DEP_2) | instskip(NEXT) | instid1(VALU_DEP_2)
	v_cmp_gt_f32_e32 vcc_lo, v15, v6
	v_dual_cndmask_b32 v6, v6, v15 :: v_dual_cndmask_b32 v5, v5, v13
	s_delay_alu instid0(VALU_DEP_1) | instskip(SKIP_1) | instid1(VALU_DEP_3)
	v_cmp_gt_f32_e32 vcc_lo, v16, v6
	v_add_nc_u32_e32 v9, s17, v9
	v_dual_cndmask_b32 v5, v5, v10 :: v_dual_add_nc_u32 v8, s20, v8
	v_cndmask_b32_e32 v6, v6, v16, vcc_lo
	s_delay_alu instid0(VALU_DEP_3) | instskip(NEXT) | instid1(VALU_DEP_1)
	v_cmp_le_i32_e64 s3, s14, v9
	s_or_b32 s21, s3, s21
	s_delay_alu instid0(SALU_CYCLE_1)
	s_and_not1_b32 exec_lo, exec_lo, s21
	s_cbranch_execnz .LBB213_21
; %bb.22:                               ;   in Loop: Header=BB213_19 Depth=1
	s_or_b32 exec_lo, exec_lo, s21
.LBB213_23:                             ;   in Loop: Header=BB213_19 Depth=1
	s_delay_alu instid0(SALU_CYCLE_1)
	s_or_b32 exec_lo, exec_lo, s16
	;;#ASMSTART
	v_max_f32 v7, v6, v6 quad_perm:[1,0,3,2] row_mask:0xf bank_mask:0xf bound_ctrl:1
	;;#ASMEND
	;;#ASMSTART
	v_max_f32 v8, v7, v7 quad_perm:[2,3,0,1] row_mask:0xf bank_mask:0xf bound_ctrl:1
	;;#ASMEND
	;;#ASMSTART
	v_max_f32 v7, v8, v8 row_half_mirror row_mask:0xf bank_mask:0xf bound_ctrl:1
	;;#ASMEND
	;;#ASMSTART
	v_max_f32 v8, v7, v7 row_mirror row_mask:0xf bank_mask:0xf bound_ctrl:1
	;;#ASMEND
	v_permlanex16_b32 v7, v8, s19, 0xfedcba98 op_sel:[1,1]
	s_delay_alu instid0(VALU_DEP_1) | instskip(NEXT) | instid1(VALU_DEP_1)
	v_dual_max_f32 v8, v8, v8 :: v_dual_max_f32 v7, v7, v7
	v_max_f32_e32 v7, v8, v7
	s_delay_alu instid0(VALU_DEP_1)
	v_cmp_eq_f32_e32 vcc_lo, v6, v7
	s_ctz_i32_b32 s3, vcc_lo
	s_cmp_lg_u32 vcc_lo, 0
	s_cselect_b32 s3, s3, 0
	s_and_b32 vcc_lo, exec_lo, s12
	v_readlane_b32 s16, v5, s3
	s_cbranch_vccz .LBB213_18
; %bb.24:                               ;   in Loop: Header=BB213_19 Depth=1
	s_delay_alu instid0(VALU_DEP_1) | instskip(NEXT) | instid1(SALU_CYCLE_1)
	s_ashr_i32 s17, s16, 31
	s_lshl_b64 s[20:21], s[16:17], 2
	s_delay_alu instid0(SALU_CYCLE_1)
	s_add_u32 s20, s6, s20
	s_addc_u32 s21, s7, s21
	s_load_b32 s3, s[20:21], 0x0
	s_waitcnt lgkmcnt(0)
	v_subrev_f32_e32 v7, s3, v7
	s_branch .LBB213_18
.LBB213_25:
	v_mov_b32_e32 v1, 0
	v_mov_b32_e32 v3, 0
.LBB213_26:
	s_mov_b32 s2, exec_lo
	v_cmpx_gt_i32_e64 s13, v0
	s_cbranch_execz .LBB213_29
; %bb.27:
	s_clause 0x1
	s_load_b32 s2, s[0:1], 0x34
	s_load_b32 s3, s[0:1], 0x44
	v_max_f32_e32 v3, v3, v3
	s_load_b64 s[0:1], s[0:1], 0x20
	s_ashr_i32 s4, s15, 31
	s_delay_alu instid0(VALU_DEP_1) | instskip(SKIP_1) | instid1(VALU_DEP_1)
	v_max_f32_e32 v3, 0x1e3ce508, v3
	s_waitcnt lgkmcnt(0)
	v_div_scale_f32 v4, null, v3, v3, s2
	v_div_scale_f32 v7, vcc_lo, s2, v3, s2
	s_mul_i32 s1, s15, s1
	s_delay_alu instid0(VALU_DEP_2) | instskip(SKIP_4) | instid1(VALU_DEP_1)
	v_rcp_f32_e32 v5, v4
	s_mul_i32 s4, s4, s0
	s_and_b32 s3, s3, 0xffff
	s_waitcnt_depctr 0xfff
	v_fma_f32 v6, -v4, v5, 1.0
	v_fmac_f32_e32 v5, v6, v5
	s_delay_alu instid0(VALU_DEP_1) | instskip(NEXT) | instid1(VALU_DEP_1)
	v_mul_f32_e32 v6, v7, v5
	v_fma_f32 v8, -v4, v6, v7
	s_delay_alu instid0(VALU_DEP_1) | instskip(NEXT) | instid1(VALU_DEP_1)
	v_fmac_f32_e32 v6, v8, v5
	v_fma_f32 v4, -v4, v6, v7
	s_delay_alu instid0(VALU_DEP_1) | instskip(NEXT) | instid1(VALU_DEP_1)
	v_div_fmas_f32 v4, v4, v5, v6
	v_div_fixup_f32 v3, v4, v3, s2
	s_mul_hi_u32 s2, s15, s0
	s_delay_alu instid0(SALU_CYCLE_1) | instskip(SKIP_1) | instid1(VALU_DEP_1)
	s_add_i32 s1, s2, s1
	s_mul_i32 s2, s15, s0
	v_mul_f32_e32 v2, v2, v3
	s_add_i32 s1, s1, s4
	s_mov_b32 s4, 0
	.p2align	6
.LBB213_28:                             ; =>This Inner Loop Header: Depth=1
	v_ashrrev_i32_e32 v4, 31, v0
	v_add_co_u32 v3, vcc_lo, s2, v0
	v_add_nc_u32_e32 v0, s3, v0
	s_delay_alu instid0(VALU_DEP_3) | instskip(NEXT) | instid1(VALU_DEP_2)
	v_add_co_ci_u32_e32 v4, vcc_lo, s1, v4, vcc_lo
	v_cmp_le_i32_e32 vcc_lo, s13, v0
	s_delay_alu instid0(VALU_DEP_2) | instskip(SKIP_1) | instid1(VALU_DEP_1)
	v_lshlrev_b64 v[3:4], 2, v[3:4]
	s_or_b32 s4, vcc_lo, s4
	v_add_co_u32 v5, s0, s8, v3
	s_delay_alu instid0(VALU_DEP_1) | instskip(SKIP_1) | instid1(VALU_DEP_1)
	v_add_co_ci_u32_e64 v6, s0, s9, v4, s0
	v_add_co_u32 v3, s0, s10, v3
	v_add_co_ci_u32_e64 v4, s0, s11, v4, s0
	global_store_b32 v[5:6], v2, off
	global_store_b32 v[3:4], v1, off
	s_and_not1_b32 exec_lo, exec_lo, s4
	s_cbranch_execnz .LBB213_28
.LBB213_29:
	s_nop 0
	s_sendmsg sendmsg(MSG_DEALLOC_VGPRS)
	s_endpgm
	.section	.rodata,"a",@progbits
	.p2align	6, 0x0
	.amdhsa_kernel _ZN5aiter20topk_softplus_kernelI12hip_bfloat16fDv4_fLb1ELi1EEEvPKT_PKT0_PfPimiiif
		.amdhsa_group_segment_fixed_size 0
		.amdhsa_private_segment_fixed_size 0
		.amdhsa_kernarg_size 312
		.amdhsa_user_sgpr_count 15
		.amdhsa_user_sgpr_dispatch_ptr 0
		.amdhsa_user_sgpr_queue_ptr 0
		.amdhsa_user_sgpr_kernarg_segment_ptr 1
		.amdhsa_user_sgpr_dispatch_id 0
		.amdhsa_user_sgpr_private_segment_size 0
		.amdhsa_wavefront_size32 1
		.amdhsa_uses_dynamic_stack 0
		.amdhsa_enable_private_segment 0
		.amdhsa_system_sgpr_workgroup_id_x 1
		.amdhsa_system_sgpr_workgroup_id_y 0
		.amdhsa_system_sgpr_workgroup_id_z 0
		.amdhsa_system_sgpr_workgroup_info 0
		.amdhsa_system_vgpr_workitem_id 0
		.amdhsa_next_free_vgpr 17
		.amdhsa_next_free_sgpr 31
		.amdhsa_reserve_vcc 1
		.amdhsa_float_round_mode_32 0
		.amdhsa_float_round_mode_16_64 0
		.amdhsa_float_denorm_mode_32 3
		.amdhsa_float_denorm_mode_16_64 3
		.amdhsa_dx10_clamp 1
		.amdhsa_ieee_mode 1
		.amdhsa_fp16_overflow 0
		.amdhsa_workgroup_processor_mode 1
		.amdhsa_memory_ordered 1
		.amdhsa_forward_progress 0
		.amdhsa_shared_vgpr_count 0
		.amdhsa_exception_fp_ieee_invalid_op 0
		.amdhsa_exception_fp_denorm_src 0
		.amdhsa_exception_fp_ieee_div_zero 0
		.amdhsa_exception_fp_ieee_overflow 0
		.amdhsa_exception_fp_ieee_underflow 0
		.amdhsa_exception_fp_ieee_inexact 0
		.amdhsa_exception_int_div_zero 0
	.end_amdhsa_kernel
	.section	.text._ZN5aiter20topk_softplus_kernelI12hip_bfloat16fDv4_fLb1ELi1EEEvPKT_PKT0_PfPimiiif,"axG",@progbits,_ZN5aiter20topk_softplus_kernelI12hip_bfloat16fDv4_fLb1ELi1EEEvPKT_PKT0_PfPimiiif,comdat
.Lfunc_end213:
	.size	_ZN5aiter20topk_softplus_kernelI12hip_bfloat16fDv4_fLb1ELi1EEEvPKT_PKT0_PfPimiiif, .Lfunc_end213-_ZN5aiter20topk_softplus_kernelI12hip_bfloat16fDv4_fLb1ELi1EEEvPKT_PKT0_PfPimiiif
                                        ; -- End function
	.section	.AMDGPU.csdata,"",@progbits
; Kernel info:
; codeLenInByte = 2000
; NumSgprs: 33
; NumVgprs: 17
; ScratchSize: 0
; MemoryBound: 0
; FloatMode: 240
; IeeeMode: 1
; LDSByteSize: 0 bytes/workgroup (compile time only)
; SGPRBlocks: 4
; VGPRBlocks: 2
; NumSGPRsForWavesPerEU: 33
; NumVGPRsForWavesPerEU: 17
; Occupancy: 16
; WaveLimiterHint : 0
; COMPUTE_PGM_RSRC2:SCRATCH_EN: 0
; COMPUTE_PGM_RSRC2:USER_SGPR: 15
; COMPUTE_PGM_RSRC2:TRAP_HANDLER: 0
; COMPUTE_PGM_RSRC2:TGID_X_EN: 1
; COMPUTE_PGM_RSRC2:TGID_Y_EN: 0
; COMPUTE_PGM_RSRC2:TGID_Z_EN: 0
; COMPUTE_PGM_RSRC2:TIDIG_COMP_CNT: 0
	.section	.text._ZN5aiter20topk_softplus_kernelI12hip_bfloat16fDv4_fLb0ELi1EEEvPKT_PKT0_PfPimiiif,"axG",@progbits,_ZN5aiter20topk_softplus_kernelI12hip_bfloat16fDv4_fLb0ELi1EEEvPKT_PKT0_PfPimiiif,comdat
	.protected	_ZN5aiter20topk_softplus_kernelI12hip_bfloat16fDv4_fLb0ELi1EEEvPKT_PKT0_PfPimiiif ; -- Begin function _ZN5aiter20topk_softplus_kernelI12hip_bfloat16fDv4_fLb0ELi1EEEvPKT_PKT0_PfPimiiif
	.globl	_ZN5aiter20topk_softplus_kernelI12hip_bfloat16fDv4_fLb0ELi1EEEvPKT_PKT0_PfPimiiif
	.p2align	8
	.type	_ZN5aiter20topk_softplus_kernelI12hip_bfloat16fDv4_fLb0ELi1EEEvPKT_PKT0_PfPimiiif,@function
_ZN5aiter20topk_softplus_kernelI12hip_bfloat16fDv4_fLb0ELi1EEEvPKT_PKT0_PfPimiiif: ; @_ZN5aiter20topk_softplus_kernelI12hip_bfloat16fDv4_fLb0ELi1EEEvPKT_PKT0_PfPimiiif
; %bb.0:
	s_clause 0x1
	s_load_b64 s[12:13], s[0:1], 0x28
	s_load_b256 s[4:11], s[0:1], 0x0
	v_lshlrev_b32_e32 v11, 2, v0
	v_lshl_add_u32 v12, v0, 4, 0
	s_waitcnt lgkmcnt(0)
	s_ashr_i32 s2, s12, 31
	s_mul_i32 s16, s15, s12
	s_lshr_b32 s2, s2, 30
	s_ashr_i32 s17, s16, 31
	s_add_i32 s2, s12, s2
	s_delay_alu instid0(SALU_CYCLE_1) | instskip(NEXT) | instid1(SALU_CYCLE_1)
	s_ashr_i32 s14, s2, 2
	v_cmp_gt_i32_e64 s2, s14, v0
	s_delay_alu instid0(VALU_DEP_1)
	s_and_saveexec_b32 s18, s2
	s_cbranch_execz .LBB214_11
; %bb.1:
	s_load_b32 s3, s[0:1], 0x44
	s_cmp_lg_u64 s[6:7], 0
	v_dual_mov_b32 v6, 0 :: v_dual_lshlrev_b32 v1, 3, v0
	s_cselect_b32 s20, -1, 0
	v_dual_mov_b32 v14, v0 :: v_dual_lshlrev_b32 v5, 2, v0
	v_lshl_add_u32 v13, v0, 4, 0
	s_mov_b32 s19, 0
	s_waitcnt lgkmcnt(0)
	s_and_b32 s21, s3, 0xffff
	s_add_u32 s22, s6, 4
	s_addc_u32 s23, s7, 0
	s_add_u32 s24, s6, 8
	s_addc_u32 s25, s7, 0
	;; [unrolled: 2-line block ×3, first 2 shown]
	s_lshl_b64 s[28:29], s[16:17], 1
	s_delay_alu instid0(SALU_CYCLE_1) | instskip(SKIP_2) | instid1(VALU_DEP_1)
	s_add_u32 s3, s4, s28
	s_addc_u32 s28, s5, s29
	v_add_co_u32 v7, s3, s3, v1
	v_add_co_ci_u32_e64 v8, null, s28, 0, s3
	s_lshl_b32 s28, s21, 3
	s_lshl_b32 s29, s21, 2
	;; [unrolled: 1-line block ×3, first 2 shown]
	s_branch .LBB214_3
.LBB214_2:                              ;   in Loop: Header=BB214_3 Depth=1
	v_add_nc_u32_e32 v14, s21, v14
	v_add_co_u32 v7, s3, v7, s28
	ds_store_b128 v13, v[1:4]
	v_add_co_ci_u32_e64 v8, s3, 0, v8, s3
	v_cmp_le_i32_e32 vcc_lo, s14, v14
	v_add_nc_u32_e32 v5, s29, v5
	v_add_nc_u32_e32 v13, s30, v13
	s_or_b32 s19, vcc_lo, s19
	s_delay_alu instid0(SALU_CYCLE_1)
	s_and_not1_b32 exec_lo, exec_lo, s19
	s_cbranch_execz .LBB214_11
.LBB214_3:                              ; =>This Inner Loop Header: Depth=1
	global_load_b64 v[3:4], v[7:8], off
	v_lshlrev_b64 v[9:10], 2, v[5:6]
	s_waitcnt vmcnt(0)
	v_and_b32_e32 v1, 0xffff, v3
	s_delay_alu instid0(VALU_DEP_1) | instskip(NEXT) | instid1(VALU_DEP_1)
	v_cvt_f32_u32_e32 v1, v1
	v_mul_f32_e32 v2, 0xbfb8aa3b, v1
	s_delay_alu instid0(VALU_DEP_1) | instskip(SKIP_1) | instid1(VALU_DEP_1)
	v_cmp_gt_f32_e32 vcc_lo, 0xc2fc0000, v2
	v_cndmask_b32_e64 v2, 0, 0x42800000, vcc_lo
	v_fmac_f32_e32 v2, 0xbfb8aa3b, v1
	s_delay_alu instid0(VALU_DEP_1) | instskip(SKIP_4) | instid1(VALU_DEP_1)
	v_exp_f32_e32 v1, v2
	v_cndmask_b32_e64 v2, 1.0, 0x1f800000, vcc_lo
	s_and_not1_b32 vcc_lo, exec_lo, s20
	s_waitcnt_depctr 0xfff
	v_fma_f32 v1, v1, v2, 1.0
	v_rcp_f32_e32 v1, v1
	s_cbranch_vccnz .LBB214_5
; %bb.4:                                ;   in Loop: Header=BB214_3 Depth=1
	v_add_co_u32 v15, vcc_lo, s6, v9
	v_add_co_ci_u32_e32 v16, vcc_lo, s7, v10, vcc_lo
	global_load_b32 v2, v[15:16], off
	s_waitcnt vmcnt(0)
	v_add_f32_e32 v1, v1, v2
.LBB214_5:                              ;   in Loop: Header=BB214_3 Depth=1
	v_lshrrev_b32_e32 v2, 16, v3
	s_delay_alu instid0(VALU_DEP_1) | instskip(NEXT) | instid1(VALU_DEP_1)
	v_cvt_f32_u32_e32 v2, v2
	v_mul_f32_e32 v3, 0xbfb8aa3b, v2
	s_delay_alu instid0(VALU_DEP_1) | instskip(SKIP_1) | instid1(VALU_DEP_1)
	v_cmp_gt_f32_e32 vcc_lo, 0xc2fc0000, v3
	v_cndmask_b32_e64 v3, 0, 0x42800000, vcc_lo
	v_fmac_f32_e32 v3, 0xbfb8aa3b, v2
	s_delay_alu instid0(VALU_DEP_1) | instskip(SKIP_4) | instid1(VALU_DEP_1)
	v_exp_f32_e32 v2, v3
	v_cndmask_b32_e64 v3, 1.0, 0x1f800000, vcc_lo
	s_and_not1_b32 vcc_lo, exec_lo, s20
	s_waitcnt_depctr 0xfff
	v_fma_f32 v2, v2, v3, 1.0
	v_rcp_f32_e32 v2, v2
	s_cbranch_vccnz .LBB214_7
; %bb.6:                                ;   in Loop: Header=BB214_3 Depth=1
	v_add_co_u32 v15, vcc_lo, s22, v9
	v_add_co_ci_u32_e32 v16, vcc_lo, s23, v10, vcc_lo
	global_load_b32 v3, v[15:16], off
	s_waitcnt vmcnt(0)
	v_add_f32_e32 v2, v2, v3
.LBB214_7:                              ;   in Loop: Header=BB214_3 Depth=1
	v_and_b32_e32 v3, 0xffff, v4
	s_delay_alu instid0(VALU_DEP_1) | instskip(NEXT) | instid1(VALU_DEP_1)
	v_cvt_f32_u32_e32 v3, v3
	v_mul_f32_e32 v15, 0xbfb8aa3b, v3
	s_delay_alu instid0(VALU_DEP_1) | instskip(SKIP_1) | instid1(VALU_DEP_1)
	v_cmp_gt_f32_e32 vcc_lo, 0xc2fc0000, v15
	v_cndmask_b32_e64 v15, 0, 0x42800000, vcc_lo
	v_fmac_f32_e32 v15, 0xbfb8aa3b, v3
	s_delay_alu instid0(VALU_DEP_1) | instskip(SKIP_4) | instid1(VALU_DEP_1)
	v_exp_f32_e32 v3, v15
	v_cndmask_b32_e64 v15, 1.0, 0x1f800000, vcc_lo
	s_and_not1_b32 vcc_lo, exec_lo, s20
	s_waitcnt_depctr 0xfff
	v_fma_f32 v3, v3, v15, 1.0
	v_rcp_f32_e32 v3, v3
	s_cbranch_vccnz .LBB214_9
; %bb.8:                                ;   in Loop: Header=BB214_3 Depth=1
	v_add_co_u32 v15, vcc_lo, s24, v9
	v_add_co_ci_u32_e32 v16, vcc_lo, s25, v10, vcc_lo
	global_load_b32 v15, v[15:16], off
	s_waitcnt vmcnt(0)
	v_add_f32_e32 v3, v3, v15
.LBB214_9:                              ;   in Loop: Header=BB214_3 Depth=1
	v_lshrrev_b32_e32 v4, 16, v4
	s_delay_alu instid0(VALU_DEP_1) | instskip(NEXT) | instid1(VALU_DEP_1)
	v_cvt_f32_u32_e32 v4, v4
	v_mul_f32_e32 v15, 0xbfb8aa3b, v4
	s_delay_alu instid0(VALU_DEP_1) | instskip(SKIP_1) | instid1(VALU_DEP_1)
	v_cmp_gt_f32_e32 vcc_lo, 0xc2fc0000, v15
	v_cndmask_b32_e64 v15, 0, 0x42800000, vcc_lo
	v_fmac_f32_e32 v15, 0xbfb8aa3b, v4
	s_delay_alu instid0(VALU_DEP_1) | instskip(SKIP_4) | instid1(VALU_DEP_1)
	v_exp_f32_e32 v4, v15
	v_cndmask_b32_e64 v15, 1.0, 0x1f800000, vcc_lo
	s_and_not1_b32 vcc_lo, exec_lo, s20
	s_waitcnt_depctr 0xfff
	v_fma_f32 v4, v4, v15, 1.0
	v_rcp_f32_e32 v4, v4
	s_cbranch_vccnz .LBB214_2
; %bb.10:                               ;   in Loop: Header=BB214_3 Depth=1
	v_add_co_u32 v9, vcc_lo, s26, v9
	v_add_co_ci_u32_e32 v10, vcc_lo, s27, v10, vcc_lo
	global_load_b32 v9, v[9:10], off
	s_waitcnt vmcnt(0)
	v_add_f32_e32 v4, v4, v9
	s_branch .LBB214_2
.LBB214_11:
	s_or_b32 exec_lo, exec_lo, s18
	v_lshl_add_u32 v1, s14, 2, v0
	s_mov_b32 s3, exec_lo
	s_delay_alu instid0(VALU_DEP_1)
	v_cmpx_gt_i32_e64 s12, v1
	s_cbranch_execz .LBB214_16
; %bb.12:
	s_load_b32 s18, s[0:1], 0x44
	s_lshl_b64 s[16:17], s[16:17], 1
	v_lshlrev_b32_e32 v2, 2, v0
	s_add_u32 s4, s4, s16
	s_addc_u32 s5, s5, s17
	s_cmp_lg_u64 s[6:7], 0
	s_cselect_b32 s16, -1, 0
	s_lshl_b32 s17, s14, 4
	s_delay_alu instid0(SALU_CYCLE_1)
	v_add3_u32 v3, 0, s17, v2
	s_waitcnt lgkmcnt(0)
	s_and_b32 s17, s18, 0xffff
	s_mov_b32 s18, 0
	s_lshl_b32 s19, s17, 2
	s_set_inst_prefetch_distance 0x1
	s_branch .LBB214_14
	.p2align	6
.LBB214_13:                             ;   in Loop: Header=BB214_14 Depth=1
	v_add_nc_u32_e32 v1, s17, v1
	v_add_nc_u32_e32 v3, s19, v3
	s_delay_alu instid0(VALU_DEP_2) | instskip(SKIP_1) | instid1(SALU_CYCLE_1)
	v_cmp_le_i32_e32 vcc_lo, s12, v1
	s_or_b32 s18, vcc_lo, s18
	s_and_not1_b32 exec_lo, exec_lo, s18
	s_cbranch_execz .LBB214_16
.LBB214_14:                             ; =>This Inner Loop Header: Depth=1
	v_ashrrev_i32_e32 v2, 31, v1
	s_delay_alu instid0(VALU_DEP_1) | instskip(NEXT) | instid1(VALU_DEP_1)
	v_lshlrev_b64 v[4:5], 1, v[1:2]
	v_add_co_u32 v4, vcc_lo, s4, v4
	s_delay_alu instid0(VALU_DEP_2) | instskip(SKIP_3) | instid1(VALU_DEP_1)
	v_add_co_ci_u32_e32 v5, vcc_lo, s5, v5, vcc_lo
	global_load_u16 v4, v[4:5], off
	s_waitcnt vmcnt(0)
	v_lshlrev_b32_e32 v4, 16, v4
	v_mul_f32_e32 v5, 0xbfb8aa3b, v4
	s_delay_alu instid0(VALU_DEP_1) | instskip(SKIP_1) | instid1(VALU_DEP_1)
	v_cmp_gt_f32_e32 vcc_lo, 0xc2fc0000, v5
	v_cndmask_b32_e64 v5, 0, 0x42800000, vcc_lo
	v_fmac_f32_e32 v5, 0xbfb8aa3b, v4
	s_delay_alu instid0(VALU_DEP_1) | instskip(SKIP_4) | instid1(VALU_DEP_1)
	v_exp_f32_e32 v4, v5
	v_cndmask_b32_e64 v5, 1.0, 0x1f800000, vcc_lo
	s_and_not1_b32 vcc_lo, exec_lo, s16
	s_waitcnt_depctr 0xfff
	v_fma_f32 v4, v4, v5, 1.0
	v_rcp_f32_e32 v4, v4
	ds_store_b32 v3, v4
	s_cbranch_vccnz .LBB214_13
; %bb.15:                               ;   in Loop: Header=BB214_14 Depth=1
	v_lshlrev_b64 v[5:6], 2, v[1:2]
	s_delay_alu instid0(VALU_DEP_1) | instskip(NEXT) | instid1(VALU_DEP_2)
	v_add_co_u32 v5, vcc_lo, s6, v5
	v_add_co_ci_u32_e32 v6, vcc_lo, s7, v6, vcc_lo
	global_load_b32 v2, v[5:6], off
	s_waitcnt vmcnt(0)
	v_add_f32_e32 v2, v4, v2
	ds_store_b32 v3, v2
	s_branch .LBB214_13
.LBB214_16:
	s_set_inst_prefetch_distance 0x2
	s_or_b32 exec_lo, exec_lo, s3
	s_cmp_lt_i32 s13, 1
	s_waitcnt lgkmcnt(0)
	s_barrier
	buffer_gl0_inv
	s_cbranch_scc1 .LBB214_25
; %bb.17:
	s_add_u32 s4, s0, 56
	s_addc_u32 s5, s1, 0
	v_dual_mov_b32 v2, 0 :: v_dual_mov_b32 v1, 0
	v_mov_b32_e32 v3, 0xff800000
	s_cmp_lg_u64 s[6:7], 0
	s_mov_b32 s18, 0
	s_cselect_b32 s12, -1, 0
	s_mov_b32 s19, 0x76543210
	s_branch .LBB214_19
.LBB214_18:                             ;   in Loop: Header=BB214_19 Depth=1
	v_cmp_eq_u32_e32 vcc_lo, s18, v0
	s_delay_alu instid0(VALU_DEP_2)
	s_lshl_b32 s3, s16, 2
	s_add_i32 s18, s18, 1
	s_add_i32 s3, s3, 0
	s_cmp_eq_u32 s18, s13
	v_cndmask_b32_e64 v1, v1, s16, vcc_lo
	v_mov_b32_e32 v4, s3
	v_cndmask_b32_e32 v2, v2, v6, vcc_lo
	ds_store_b32 v4, v3
	s_cbranch_scc1 .LBB214_26
.LBB214_19:                             ; =>This Loop Header: Depth=1
                                        ;     Child Loop BB214_21 Depth 2
	v_dual_mov_b32 v4, s18 :: v_dual_mov_b32 v5, 0xff800000
	s_and_saveexec_b32 s16, s2
	s_cbranch_execz .LBB214_23
; %bb.20:                               ;   in Loop: Header=BB214_19 Depth=1
	s_load_b32 s3, s[4:5], 0xc
	v_dual_mov_b32 v4, s18 :: v_dual_mov_b32 v5, 0xff800000
	v_dual_mov_b32 v6, v12 :: v_dual_mov_b32 v7, v11
	v_mov_b32_e32 v8, v0
	s_mov_b32 s21, 0
	s_waitcnt lgkmcnt(0)
	s_and_b32 s17, s3, 0xffff
	s_delay_alu instid0(SALU_CYCLE_1)
	s_lshl_b32 s20, s17, 2
	s_lshl_b32 s22, s17, 4
	.p2align	6
.LBB214_21:                             ;   Parent Loop BB214_19 Depth=1
                                        ; =>  This Inner Loop Header: Depth=2
	ds_load_b128 v[13:16], v6
	v_add_nc_u32_e32 v8, s17, v8
	v_add_nc_u32_e32 v10, 2, v7
	;; [unrolled: 1-line block ×3, first 2 shown]
	s_delay_alu instid0(VALU_DEP_3) | instskip(NEXT) | instid1(VALU_DEP_1)
	v_cmp_le_i32_e64 s3, s14, v8
	s_or_b32 s21, s3, s21
	s_waitcnt lgkmcnt(0)
	v_cmp_gt_f32_e32 vcc_lo, v13, v5
	v_dual_cndmask_b32 v5, v5, v13 :: v_dual_cndmask_b32 v4, v4, v7
	s_delay_alu instid0(VALU_DEP_1) | instskip(NEXT) | instid1(VALU_DEP_2)
	v_cmp_gt_f32_e32 vcc_lo, v14, v5
	v_dual_cndmask_b32 v5, v5, v14 :: v_dual_cndmask_b32 v4, v4, v9
	v_add_nc_u32_e32 v9, 3, v7
	s_delay_alu instid0(VALU_DEP_2) | instskip(NEXT) | instid1(VALU_DEP_3)
	v_cmp_gt_f32_e32 vcc_lo, v15, v5
	v_dual_cndmask_b32 v5, v5, v15 :: v_dual_cndmask_b32 v4, v4, v10
	s_delay_alu instid0(VALU_DEP_1) | instskip(SKIP_1) | instid1(VALU_DEP_3)
	v_cmp_gt_f32_e32 vcc_lo, v16, v5
	v_add_nc_u32_e32 v6, s22, v6
	v_dual_cndmask_b32 v4, v4, v9 :: v_dual_add_nc_u32 v7, s20, v7
	v_cndmask_b32_e32 v5, v5, v16, vcc_lo
	s_and_not1_b32 exec_lo, exec_lo, s21
	s_cbranch_execnz .LBB214_21
; %bb.22:                               ;   in Loop: Header=BB214_19 Depth=1
	s_or_b32 exec_lo, exec_lo, s21
.LBB214_23:                             ;   in Loop: Header=BB214_19 Depth=1
	s_delay_alu instid0(SALU_CYCLE_1)
	s_or_b32 exec_lo, exec_lo, s16
	;;#ASMSTART
	v_max_f32 v6, v5, v5 quad_perm:[1,0,3,2] row_mask:0xf bank_mask:0xf bound_ctrl:1
	;;#ASMEND
	;;#ASMSTART
	v_max_f32 v7, v6, v6 quad_perm:[2,3,0,1] row_mask:0xf bank_mask:0xf bound_ctrl:1
	;;#ASMEND
	;;#ASMSTART
	v_max_f32 v6, v7, v7 row_half_mirror row_mask:0xf bank_mask:0xf bound_ctrl:1
	;;#ASMEND
	;;#ASMSTART
	v_max_f32 v7, v6, v6 row_mirror row_mask:0xf bank_mask:0xf bound_ctrl:1
	;;#ASMEND
	v_permlanex16_b32 v6, v7, s19, 0xfedcba98 op_sel:[1,1]
	s_delay_alu instid0(VALU_DEP_1) | instskip(NEXT) | instid1(VALU_DEP_1)
	v_dual_max_f32 v7, v7, v7 :: v_dual_max_f32 v6, v6, v6
	v_max_f32_e32 v6, v7, v6
	s_delay_alu instid0(VALU_DEP_1)
	v_cmp_eq_f32_e32 vcc_lo, v5, v6
	s_ctz_i32_b32 s3, vcc_lo
	s_cmp_lg_u32 vcc_lo, 0
	s_cselect_b32 s3, s3, 0
	s_and_b32 vcc_lo, exec_lo, s12
	v_readlane_b32 s16, v4, s3
	s_cbranch_vccz .LBB214_18
; %bb.24:                               ;   in Loop: Header=BB214_19 Depth=1
	s_delay_alu instid0(VALU_DEP_1) | instskip(NEXT) | instid1(SALU_CYCLE_1)
	s_ashr_i32 s17, s16, 31
	s_lshl_b64 s[20:21], s[16:17], 2
	s_delay_alu instid0(SALU_CYCLE_1)
	s_add_u32 s20, s6, s20
	s_addc_u32 s21, s7, s21
	s_load_b32 s3, s[20:21], 0x0
	s_waitcnt lgkmcnt(0)
	v_subrev_f32_e32 v6, s3, v6
	s_branch .LBB214_18
.LBB214_25:
	v_dual_mov_b32 v2, 0 :: v_dual_mov_b32 v1, 0
.LBB214_26:
	s_mov_b32 s2, exec_lo
	v_cmpx_gt_i32_e64 s13, v0
	s_cbranch_execz .LBB214_29
; %bb.27:
	s_clause 0x2
	s_load_b32 s4, s[0:1], 0x34
	s_load_b64 s[2:3], s[0:1], 0x20
	s_load_b32 s0, s[0:1], 0x44
	s_ashr_i32 s1, s15, 31
	s_waitcnt lgkmcnt(0)
	v_mul_f32_e32 v2, s4, v2
	s_mul_i32 s3, s15, s3
	s_mul_hi_u32 s4, s15, s2
	s_mul_i32 s5, s1, s2
	s_add_i32 s3, s4, s3
	s_mul_i32 s1, s15, s2
	s_and_b32 s2, s0, 0xffff
	s_add_i32 s3, s3, s5
	s_mov_b32 s4, 0
	.p2align	6
.LBB214_28:                             ; =>This Inner Loop Header: Depth=1
	v_ashrrev_i32_e32 v4, 31, v0
	v_add_co_u32 v3, vcc_lo, s1, v0
	v_add_nc_u32_e32 v0, s2, v0
	s_delay_alu instid0(VALU_DEP_3) | instskip(NEXT) | instid1(VALU_DEP_2)
	v_add_co_ci_u32_e32 v4, vcc_lo, s3, v4, vcc_lo
	v_cmp_le_i32_e32 vcc_lo, s13, v0
	s_delay_alu instid0(VALU_DEP_2) | instskip(SKIP_1) | instid1(VALU_DEP_1)
	v_lshlrev_b64 v[3:4], 2, v[3:4]
	s_or_b32 s4, vcc_lo, s4
	v_add_co_u32 v5, s0, s8, v3
	s_delay_alu instid0(VALU_DEP_1) | instskip(SKIP_1) | instid1(VALU_DEP_1)
	v_add_co_ci_u32_e64 v6, s0, s9, v4, s0
	v_add_co_u32 v3, s0, s10, v3
	v_add_co_ci_u32_e64 v4, s0, s11, v4, s0
	global_store_b32 v[5:6], v2, off
	global_store_b32 v[3:4], v1, off
	s_and_not1_b32 exec_lo, exec_lo, s4
	s_cbranch_execnz .LBB214_28
.LBB214_29:
	s_nop 0
	s_sendmsg sendmsg(MSG_DEALLOC_VGPRS)
	s_endpgm
	.section	.rodata,"a",@progbits
	.p2align	6, 0x0
	.amdhsa_kernel _ZN5aiter20topk_softplus_kernelI12hip_bfloat16fDv4_fLb0ELi1EEEvPKT_PKT0_PfPimiiif
		.amdhsa_group_segment_fixed_size 0
		.amdhsa_private_segment_fixed_size 0
		.amdhsa_kernarg_size 312
		.amdhsa_user_sgpr_count 15
		.amdhsa_user_sgpr_dispatch_ptr 0
		.amdhsa_user_sgpr_queue_ptr 0
		.amdhsa_user_sgpr_kernarg_segment_ptr 1
		.amdhsa_user_sgpr_dispatch_id 0
		.amdhsa_user_sgpr_private_segment_size 0
		.amdhsa_wavefront_size32 1
		.amdhsa_uses_dynamic_stack 0
		.amdhsa_enable_private_segment 0
		.amdhsa_system_sgpr_workgroup_id_x 1
		.amdhsa_system_sgpr_workgroup_id_y 0
		.amdhsa_system_sgpr_workgroup_id_z 0
		.amdhsa_system_sgpr_workgroup_info 0
		.amdhsa_system_vgpr_workitem_id 0
		.amdhsa_next_free_vgpr 17
		.amdhsa_next_free_sgpr 31
		.amdhsa_reserve_vcc 1
		.amdhsa_float_round_mode_32 0
		.amdhsa_float_round_mode_16_64 0
		.amdhsa_float_denorm_mode_32 3
		.amdhsa_float_denorm_mode_16_64 3
		.amdhsa_dx10_clamp 1
		.amdhsa_ieee_mode 1
		.amdhsa_fp16_overflow 0
		.amdhsa_workgroup_processor_mode 1
		.amdhsa_memory_ordered 1
		.amdhsa_forward_progress 0
		.amdhsa_shared_vgpr_count 0
		.amdhsa_exception_fp_ieee_invalid_op 0
		.amdhsa_exception_fp_denorm_src 0
		.amdhsa_exception_fp_ieee_div_zero 0
		.amdhsa_exception_fp_ieee_overflow 0
		.amdhsa_exception_fp_ieee_underflow 0
		.amdhsa_exception_fp_ieee_inexact 0
		.amdhsa_exception_int_div_zero 0
	.end_amdhsa_kernel
	.section	.text._ZN5aiter20topk_softplus_kernelI12hip_bfloat16fDv4_fLb0ELi1EEEvPKT_PKT0_PfPimiiif,"axG",@progbits,_ZN5aiter20topk_softplus_kernelI12hip_bfloat16fDv4_fLb0ELi1EEEvPKT_PKT0_PfPimiiif,comdat
.Lfunc_end214:
	.size	_ZN5aiter20topk_softplus_kernelI12hip_bfloat16fDv4_fLb0ELi1EEEvPKT_PKT0_PfPimiiif, .Lfunc_end214-_ZN5aiter20topk_softplus_kernelI12hip_bfloat16fDv4_fLb0ELi1EEEvPKT_PKT0_PfPimiiif
                                        ; -- End function
	.section	.AMDGPU.csdata,"",@progbits
; Kernel info:
; codeLenInByte = 1872
; NumSgprs: 33
; NumVgprs: 17
; ScratchSize: 0
; MemoryBound: 0
; FloatMode: 240
; IeeeMode: 1
; LDSByteSize: 0 bytes/workgroup (compile time only)
; SGPRBlocks: 4
; VGPRBlocks: 2
; NumSGPRsForWavesPerEU: 33
; NumVGPRsForWavesPerEU: 17
; Occupancy: 16
; WaveLimiterHint : 0
; COMPUTE_PGM_RSRC2:SCRATCH_EN: 0
; COMPUTE_PGM_RSRC2:USER_SGPR: 15
; COMPUTE_PGM_RSRC2:TRAP_HANDLER: 0
; COMPUTE_PGM_RSRC2:TGID_X_EN: 1
; COMPUTE_PGM_RSRC2:TGID_Y_EN: 0
; COMPUTE_PGM_RSRC2:TGID_Z_EN: 0
; COMPUTE_PGM_RSRC2:TIDIG_COMP_CNT: 0
	.section	.text._ZN5aiter20topk_softplus_kernelI12hip_bfloat16fDv2_fLb1ELi1EEEvPKT_PKT0_PfPimiiif,"axG",@progbits,_ZN5aiter20topk_softplus_kernelI12hip_bfloat16fDv2_fLb1ELi1EEEvPKT_PKT0_PfPimiiif,comdat
	.protected	_ZN5aiter20topk_softplus_kernelI12hip_bfloat16fDv2_fLb1ELi1EEEvPKT_PKT0_PfPimiiif ; -- Begin function _ZN5aiter20topk_softplus_kernelI12hip_bfloat16fDv2_fLb1ELi1EEEvPKT_PKT0_PfPimiiif
	.globl	_ZN5aiter20topk_softplus_kernelI12hip_bfloat16fDv2_fLb1ELi1EEEvPKT_PKT0_PfPimiiif
	.p2align	8
	.type	_ZN5aiter20topk_softplus_kernelI12hip_bfloat16fDv2_fLb1ELi1EEEvPKT_PKT0_PfPimiiif,@function
_ZN5aiter20topk_softplus_kernelI12hip_bfloat16fDv2_fLb1ELi1EEEvPKT_PKT0_PfPimiiif: ; @_ZN5aiter20topk_softplus_kernelI12hip_bfloat16fDv2_fLb1ELi1EEEvPKT_PKT0_PfPimiiif
; %bb.0:
	s_clause 0x1
	s_load_b64 s[12:13], s[0:1], 0x28
	s_load_b256 s[4:11], s[0:1], 0x0
	s_waitcnt lgkmcnt(0)
	s_lshr_b32 s2, s12, 31
	s_mul_i32 s16, s15, s12
	s_add_i32 s2, s12, s2
	s_ashr_i32 s17, s16, 31
	s_ashr_i32 s14, s2, 1
	s_delay_alu instid0(SALU_CYCLE_1) | instskip(NEXT) | instid1(VALU_DEP_1)
	v_cmp_gt_i32_e64 s2, s14, v0
	s_and_saveexec_b32 s18, s2
	s_cbranch_execz .LBB215_7
; %bb.1:
	s_load_b32 s3, s[0:1], 0x44
	v_lshlrev_b32_e32 v1, 3, v0
	s_cmp_lg_u64 s[6:7], 0
	v_dual_mov_b32 v8, v0 :: v_dual_lshlrev_b32 v3, 2, v0
	s_cselect_b32 s19, -1, 0
	s_delay_alu instid0(VALU_DEP_2) | instskip(SKIP_3) | instid1(VALU_DEP_3)
	v_add_co_u32 v2, s20, v1, s6
	s_lshl_b64 s[22:23], s[16:17], 1
	v_add_co_ci_u32_e64 v4, null, 0, s7, s20
	v_add_nc_u32_e32 v7, 0, v1
	v_add_co_u32 v1, vcc_lo, v2, 4
	s_delay_alu instid0(VALU_DEP_3)
	v_add_co_ci_u32_e32 v2, vcc_lo, 0, v4, vcc_lo
	s_waitcnt lgkmcnt(0)
	s_and_b32 s20, s3, 0xffff
	s_add_u32 s3, s4, s22
	s_addc_u32 s21, s5, s23
	v_add_co_u32 v3, s3, s3, v3
	s_delay_alu instid0(VALU_DEP_1)
	v_add_co_ci_u32_e64 v4, null, s21, 0, s3
	s_mov_b32 s21, 0
	s_lshl_b32 s22, s20, 2
	s_lshl_b32 s23, s20, 3
	s_branch .LBB215_3
.LBB215_2:                              ;   in Loop: Header=BB215_3 Depth=1
	v_add_nc_u32_e32 v8, s20, v8
	v_add_co_u32 v3, vcc_lo, v3, s22
	v_add_co_ci_u32_e32 v4, vcc_lo, 0, v4, vcc_lo
	s_delay_alu instid0(VALU_DEP_3)
	v_cmp_le_i32_e32 vcc_lo, s14, v8
	v_add_co_u32 v1, s3, v1, s23
	ds_store_b64 v7, v[5:6]
	v_add_co_ci_u32_e64 v2, s3, 0, v2, s3
	v_add_nc_u32_e32 v7, s23, v7
	s_or_b32 s21, vcc_lo, s21
	s_delay_alu instid0(SALU_CYCLE_1)
	s_and_not1_b32 exec_lo, exec_lo, s21
	s_cbranch_execz .LBB215_7
.LBB215_3:                              ; =>This Inner Loop Header: Depth=1
	global_load_b32 v6, v[3:4], off
	s_waitcnt vmcnt(0)
	v_and_b32_e32 v5, 0xffff, v6
	s_delay_alu instid0(VALU_DEP_1) | instskip(NEXT) | instid1(VALU_DEP_1)
	v_cvt_f32_u32_e32 v5, v5
	v_mul_f32_e32 v9, 0xbfb8aa3b, v5
	s_delay_alu instid0(VALU_DEP_1) | instskip(SKIP_1) | instid1(VALU_DEP_1)
	v_cmp_gt_f32_e32 vcc_lo, 0xc2fc0000, v9
	v_cndmask_b32_e64 v9, 0, 0x42800000, vcc_lo
	v_fmac_f32_e32 v9, 0xbfb8aa3b, v5
	s_delay_alu instid0(VALU_DEP_1) | instskip(SKIP_4) | instid1(VALU_DEP_1)
	v_exp_f32_e32 v5, v9
	v_cndmask_b32_e64 v9, 1.0, 0x1f800000, vcc_lo
	s_and_not1_b32 vcc_lo, exec_lo, s19
	s_waitcnt_depctr 0xfff
	v_fma_f32 v5, v5, v9, 1.0
	v_rcp_f32_e32 v5, v5
	s_cbranch_vccnz .LBB215_5
; %bb.4:                                ;   in Loop: Header=BB215_3 Depth=1
	global_load_b32 v9, v[1:2], off offset:-4
	s_waitcnt vmcnt(0)
	v_add_f32_e32 v5, v5, v9
.LBB215_5:                              ;   in Loop: Header=BB215_3 Depth=1
	v_lshrrev_b32_e32 v6, 16, v6
	s_delay_alu instid0(VALU_DEP_1) | instskip(NEXT) | instid1(VALU_DEP_1)
	v_cvt_f32_u32_e32 v6, v6
	v_mul_f32_e32 v9, 0xbfb8aa3b, v6
	s_delay_alu instid0(VALU_DEP_1) | instskip(SKIP_1) | instid1(VALU_DEP_1)
	v_cmp_gt_f32_e32 vcc_lo, 0xc2fc0000, v9
	v_cndmask_b32_e64 v9, 0, 0x42800000, vcc_lo
	v_fmac_f32_e32 v9, 0xbfb8aa3b, v6
	s_delay_alu instid0(VALU_DEP_1) | instskip(SKIP_4) | instid1(VALU_DEP_1)
	v_exp_f32_e32 v6, v9
	v_cndmask_b32_e64 v9, 1.0, 0x1f800000, vcc_lo
	s_and_not1_b32 vcc_lo, exec_lo, s19
	s_waitcnt_depctr 0xfff
	v_fma_f32 v6, v6, v9, 1.0
	v_rcp_f32_e32 v6, v6
	s_cbranch_vccnz .LBB215_2
; %bb.6:                                ;   in Loop: Header=BB215_3 Depth=1
	global_load_b32 v9, v[1:2], off
	s_waitcnt vmcnt(0)
	v_add_f32_e32 v6, v6, v9
	s_branch .LBB215_2
.LBB215_7:
	s_or_b32 exec_lo, exec_lo, s18
	v_lshl_add_u32 v1, s14, 1, v0
	s_mov_b32 s3, exec_lo
	s_delay_alu instid0(VALU_DEP_1)
	v_cmpx_gt_i32_e64 s12, v1
	s_cbranch_execz .LBB215_12
; %bb.8:
	s_load_b32 s18, s[0:1], 0x44
	s_lshl_b64 s[16:17], s[16:17], 1
	v_lshlrev_b32_e32 v2, 2, v0
	s_add_u32 s4, s4, s16
	s_addc_u32 s5, s5, s17
	s_cmp_lg_u64 s[6:7], 0
	s_cselect_b32 s16, -1, 0
	s_lshl_b32 s17, s14, 3
	s_delay_alu instid0(SALU_CYCLE_1)
	v_add3_u32 v3, 0, s17, v2
	s_waitcnt lgkmcnt(0)
	s_and_b32 s17, s18, 0xffff
	s_mov_b32 s18, 0
	s_lshl_b32 s19, s17, 2
	s_set_inst_prefetch_distance 0x1
	s_branch .LBB215_10
	.p2align	6
.LBB215_9:                              ;   in Loop: Header=BB215_10 Depth=1
	v_add_nc_u32_e32 v1, s17, v1
	v_add_nc_u32_e32 v3, s19, v3
	s_delay_alu instid0(VALU_DEP_2) | instskip(SKIP_1) | instid1(SALU_CYCLE_1)
	v_cmp_le_i32_e32 vcc_lo, s12, v1
	s_or_b32 s18, vcc_lo, s18
	s_and_not1_b32 exec_lo, exec_lo, s18
	s_cbranch_execz .LBB215_12
.LBB215_10:                             ; =>This Inner Loop Header: Depth=1
	v_ashrrev_i32_e32 v2, 31, v1
	s_delay_alu instid0(VALU_DEP_1) | instskip(NEXT) | instid1(VALU_DEP_1)
	v_lshlrev_b64 v[4:5], 1, v[1:2]
	v_add_co_u32 v4, vcc_lo, s4, v4
	s_delay_alu instid0(VALU_DEP_2) | instskip(SKIP_3) | instid1(VALU_DEP_1)
	v_add_co_ci_u32_e32 v5, vcc_lo, s5, v5, vcc_lo
	global_load_u16 v4, v[4:5], off
	s_waitcnt vmcnt(0)
	v_lshlrev_b32_e32 v4, 16, v4
	v_mul_f32_e32 v5, 0xbfb8aa3b, v4
	s_delay_alu instid0(VALU_DEP_1) | instskip(SKIP_1) | instid1(VALU_DEP_1)
	v_cmp_gt_f32_e32 vcc_lo, 0xc2fc0000, v5
	v_cndmask_b32_e64 v5, 0, 0x42800000, vcc_lo
	v_fmac_f32_e32 v5, 0xbfb8aa3b, v4
	s_delay_alu instid0(VALU_DEP_1) | instskip(SKIP_4) | instid1(VALU_DEP_1)
	v_exp_f32_e32 v4, v5
	v_cndmask_b32_e64 v5, 1.0, 0x1f800000, vcc_lo
	s_and_not1_b32 vcc_lo, exec_lo, s16
	s_waitcnt_depctr 0xfff
	v_fma_f32 v4, v4, v5, 1.0
	v_rcp_f32_e32 v4, v4
	ds_store_b32 v3, v4
	s_cbranch_vccnz .LBB215_9
; %bb.11:                               ;   in Loop: Header=BB215_10 Depth=1
	v_lshlrev_b64 v[5:6], 2, v[1:2]
	s_delay_alu instid0(VALU_DEP_1) | instskip(NEXT) | instid1(VALU_DEP_2)
	v_add_co_u32 v5, vcc_lo, s6, v5
	v_add_co_ci_u32_e32 v6, vcc_lo, s7, v6, vcc_lo
	global_load_b32 v2, v[5:6], off
	s_waitcnt vmcnt(0)
	v_add_f32_e32 v2, v4, v2
	ds_store_b32 v3, v2
	s_branch .LBB215_9
.LBB215_12:
	s_set_inst_prefetch_distance 0x2
	s_or_b32 exec_lo, exec_lo, s3
	v_mov_b32_e32 v2, 0
	s_cmp_lt_i32 s13, 1
	s_waitcnt lgkmcnt(0)
	s_barrier
	buffer_gl0_inv
	s_cbranch_scc1 .LBB215_21
; %bb.13:
	s_add_u32 s4, s0, 56
	s_addc_u32 s5, s1, 0
	v_dual_mov_b32 v1, 0 :: v_dual_lshlrev_b32 v4, 1, v0
	v_lshl_add_u32 v5, v0, 3, 0
	v_dual_mov_b32 v2, 0 :: v_dual_mov_b32 v3, 0
	v_mov_b32_e32 v6, 0xff800000
	s_cmp_lg_u64 s[6:7], 0
	s_mov_b32 s18, 0
	s_cselect_b32 s12, -1, 0
	s_mov_b32 s19, 0x76543210
	s_branch .LBB215_15
.LBB215_14:                             ;   in Loop: Header=BB215_15 Depth=1
	v_cmp_eq_u32_e32 vcc_lo, s18, v0
	s_delay_alu instid0(VALU_DEP_2) | instskip(NEXT) | instid1(VALU_DEP_2)
	s_lshl_b32 s3, s16, 2
	v_add_f32_e32 v3, v3, v9
	s_add_i32 s3, s3, 0
	s_add_i32 s18, s18, 1
	v_cndmask_b32_e64 v1, v1, s16, vcc_lo
	v_dual_mov_b32 v7, s3 :: v_dual_cndmask_b32 v2, v2, v9
	s_cmp_eq_u32 s18, s13
	ds_store_b32 v7, v6
	s_cbranch_scc1 .LBB215_22
.LBB215_15:                             ; =>This Loop Header: Depth=1
                                        ;     Child Loop BB215_17 Depth 2
	v_dual_mov_b32 v7, s18 :: v_dual_mov_b32 v8, 0xff800000
	s_and_saveexec_b32 s16, s2
	s_cbranch_execz .LBB215_19
; %bb.16:                               ;   in Loop: Header=BB215_15 Depth=1
	s_load_b32 s3, s[4:5], 0xc
	v_dual_mov_b32 v7, s18 :: v_dual_mov_b32 v8, 0xff800000
	v_dual_mov_b32 v9, v5 :: v_dual_mov_b32 v10, v4
	v_mov_b32_e32 v11, v0
	s_mov_b32 s21, 0
	s_waitcnt lgkmcnt(0)
	s_and_b32 s17, s3, 0xffff
	s_delay_alu instid0(SALU_CYCLE_1)
	s_lshl_b32 s20, s17, 1
	s_lshl_b32 s22, s17, 3
	.p2align	6
.LBB215_17:                             ;   Parent Loop BB215_15 Depth=1
                                        ; =>  This Inner Loop Header: Depth=2
	ds_load_b64 v[12:13], v9
	v_add_nc_u32_e32 v9, s22, v9
	v_add_nc_u32_e32 v11, s17, v11
	s_delay_alu instid0(VALU_DEP_1) | instskip(NEXT) | instid1(VALU_DEP_1)
	v_cmp_le_i32_e64 s3, s14, v11
	s_or_b32 s21, s3, s21
	s_waitcnt lgkmcnt(0)
	v_cmp_gt_f32_e32 vcc_lo, v12, v8
	v_cndmask_b32_e32 v8, v8, v12, vcc_lo
	v_add_nc_u32_e32 v12, 1, v10
	v_cndmask_b32_e32 v7, v7, v10, vcc_lo
	s_delay_alu instid0(VALU_DEP_3) | instskip(SKIP_1) | instid1(VALU_DEP_3)
	v_cmp_gt_f32_e32 vcc_lo, v13, v8
	v_cndmask_b32_e32 v8, v8, v13, vcc_lo
	v_dual_cndmask_b32 v7, v7, v12 :: v_dual_add_nc_u32 v10, s20, v10
	s_and_not1_b32 exec_lo, exec_lo, s21
	s_cbranch_execnz .LBB215_17
; %bb.18:                               ;   in Loop: Header=BB215_15 Depth=1
	s_or_b32 exec_lo, exec_lo, s21
.LBB215_19:                             ;   in Loop: Header=BB215_15 Depth=1
	s_delay_alu instid0(SALU_CYCLE_1)
	s_or_b32 exec_lo, exec_lo, s16
	;;#ASMSTART
	v_max_f32 v9, v8, v8 quad_perm:[1,0,3,2] row_mask:0xf bank_mask:0xf bound_ctrl:1
	;;#ASMEND
	;;#ASMSTART
	v_max_f32 v10, v9, v9 quad_perm:[2,3,0,1] row_mask:0xf bank_mask:0xf bound_ctrl:1
	;;#ASMEND
	;;#ASMSTART
	v_max_f32 v9, v10, v10 row_half_mirror row_mask:0xf bank_mask:0xf bound_ctrl:1
	;;#ASMEND
	;;#ASMSTART
	v_max_f32 v10, v9, v9 row_mirror row_mask:0xf bank_mask:0xf bound_ctrl:1
	;;#ASMEND
	v_permlanex16_b32 v9, v10, s19, 0xfedcba98 op_sel:[1,1]
	s_delay_alu instid0(VALU_DEP_1) | instskip(NEXT) | instid1(VALU_DEP_1)
	v_dual_max_f32 v10, v10, v10 :: v_dual_max_f32 v9, v9, v9
	v_max_f32_e32 v9, v10, v9
	s_delay_alu instid0(VALU_DEP_1)
	v_cmp_eq_f32_e32 vcc_lo, v8, v9
	s_ctz_i32_b32 s3, vcc_lo
	s_cmp_lg_u32 vcc_lo, 0
	s_cselect_b32 s3, s3, 0
	s_and_b32 vcc_lo, exec_lo, s12
	v_readlane_b32 s16, v7, s3
	s_cbranch_vccz .LBB215_14
; %bb.20:                               ;   in Loop: Header=BB215_15 Depth=1
	s_delay_alu instid0(VALU_DEP_1) | instskip(NEXT) | instid1(SALU_CYCLE_1)
	s_ashr_i32 s17, s16, 31
	s_lshl_b64 s[20:21], s[16:17], 2
	s_delay_alu instid0(SALU_CYCLE_1)
	s_add_u32 s20, s6, s20
	s_addc_u32 s21, s7, s21
	s_load_b32 s3, s[20:21], 0x0
	s_waitcnt lgkmcnt(0)
	v_subrev_f32_e32 v9, s3, v9
	s_branch .LBB215_14
.LBB215_21:
	v_mov_b32_e32 v1, 0
	v_mov_b32_e32 v3, 0
.LBB215_22:
	s_mov_b32 s2, exec_lo
	v_cmpx_gt_i32_e64 s13, v0
	s_cbranch_execz .LBB215_25
; %bb.23:
	s_clause 0x1
	s_load_b32 s2, s[0:1], 0x34
	s_load_b32 s3, s[0:1], 0x44
	v_max_f32_e32 v3, v3, v3
	s_load_b64 s[0:1], s[0:1], 0x20
	s_ashr_i32 s4, s15, 31
	s_delay_alu instid0(VALU_DEP_1) | instskip(SKIP_1) | instid1(VALU_DEP_1)
	v_max_f32_e32 v3, 0x1e3ce508, v3
	s_waitcnt lgkmcnt(0)
	v_div_scale_f32 v4, null, v3, v3, s2
	v_div_scale_f32 v7, vcc_lo, s2, v3, s2
	s_mul_i32 s1, s15, s1
	s_delay_alu instid0(VALU_DEP_2) | instskip(SKIP_4) | instid1(VALU_DEP_1)
	v_rcp_f32_e32 v5, v4
	s_mul_i32 s4, s4, s0
	s_and_b32 s3, s3, 0xffff
	s_waitcnt_depctr 0xfff
	v_fma_f32 v6, -v4, v5, 1.0
	v_fmac_f32_e32 v5, v6, v5
	s_delay_alu instid0(VALU_DEP_1) | instskip(NEXT) | instid1(VALU_DEP_1)
	v_mul_f32_e32 v6, v7, v5
	v_fma_f32 v8, -v4, v6, v7
	s_delay_alu instid0(VALU_DEP_1) | instskip(NEXT) | instid1(VALU_DEP_1)
	v_fmac_f32_e32 v6, v8, v5
	v_fma_f32 v4, -v4, v6, v7
	s_delay_alu instid0(VALU_DEP_1) | instskip(NEXT) | instid1(VALU_DEP_1)
	v_div_fmas_f32 v4, v4, v5, v6
	v_div_fixup_f32 v3, v4, v3, s2
	s_mul_hi_u32 s2, s15, s0
	s_delay_alu instid0(SALU_CYCLE_1) | instskip(SKIP_1) | instid1(VALU_DEP_1)
	s_add_i32 s1, s2, s1
	s_mul_i32 s2, s15, s0
	v_mul_f32_e32 v2, v2, v3
	s_add_i32 s1, s1, s4
	s_mov_b32 s4, 0
	.p2align	6
.LBB215_24:                             ; =>This Inner Loop Header: Depth=1
	v_ashrrev_i32_e32 v4, 31, v0
	v_add_co_u32 v3, vcc_lo, s2, v0
	v_add_nc_u32_e32 v0, s3, v0
	s_delay_alu instid0(VALU_DEP_3) | instskip(NEXT) | instid1(VALU_DEP_2)
	v_add_co_ci_u32_e32 v4, vcc_lo, s1, v4, vcc_lo
	v_cmp_le_i32_e32 vcc_lo, s13, v0
	s_delay_alu instid0(VALU_DEP_2) | instskip(SKIP_1) | instid1(VALU_DEP_1)
	v_lshlrev_b64 v[3:4], 2, v[3:4]
	s_or_b32 s4, vcc_lo, s4
	v_add_co_u32 v5, s0, s8, v3
	s_delay_alu instid0(VALU_DEP_1) | instskip(SKIP_1) | instid1(VALU_DEP_1)
	v_add_co_ci_u32_e64 v6, s0, s9, v4, s0
	v_add_co_u32 v3, s0, s10, v3
	v_add_co_ci_u32_e64 v4, s0, s11, v4, s0
	global_store_b32 v[5:6], v2, off
	global_store_b32 v[3:4], v1, off
	s_and_not1_b32 exec_lo, exec_lo, s4
	s_cbranch_execnz .LBB215_24
.LBB215_25:
	s_nop 0
	s_sendmsg sendmsg(MSG_DEALLOC_VGPRS)
	s_endpgm
	.section	.rodata,"a",@progbits
	.p2align	6, 0x0
	.amdhsa_kernel _ZN5aiter20topk_softplus_kernelI12hip_bfloat16fDv2_fLb1ELi1EEEvPKT_PKT0_PfPimiiif
		.amdhsa_group_segment_fixed_size 0
		.amdhsa_private_segment_fixed_size 0
		.amdhsa_kernarg_size 312
		.amdhsa_user_sgpr_count 15
		.amdhsa_user_sgpr_dispatch_ptr 0
		.amdhsa_user_sgpr_queue_ptr 0
		.amdhsa_user_sgpr_kernarg_segment_ptr 1
		.amdhsa_user_sgpr_dispatch_id 0
		.amdhsa_user_sgpr_private_segment_size 0
		.amdhsa_wavefront_size32 1
		.amdhsa_uses_dynamic_stack 0
		.amdhsa_enable_private_segment 0
		.amdhsa_system_sgpr_workgroup_id_x 1
		.amdhsa_system_sgpr_workgroup_id_y 0
		.amdhsa_system_sgpr_workgroup_id_z 0
		.amdhsa_system_sgpr_workgroup_info 0
		.amdhsa_system_vgpr_workitem_id 0
		.amdhsa_next_free_vgpr 14
		.amdhsa_next_free_sgpr 24
		.amdhsa_reserve_vcc 1
		.amdhsa_float_round_mode_32 0
		.amdhsa_float_round_mode_16_64 0
		.amdhsa_float_denorm_mode_32 3
		.amdhsa_float_denorm_mode_16_64 3
		.amdhsa_dx10_clamp 1
		.amdhsa_ieee_mode 1
		.amdhsa_fp16_overflow 0
		.amdhsa_workgroup_processor_mode 1
		.amdhsa_memory_ordered 1
		.amdhsa_forward_progress 0
		.amdhsa_shared_vgpr_count 0
		.amdhsa_exception_fp_ieee_invalid_op 0
		.amdhsa_exception_fp_denorm_src 0
		.amdhsa_exception_fp_ieee_div_zero 0
		.amdhsa_exception_fp_ieee_overflow 0
		.amdhsa_exception_fp_ieee_underflow 0
		.amdhsa_exception_fp_ieee_inexact 0
		.amdhsa_exception_int_div_zero 0
	.end_amdhsa_kernel
	.section	.text._ZN5aiter20topk_softplus_kernelI12hip_bfloat16fDv2_fLb1ELi1EEEvPKT_PKT0_PfPimiiif,"axG",@progbits,_ZN5aiter20topk_softplus_kernelI12hip_bfloat16fDv2_fLb1ELi1EEEvPKT_PKT0_PfPimiiif,comdat
.Lfunc_end215:
	.size	_ZN5aiter20topk_softplus_kernelI12hip_bfloat16fDv2_fLb1ELi1EEEvPKT_PKT0_PfPimiiif, .Lfunc_end215-_ZN5aiter20topk_softplus_kernelI12hip_bfloat16fDv2_fLb1ELi1EEEvPKT_PKT0_PfPimiiif
                                        ; -- End function
	.section	.AMDGPU.csdata,"",@progbits
; Kernel info:
; codeLenInByte = 1676
; NumSgprs: 26
; NumVgprs: 14
; ScratchSize: 0
; MemoryBound: 0
; FloatMode: 240
; IeeeMode: 1
; LDSByteSize: 0 bytes/workgroup (compile time only)
; SGPRBlocks: 3
; VGPRBlocks: 1
; NumSGPRsForWavesPerEU: 26
; NumVGPRsForWavesPerEU: 14
; Occupancy: 16
; WaveLimiterHint : 0
; COMPUTE_PGM_RSRC2:SCRATCH_EN: 0
; COMPUTE_PGM_RSRC2:USER_SGPR: 15
; COMPUTE_PGM_RSRC2:TRAP_HANDLER: 0
; COMPUTE_PGM_RSRC2:TGID_X_EN: 1
; COMPUTE_PGM_RSRC2:TGID_Y_EN: 0
; COMPUTE_PGM_RSRC2:TGID_Z_EN: 0
; COMPUTE_PGM_RSRC2:TIDIG_COMP_CNT: 0
	.section	.text._ZN5aiter20topk_softplus_kernelI12hip_bfloat16fDv2_fLb0ELi1EEEvPKT_PKT0_PfPimiiif,"axG",@progbits,_ZN5aiter20topk_softplus_kernelI12hip_bfloat16fDv2_fLb0ELi1EEEvPKT_PKT0_PfPimiiif,comdat
	.protected	_ZN5aiter20topk_softplus_kernelI12hip_bfloat16fDv2_fLb0ELi1EEEvPKT_PKT0_PfPimiiif ; -- Begin function _ZN5aiter20topk_softplus_kernelI12hip_bfloat16fDv2_fLb0ELi1EEEvPKT_PKT0_PfPimiiif
	.globl	_ZN5aiter20topk_softplus_kernelI12hip_bfloat16fDv2_fLb0ELi1EEEvPKT_PKT0_PfPimiiif
	.p2align	8
	.type	_ZN5aiter20topk_softplus_kernelI12hip_bfloat16fDv2_fLb0ELi1EEEvPKT_PKT0_PfPimiiif,@function
_ZN5aiter20topk_softplus_kernelI12hip_bfloat16fDv2_fLb0ELi1EEEvPKT_PKT0_PfPimiiif: ; @_ZN5aiter20topk_softplus_kernelI12hip_bfloat16fDv2_fLb0ELi1EEEvPKT_PKT0_PfPimiiif
; %bb.0:
	s_clause 0x1
	s_load_b64 s[12:13], s[0:1], 0x28
	s_load_b256 s[4:11], s[0:1], 0x0
	s_waitcnt lgkmcnt(0)
	s_lshr_b32 s2, s12, 31
	s_mul_i32 s16, s15, s12
	s_add_i32 s2, s12, s2
	s_ashr_i32 s17, s16, 31
	s_ashr_i32 s14, s2, 1
	s_delay_alu instid0(SALU_CYCLE_1) | instskip(NEXT) | instid1(VALU_DEP_1)
	v_cmp_gt_i32_e64 s2, s14, v0
	s_and_saveexec_b32 s18, s2
	s_cbranch_execz .LBB216_7
; %bb.1:
	s_load_b32 s3, s[0:1], 0x44
	v_lshlrev_b32_e32 v1, 3, v0
	s_cmp_lg_u64 s[6:7], 0
	v_dual_mov_b32 v8, v0 :: v_dual_lshlrev_b32 v3, 2, v0
	s_cselect_b32 s19, -1, 0
	s_delay_alu instid0(VALU_DEP_2) | instskip(SKIP_3) | instid1(VALU_DEP_3)
	v_add_co_u32 v2, s20, v1, s6
	s_lshl_b64 s[22:23], s[16:17], 1
	v_add_co_ci_u32_e64 v4, null, 0, s7, s20
	v_add_nc_u32_e32 v7, 0, v1
	v_add_co_u32 v1, vcc_lo, v2, 4
	s_delay_alu instid0(VALU_DEP_3)
	v_add_co_ci_u32_e32 v2, vcc_lo, 0, v4, vcc_lo
	s_waitcnt lgkmcnt(0)
	s_and_b32 s20, s3, 0xffff
	s_add_u32 s3, s4, s22
	s_addc_u32 s21, s5, s23
	v_add_co_u32 v3, s3, s3, v3
	s_delay_alu instid0(VALU_DEP_1)
	v_add_co_ci_u32_e64 v4, null, s21, 0, s3
	s_mov_b32 s21, 0
	s_lshl_b32 s22, s20, 2
	s_lshl_b32 s23, s20, 3
	s_branch .LBB216_3
.LBB216_2:                              ;   in Loop: Header=BB216_3 Depth=1
	v_add_nc_u32_e32 v8, s20, v8
	v_add_co_u32 v3, vcc_lo, v3, s22
	v_add_co_ci_u32_e32 v4, vcc_lo, 0, v4, vcc_lo
	s_delay_alu instid0(VALU_DEP_3)
	v_cmp_le_i32_e32 vcc_lo, s14, v8
	v_add_co_u32 v1, s3, v1, s23
	ds_store_b64 v7, v[5:6]
	v_add_co_ci_u32_e64 v2, s3, 0, v2, s3
	v_add_nc_u32_e32 v7, s23, v7
	s_or_b32 s21, vcc_lo, s21
	s_delay_alu instid0(SALU_CYCLE_1)
	s_and_not1_b32 exec_lo, exec_lo, s21
	s_cbranch_execz .LBB216_7
.LBB216_3:                              ; =>This Inner Loop Header: Depth=1
	global_load_b32 v6, v[3:4], off
	s_waitcnt vmcnt(0)
	v_and_b32_e32 v5, 0xffff, v6
	s_delay_alu instid0(VALU_DEP_1) | instskip(NEXT) | instid1(VALU_DEP_1)
	v_cvt_f32_u32_e32 v5, v5
	v_mul_f32_e32 v9, 0xbfb8aa3b, v5
	s_delay_alu instid0(VALU_DEP_1) | instskip(SKIP_1) | instid1(VALU_DEP_1)
	v_cmp_gt_f32_e32 vcc_lo, 0xc2fc0000, v9
	v_cndmask_b32_e64 v9, 0, 0x42800000, vcc_lo
	v_fmac_f32_e32 v9, 0xbfb8aa3b, v5
	s_delay_alu instid0(VALU_DEP_1) | instskip(SKIP_4) | instid1(VALU_DEP_1)
	v_exp_f32_e32 v5, v9
	v_cndmask_b32_e64 v9, 1.0, 0x1f800000, vcc_lo
	s_and_not1_b32 vcc_lo, exec_lo, s19
	s_waitcnt_depctr 0xfff
	v_fma_f32 v5, v5, v9, 1.0
	v_rcp_f32_e32 v5, v5
	s_cbranch_vccnz .LBB216_5
; %bb.4:                                ;   in Loop: Header=BB216_3 Depth=1
	global_load_b32 v9, v[1:2], off offset:-4
	s_waitcnt vmcnt(0)
	v_add_f32_e32 v5, v5, v9
.LBB216_5:                              ;   in Loop: Header=BB216_3 Depth=1
	v_lshrrev_b32_e32 v6, 16, v6
	s_delay_alu instid0(VALU_DEP_1) | instskip(NEXT) | instid1(VALU_DEP_1)
	v_cvt_f32_u32_e32 v6, v6
	v_mul_f32_e32 v9, 0xbfb8aa3b, v6
	s_delay_alu instid0(VALU_DEP_1) | instskip(SKIP_1) | instid1(VALU_DEP_1)
	v_cmp_gt_f32_e32 vcc_lo, 0xc2fc0000, v9
	v_cndmask_b32_e64 v9, 0, 0x42800000, vcc_lo
	v_fmac_f32_e32 v9, 0xbfb8aa3b, v6
	s_delay_alu instid0(VALU_DEP_1) | instskip(SKIP_4) | instid1(VALU_DEP_1)
	v_exp_f32_e32 v6, v9
	v_cndmask_b32_e64 v9, 1.0, 0x1f800000, vcc_lo
	s_and_not1_b32 vcc_lo, exec_lo, s19
	s_waitcnt_depctr 0xfff
	v_fma_f32 v6, v6, v9, 1.0
	v_rcp_f32_e32 v6, v6
	s_cbranch_vccnz .LBB216_2
; %bb.6:                                ;   in Loop: Header=BB216_3 Depth=1
	global_load_b32 v9, v[1:2], off
	s_waitcnt vmcnt(0)
	v_add_f32_e32 v6, v6, v9
	s_branch .LBB216_2
.LBB216_7:
	s_or_b32 exec_lo, exec_lo, s18
	v_lshl_add_u32 v1, s14, 1, v0
	s_mov_b32 s3, exec_lo
	s_delay_alu instid0(VALU_DEP_1)
	v_cmpx_gt_i32_e64 s12, v1
	s_cbranch_execz .LBB216_12
; %bb.8:
	s_load_b32 s18, s[0:1], 0x44
	s_lshl_b64 s[16:17], s[16:17], 1
	v_lshlrev_b32_e32 v2, 2, v0
	s_add_u32 s4, s4, s16
	s_addc_u32 s5, s5, s17
	s_cmp_lg_u64 s[6:7], 0
	s_cselect_b32 s16, -1, 0
	s_lshl_b32 s17, s14, 3
	s_delay_alu instid0(SALU_CYCLE_1)
	v_add3_u32 v3, 0, s17, v2
	s_waitcnt lgkmcnt(0)
	s_and_b32 s17, s18, 0xffff
	s_mov_b32 s18, 0
	s_lshl_b32 s19, s17, 2
	s_set_inst_prefetch_distance 0x1
	s_branch .LBB216_10
	.p2align	6
.LBB216_9:                              ;   in Loop: Header=BB216_10 Depth=1
	v_add_nc_u32_e32 v1, s17, v1
	v_add_nc_u32_e32 v3, s19, v3
	s_delay_alu instid0(VALU_DEP_2) | instskip(SKIP_1) | instid1(SALU_CYCLE_1)
	v_cmp_le_i32_e32 vcc_lo, s12, v1
	s_or_b32 s18, vcc_lo, s18
	s_and_not1_b32 exec_lo, exec_lo, s18
	s_cbranch_execz .LBB216_12
.LBB216_10:                             ; =>This Inner Loop Header: Depth=1
	v_ashrrev_i32_e32 v2, 31, v1
	s_delay_alu instid0(VALU_DEP_1) | instskip(NEXT) | instid1(VALU_DEP_1)
	v_lshlrev_b64 v[4:5], 1, v[1:2]
	v_add_co_u32 v4, vcc_lo, s4, v4
	s_delay_alu instid0(VALU_DEP_2) | instskip(SKIP_3) | instid1(VALU_DEP_1)
	v_add_co_ci_u32_e32 v5, vcc_lo, s5, v5, vcc_lo
	global_load_u16 v4, v[4:5], off
	s_waitcnt vmcnt(0)
	v_lshlrev_b32_e32 v4, 16, v4
	v_mul_f32_e32 v5, 0xbfb8aa3b, v4
	s_delay_alu instid0(VALU_DEP_1) | instskip(SKIP_1) | instid1(VALU_DEP_1)
	v_cmp_gt_f32_e32 vcc_lo, 0xc2fc0000, v5
	v_cndmask_b32_e64 v5, 0, 0x42800000, vcc_lo
	v_fmac_f32_e32 v5, 0xbfb8aa3b, v4
	s_delay_alu instid0(VALU_DEP_1) | instskip(SKIP_4) | instid1(VALU_DEP_1)
	v_exp_f32_e32 v4, v5
	v_cndmask_b32_e64 v5, 1.0, 0x1f800000, vcc_lo
	s_and_not1_b32 vcc_lo, exec_lo, s16
	s_waitcnt_depctr 0xfff
	v_fma_f32 v4, v4, v5, 1.0
	v_rcp_f32_e32 v4, v4
	ds_store_b32 v3, v4
	s_cbranch_vccnz .LBB216_9
; %bb.11:                               ;   in Loop: Header=BB216_10 Depth=1
	v_lshlrev_b64 v[5:6], 2, v[1:2]
	s_delay_alu instid0(VALU_DEP_1) | instskip(NEXT) | instid1(VALU_DEP_2)
	v_add_co_u32 v5, vcc_lo, s6, v5
	v_add_co_ci_u32_e32 v6, vcc_lo, s7, v6, vcc_lo
	global_load_b32 v2, v[5:6], off
	s_waitcnt vmcnt(0)
	v_add_f32_e32 v2, v4, v2
	ds_store_b32 v3, v2
	s_branch .LBB216_9
.LBB216_12:
	s_set_inst_prefetch_distance 0x2
	s_or_b32 exec_lo, exec_lo, s3
	s_cmp_lt_i32 s13, 1
	s_waitcnt lgkmcnt(0)
	s_barrier
	buffer_gl0_inv
	s_cbranch_scc1 .LBB216_21
; %bb.13:
	s_add_u32 s4, s0, 56
	s_addc_u32 s5, s1, 0
	v_dual_mov_b32 v2, 0 :: v_dual_lshlrev_b32 v3, 1, v0
	v_lshl_add_u32 v4, v0, 3, 0
	v_mov_b32_e32 v1, 0
	v_mov_b32_e32 v5, 0xff800000
	s_cmp_lg_u64 s[6:7], 0
	s_mov_b32 s18, 0
	s_cselect_b32 s12, -1, 0
	s_mov_b32 s19, 0x76543210
	s_branch .LBB216_15
.LBB216_14:                             ;   in Loop: Header=BB216_15 Depth=1
	v_cmp_eq_u32_e32 vcc_lo, s18, v0
	s_delay_alu instid0(VALU_DEP_2)
	s_lshl_b32 s3, s16, 2
	s_add_i32 s18, s18, 1
	s_add_i32 s3, s3, 0
	s_cmp_eq_u32 s18, s13
	v_cndmask_b32_e64 v1, v1, s16, vcc_lo
	v_mov_b32_e32 v6, s3
	v_cndmask_b32_e32 v2, v2, v8, vcc_lo
	ds_store_b32 v6, v5
	s_cbranch_scc1 .LBB216_22
.LBB216_15:                             ; =>This Loop Header: Depth=1
                                        ;     Child Loop BB216_17 Depth 2
	v_dual_mov_b32 v6, s18 :: v_dual_mov_b32 v7, 0xff800000
	s_and_saveexec_b32 s16, s2
	s_cbranch_execz .LBB216_19
; %bb.16:                               ;   in Loop: Header=BB216_15 Depth=1
	s_load_b32 s3, s[4:5], 0xc
	v_dual_mov_b32 v6, s18 :: v_dual_mov_b32 v7, 0xff800000
	v_dual_mov_b32 v8, v4 :: v_dual_mov_b32 v9, v3
	v_mov_b32_e32 v10, v0
	s_mov_b32 s21, 0
	s_waitcnt lgkmcnt(0)
	s_and_b32 s17, s3, 0xffff
	s_delay_alu instid0(SALU_CYCLE_1)
	s_lshl_b32 s20, s17, 1
	s_lshl_b32 s22, s17, 3
	.p2align	6
.LBB216_17:                             ;   Parent Loop BB216_15 Depth=1
                                        ; =>  This Inner Loop Header: Depth=2
	ds_load_b64 v[11:12], v8
	v_add_nc_u32_e32 v8, s22, v8
	v_add_nc_u32_e32 v10, s17, v10
	s_delay_alu instid0(VALU_DEP_1) | instskip(NEXT) | instid1(VALU_DEP_1)
	v_cmp_le_i32_e64 s3, s14, v10
	s_or_b32 s21, s3, s21
	s_waitcnt lgkmcnt(0)
	v_cmp_gt_f32_e32 vcc_lo, v11, v7
	v_cndmask_b32_e32 v7, v7, v11, vcc_lo
	v_add_nc_u32_e32 v11, 1, v9
	v_cndmask_b32_e32 v6, v6, v9, vcc_lo
	s_delay_alu instid0(VALU_DEP_3) | instskip(SKIP_1) | instid1(VALU_DEP_3)
	v_cmp_gt_f32_e32 vcc_lo, v12, v7
	v_cndmask_b32_e32 v7, v7, v12, vcc_lo
	v_dual_cndmask_b32 v6, v6, v11 :: v_dual_add_nc_u32 v9, s20, v9
	s_and_not1_b32 exec_lo, exec_lo, s21
	s_cbranch_execnz .LBB216_17
; %bb.18:                               ;   in Loop: Header=BB216_15 Depth=1
	s_or_b32 exec_lo, exec_lo, s21
.LBB216_19:                             ;   in Loop: Header=BB216_15 Depth=1
	s_delay_alu instid0(SALU_CYCLE_1)
	s_or_b32 exec_lo, exec_lo, s16
	;;#ASMSTART
	v_max_f32 v8, v7, v7 quad_perm:[1,0,3,2] row_mask:0xf bank_mask:0xf bound_ctrl:1
	;;#ASMEND
	;;#ASMSTART
	v_max_f32 v9, v8, v8 quad_perm:[2,3,0,1] row_mask:0xf bank_mask:0xf bound_ctrl:1
	;;#ASMEND
	;;#ASMSTART
	v_max_f32 v8, v9, v9 row_half_mirror row_mask:0xf bank_mask:0xf bound_ctrl:1
	;;#ASMEND
	;;#ASMSTART
	v_max_f32 v9, v8, v8 row_mirror row_mask:0xf bank_mask:0xf bound_ctrl:1
	;;#ASMEND
	v_permlanex16_b32 v8, v9, s19, 0xfedcba98 op_sel:[1,1]
	s_delay_alu instid0(VALU_DEP_1) | instskip(NEXT) | instid1(VALU_DEP_1)
	v_dual_max_f32 v9, v9, v9 :: v_dual_max_f32 v8, v8, v8
	v_max_f32_e32 v8, v9, v8
	s_delay_alu instid0(VALU_DEP_1)
	v_cmp_eq_f32_e32 vcc_lo, v7, v8
	s_ctz_i32_b32 s3, vcc_lo
	s_cmp_lg_u32 vcc_lo, 0
	s_cselect_b32 s3, s3, 0
	s_and_b32 vcc_lo, exec_lo, s12
	v_readlane_b32 s16, v6, s3
	s_cbranch_vccz .LBB216_14
; %bb.20:                               ;   in Loop: Header=BB216_15 Depth=1
	s_delay_alu instid0(VALU_DEP_1) | instskip(NEXT) | instid1(SALU_CYCLE_1)
	s_ashr_i32 s17, s16, 31
	s_lshl_b64 s[20:21], s[16:17], 2
	s_delay_alu instid0(SALU_CYCLE_1)
	s_add_u32 s20, s6, s20
	s_addc_u32 s21, s7, s21
	s_load_b32 s3, s[20:21], 0x0
	s_waitcnt lgkmcnt(0)
	v_subrev_f32_e32 v8, s3, v8
	s_branch .LBB216_14
.LBB216_21:
	v_dual_mov_b32 v2, 0 :: v_dual_mov_b32 v1, 0
.LBB216_22:
	s_mov_b32 s2, exec_lo
	v_cmpx_gt_i32_e64 s13, v0
	s_cbranch_execz .LBB216_25
; %bb.23:
	s_clause 0x2
	s_load_b32 s4, s[0:1], 0x34
	s_load_b64 s[2:3], s[0:1], 0x20
	s_load_b32 s0, s[0:1], 0x44
	s_ashr_i32 s1, s15, 31
	s_waitcnt lgkmcnt(0)
	v_mul_f32_e32 v2, s4, v2
	s_mul_i32 s3, s15, s3
	s_mul_hi_u32 s4, s15, s2
	s_mul_i32 s5, s1, s2
	s_add_i32 s3, s4, s3
	s_mul_i32 s1, s15, s2
	s_and_b32 s2, s0, 0xffff
	s_add_i32 s3, s3, s5
	s_mov_b32 s4, 0
	.p2align	6
.LBB216_24:                             ; =>This Inner Loop Header: Depth=1
	v_ashrrev_i32_e32 v4, 31, v0
	v_add_co_u32 v3, vcc_lo, s1, v0
	v_add_nc_u32_e32 v0, s2, v0
	s_delay_alu instid0(VALU_DEP_3) | instskip(NEXT) | instid1(VALU_DEP_2)
	v_add_co_ci_u32_e32 v4, vcc_lo, s3, v4, vcc_lo
	v_cmp_le_i32_e32 vcc_lo, s13, v0
	s_delay_alu instid0(VALU_DEP_2) | instskip(SKIP_1) | instid1(VALU_DEP_1)
	v_lshlrev_b64 v[3:4], 2, v[3:4]
	s_or_b32 s4, vcc_lo, s4
	v_add_co_u32 v5, s0, s8, v3
	s_delay_alu instid0(VALU_DEP_1) | instskip(SKIP_1) | instid1(VALU_DEP_1)
	v_add_co_ci_u32_e64 v6, s0, s9, v4, s0
	v_add_co_u32 v3, s0, s10, v3
	v_add_co_ci_u32_e64 v4, s0, s11, v4, s0
	global_store_b32 v[5:6], v2, off
	global_store_b32 v[3:4], v1, off
	s_and_not1_b32 exec_lo, exec_lo, s4
	s_cbranch_execnz .LBB216_24
.LBB216_25:
	s_nop 0
	s_sendmsg sendmsg(MSG_DEALLOC_VGPRS)
	s_endpgm
	.section	.rodata,"a",@progbits
	.p2align	6, 0x0
	.amdhsa_kernel _ZN5aiter20topk_softplus_kernelI12hip_bfloat16fDv2_fLb0ELi1EEEvPKT_PKT0_PfPimiiif
		.amdhsa_group_segment_fixed_size 0
		.amdhsa_private_segment_fixed_size 0
		.amdhsa_kernarg_size 312
		.amdhsa_user_sgpr_count 15
		.amdhsa_user_sgpr_dispatch_ptr 0
		.amdhsa_user_sgpr_queue_ptr 0
		.amdhsa_user_sgpr_kernarg_segment_ptr 1
		.amdhsa_user_sgpr_dispatch_id 0
		.amdhsa_user_sgpr_private_segment_size 0
		.amdhsa_wavefront_size32 1
		.amdhsa_uses_dynamic_stack 0
		.amdhsa_enable_private_segment 0
		.amdhsa_system_sgpr_workgroup_id_x 1
		.amdhsa_system_sgpr_workgroup_id_y 0
		.amdhsa_system_sgpr_workgroup_id_z 0
		.amdhsa_system_sgpr_workgroup_info 0
		.amdhsa_system_vgpr_workitem_id 0
		.amdhsa_next_free_vgpr 13
		.amdhsa_next_free_sgpr 24
		.amdhsa_reserve_vcc 1
		.amdhsa_float_round_mode_32 0
		.amdhsa_float_round_mode_16_64 0
		.amdhsa_float_denorm_mode_32 3
		.amdhsa_float_denorm_mode_16_64 3
		.amdhsa_dx10_clamp 1
		.amdhsa_ieee_mode 1
		.amdhsa_fp16_overflow 0
		.amdhsa_workgroup_processor_mode 1
		.amdhsa_memory_ordered 1
		.amdhsa_forward_progress 0
		.amdhsa_shared_vgpr_count 0
		.amdhsa_exception_fp_ieee_invalid_op 0
		.amdhsa_exception_fp_denorm_src 0
		.amdhsa_exception_fp_ieee_div_zero 0
		.amdhsa_exception_fp_ieee_overflow 0
		.amdhsa_exception_fp_ieee_underflow 0
		.amdhsa_exception_fp_ieee_inexact 0
		.amdhsa_exception_int_div_zero 0
	.end_amdhsa_kernel
	.section	.text._ZN5aiter20topk_softplus_kernelI12hip_bfloat16fDv2_fLb0ELi1EEEvPKT_PKT0_PfPimiiif,"axG",@progbits,_ZN5aiter20topk_softplus_kernelI12hip_bfloat16fDv2_fLb0ELi1EEEvPKT_PKT0_PfPimiiif,comdat
.Lfunc_end216:
	.size	_ZN5aiter20topk_softplus_kernelI12hip_bfloat16fDv2_fLb0ELi1EEEvPKT_PKT0_PfPimiiif, .Lfunc_end216-_ZN5aiter20topk_softplus_kernelI12hip_bfloat16fDv2_fLb0ELi1EEEvPKT_PKT0_PfPimiiif
                                        ; -- End function
	.section	.AMDGPU.csdata,"",@progbits
; Kernel info:
; codeLenInByte = 1552
; NumSgprs: 26
; NumVgprs: 13
; ScratchSize: 0
; MemoryBound: 0
; FloatMode: 240
; IeeeMode: 1
; LDSByteSize: 0 bytes/workgroup (compile time only)
; SGPRBlocks: 3
; VGPRBlocks: 1
; NumSGPRsForWavesPerEU: 26
; NumVGPRsForWavesPerEU: 13
; Occupancy: 16
; WaveLimiterHint : 0
; COMPUTE_PGM_RSRC2:SCRATCH_EN: 0
; COMPUTE_PGM_RSRC2:USER_SGPR: 15
; COMPUTE_PGM_RSRC2:TRAP_HANDLER: 0
; COMPUTE_PGM_RSRC2:TGID_X_EN: 1
; COMPUTE_PGM_RSRC2:TGID_Y_EN: 0
; COMPUTE_PGM_RSRC2:TGID_Z_EN: 0
; COMPUTE_PGM_RSRC2:TIDIG_COMP_CNT: 0
	.section	.text._ZN5aiter20topk_softplus_kernelI12hip_bfloat16fDv1_fLb1ELi1EEEvPKT_PKT0_PfPimiiif,"axG",@progbits,_ZN5aiter20topk_softplus_kernelI12hip_bfloat16fDv1_fLb1ELi1EEEvPKT_PKT0_PfPimiiif,comdat
	.protected	_ZN5aiter20topk_softplus_kernelI12hip_bfloat16fDv1_fLb1ELi1EEEvPKT_PKT0_PfPimiiif ; -- Begin function _ZN5aiter20topk_softplus_kernelI12hip_bfloat16fDv1_fLb1ELi1EEEvPKT_PKT0_PfPimiiif
	.globl	_ZN5aiter20topk_softplus_kernelI12hip_bfloat16fDv1_fLb1ELi1EEEvPKT_PKT0_PfPimiiif
	.p2align	8
	.type	_ZN5aiter20topk_softplus_kernelI12hip_bfloat16fDv1_fLb1ELi1EEEvPKT_PKT0_PfPimiiif,@function
_ZN5aiter20topk_softplus_kernelI12hip_bfloat16fDv1_fLb1ELi1EEEvPKT_PKT0_PfPimiiif: ; @_ZN5aiter20topk_softplus_kernelI12hip_bfloat16fDv1_fLb1ELi1EEEvPKT_PKT0_PfPimiiif
; %bb.0:
	s_clause 0x1
	s_load_b64 s[12:13], s[0:1], 0x28
	s_load_b256 s[4:11], s[0:1], 0x0
	v_lshl_add_u32 v3, v0, 2, 0
	s_waitcnt lgkmcnt(0)
	s_mul_i32 s16, s15, s12
	v_cmp_gt_i32_e64 s2, s12, v0
	s_ashr_i32 s17, s16, 31
	s_delay_alu instid0(SALU_CYCLE_1) | instskip(NEXT) | instid1(SALU_CYCLE_1)
	s_lshl_b64 s[16:17], s[16:17], 1
	s_add_u32 s3, s4, s16
	s_addc_u32 s4, s5, s17
	s_and_saveexec_b32 s5, s2
	s_cbranch_execz .LBB217_5
; %bb.1:
	s_load_b32 s16, s[0:1], 0x44
	s_cmp_lg_u64 s[6:7], 0
	v_lshl_add_u32 v4, v0, 2, 0
	v_mov_b32_e32 v1, v0
	s_cselect_b32 s14, -1, 0
	s_mov_b32 s17, 0
	s_waitcnt lgkmcnt(0)
	s_and_b32 s16, s16, 0xffff
	s_delay_alu instid0(SALU_CYCLE_1)
	s_lshl_b32 s18, s16, 2
	s_set_inst_prefetch_distance 0x1
	s_branch .LBB217_3
	.p2align	6
.LBB217_2:                              ;   in Loop: Header=BB217_3 Depth=1
	v_add_nc_u32_e32 v1, s16, v1
	ds_store_b32 v4, v5
	v_add_nc_u32_e32 v4, s18, v4
	v_cmp_le_i32_e32 vcc_lo, s12, v1
	s_or_b32 s17, vcc_lo, s17
	s_delay_alu instid0(SALU_CYCLE_1)
	s_and_not1_b32 exec_lo, exec_lo, s17
	s_cbranch_execz .LBB217_5
.LBB217_3:                              ; =>This Inner Loop Header: Depth=1
	v_ashrrev_i32_e32 v2, 31, v1
	s_delay_alu instid0(VALU_DEP_1) | instskip(NEXT) | instid1(VALU_DEP_1)
	v_lshlrev_b64 v[5:6], 1, v[1:2]
	v_add_co_u32 v5, vcc_lo, s3, v5
	s_delay_alu instid0(VALU_DEP_2) | instskip(SKIP_3) | instid1(VALU_DEP_1)
	v_add_co_ci_u32_e32 v6, vcc_lo, s4, v6, vcc_lo
	global_load_u16 v5, v[5:6], off
	s_waitcnt vmcnt(0)
	v_cvt_f32_u32_e32 v5, v5
	v_mul_f32_e32 v6, 0xbfb8aa3b, v5
	s_delay_alu instid0(VALU_DEP_1) | instskip(SKIP_1) | instid1(VALU_DEP_1)
	v_cmp_gt_f32_e32 vcc_lo, 0xc2fc0000, v6
	v_cndmask_b32_e64 v6, 0, 0x42800000, vcc_lo
	v_fmac_f32_e32 v6, 0xbfb8aa3b, v5
	s_delay_alu instid0(VALU_DEP_1) | instskip(SKIP_4) | instid1(VALU_DEP_1)
	v_exp_f32_e32 v5, v6
	v_cndmask_b32_e64 v6, 1.0, 0x1f800000, vcc_lo
	s_and_not1_b32 vcc_lo, exec_lo, s14
	s_waitcnt_depctr 0xfff
	v_fma_f32 v5, v5, v6, 1.0
	v_rcp_f32_e32 v5, v5
	s_cbranch_vccnz .LBB217_2
; %bb.4:                                ;   in Loop: Header=BB217_3 Depth=1
	v_lshlrev_b64 v[6:7], 2, v[1:2]
	s_delay_alu instid0(VALU_DEP_1) | instskip(NEXT) | instid1(VALU_DEP_2)
	v_add_co_u32 v6, vcc_lo, s6, v6
	v_add_co_ci_u32_e32 v7, vcc_lo, s7, v7, vcc_lo
	global_load_b32 v2, v[6:7], off
	s_waitcnt vmcnt(0)
	v_add_f32_e32 v5, v5, v2
	s_branch .LBB217_2
.LBB217_5:
	s_set_inst_prefetch_distance 0x2
	s_or_b32 exec_lo, exec_lo, s5
	v_add_nc_u32_e32 v1, s12, v0
	s_mov_b32 s5, exec_lo
	s_delay_alu instid0(VALU_DEP_1)
	v_cmpx_gt_i32_e64 s12, v1
	s_cbranch_execz .LBB217_10
; %bb.6:
	s_load_b32 s16, s[0:1], 0x44
	s_cmp_lg_u64 s[6:7], 0
	v_lshl_add_u32 v4, v1, 2, 0
	s_cselect_b32 s14, -1, 0
	s_mov_b32 s17, 0
	s_waitcnt lgkmcnt(0)
	s_and_b32 s16, s16, 0xffff
	s_delay_alu instid0(SALU_CYCLE_1)
	s_lshl_b32 s18, s16, 2
	s_set_inst_prefetch_distance 0x1
	s_branch .LBB217_8
	.p2align	6
.LBB217_7:                              ;   in Loop: Header=BB217_8 Depth=1
	v_add_nc_u32_e32 v1, s16, v1
	v_add_nc_u32_e32 v4, s18, v4
	s_delay_alu instid0(VALU_DEP_2) | instskip(SKIP_1) | instid1(SALU_CYCLE_1)
	v_cmp_le_i32_e32 vcc_lo, s12, v1
	s_or_b32 s17, vcc_lo, s17
	s_and_not1_b32 exec_lo, exec_lo, s17
	s_cbranch_execz .LBB217_10
.LBB217_8:                              ; =>This Inner Loop Header: Depth=1
	v_ashrrev_i32_e32 v2, 31, v1
	s_delay_alu instid0(VALU_DEP_1) | instskip(NEXT) | instid1(VALU_DEP_1)
	v_lshlrev_b64 v[5:6], 1, v[1:2]
	v_add_co_u32 v5, vcc_lo, s3, v5
	s_delay_alu instid0(VALU_DEP_2) | instskip(SKIP_3) | instid1(VALU_DEP_1)
	v_add_co_ci_u32_e32 v6, vcc_lo, s4, v6, vcc_lo
	global_load_u16 v5, v[5:6], off
	s_waitcnt vmcnt(0)
	v_lshlrev_b32_e32 v5, 16, v5
	v_mul_f32_e32 v6, 0xbfb8aa3b, v5
	s_delay_alu instid0(VALU_DEP_1) | instskip(SKIP_1) | instid1(VALU_DEP_1)
	v_cmp_gt_f32_e32 vcc_lo, 0xc2fc0000, v6
	v_cndmask_b32_e64 v6, 0, 0x42800000, vcc_lo
	v_fmac_f32_e32 v6, 0xbfb8aa3b, v5
	s_delay_alu instid0(VALU_DEP_1) | instskip(SKIP_4) | instid1(VALU_DEP_1)
	v_exp_f32_e32 v5, v6
	v_cndmask_b32_e64 v6, 1.0, 0x1f800000, vcc_lo
	s_and_not1_b32 vcc_lo, exec_lo, s14
	s_waitcnt_depctr 0xfff
	v_fma_f32 v5, v5, v6, 1.0
	v_rcp_f32_e32 v5, v5
	ds_store_b32 v4, v5
	s_cbranch_vccnz .LBB217_7
; %bb.9:                                ;   in Loop: Header=BB217_8 Depth=1
	v_lshlrev_b64 v[6:7], 2, v[1:2]
	s_delay_alu instid0(VALU_DEP_1) | instskip(NEXT) | instid1(VALU_DEP_2)
	v_add_co_u32 v6, vcc_lo, s6, v6
	v_add_co_ci_u32_e32 v7, vcc_lo, s7, v7, vcc_lo
	global_load_b32 v2, v[6:7], off
	s_waitcnt vmcnt(0)
	v_add_f32_e32 v2, v5, v2
	ds_store_b32 v4, v2
	s_branch .LBB217_7
.LBB217_10:
	s_set_inst_prefetch_distance 0x2
	s_or_b32 exec_lo, exec_lo, s5
	v_mov_b32_e32 v2, 0
	s_cmp_lt_i32 s13, 1
	s_waitcnt lgkmcnt(0)
	s_barrier
	buffer_gl0_inv
	s_cbranch_scc1 .LBB217_19
; %bb.11:
	s_add_u32 s4, s0, 56
	s_addc_u32 s5, s1, 0
	v_dual_mov_b32 v2, 0 :: v_dual_mov_b32 v5, 0xff800000
	v_dual_mov_b32 v1, 0 :: v_dual_mov_b32 v4, 0
	s_cmp_lg_u64 s[6:7], 0
	s_mov_b32 s14, 0
	s_cselect_b32 s3, -1, 0
	s_mov_b32 s18, 0x76543210
	s_branch .LBB217_13
.LBB217_12:                             ;   in Loop: Header=BB217_13 Depth=1
	v_cmp_eq_u32_e32 vcc_lo, s14, v0
	s_delay_alu instid0(VALU_DEP_2) | instskip(NEXT) | instid1(VALU_DEP_2)
	s_lshl_b32 s17, s16, 2
	v_add_f32_e32 v4, v4, v8
	s_add_i32 s17, s17, 0
	s_add_i32 s14, s14, 1
	v_cndmask_b32_e64 v1, v1, s16, vcc_lo
	v_mov_b32_e32 v6, s17
	v_cndmask_b32_e32 v2, v2, v8, vcc_lo
	s_cmp_eq_u32 s14, s13
	ds_store_b32 v6, v5
	s_cbranch_scc1 .LBB217_20
.LBB217_13:                             ; =>This Loop Header: Depth=1
                                        ;     Child Loop BB217_15 Depth 2
	v_dual_mov_b32 v6, s14 :: v_dual_mov_b32 v7, 0xff800000
	s_and_saveexec_b32 s16, s2
	s_cbranch_execz .LBB217_17
; %bb.14:                               ;   in Loop: Header=BB217_13 Depth=1
	s_load_b32 s17, s[4:5], 0xc
	v_dual_mov_b32 v6, s14 :: v_dual_mov_b32 v7, 0xff800000
	v_dual_mov_b32 v8, v3 :: v_dual_mov_b32 v9, v0
	s_mov_b32 s19, 0
	s_waitcnt lgkmcnt(0)
	s_and_b32 s17, s17, 0xffff
	s_delay_alu instid0(SALU_CYCLE_1)
	s_lshl_b32 s20, s17, 2
.LBB217_15:                             ;   Parent Loop BB217_13 Depth=1
                                        ; =>  This Inner Loop Header: Depth=2
	ds_load_b32 v10, v8
	v_add_nc_u32_e32 v8, s20, v8
	s_waitcnt lgkmcnt(0)
	v_cmp_gt_f32_e32 vcc_lo, v10, v7
	v_dual_cndmask_b32 v7, v7, v10 :: v_dual_cndmask_b32 v6, v6, v9
	v_add_nc_u32_e32 v9, s17, v9
	s_delay_alu instid0(VALU_DEP_1) | instskip(SKIP_1) | instid1(SALU_CYCLE_1)
	v_cmp_le_i32_e32 vcc_lo, s12, v9
	s_or_b32 s19, vcc_lo, s19
	s_and_not1_b32 exec_lo, exec_lo, s19
	s_cbranch_execnz .LBB217_15
; %bb.16:                               ;   in Loop: Header=BB217_13 Depth=1
	s_or_b32 exec_lo, exec_lo, s19
.LBB217_17:                             ;   in Loop: Header=BB217_13 Depth=1
	s_delay_alu instid0(SALU_CYCLE_1)
	s_or_b32 exec_lo, exec_lo, s16
	;;#ASMSTART
	v_max_f32 v8, v7, v7 quad_perm:[1,0,3,2] row_mask:0xf bank_mask:0xf bound_ctrl:1
	;;#ASMEND
	;;#ASMSTART
	v_max_f32 v9, v8, v8 quad_perm:[2,3,0,1] row_mask:0xf bank_mask:0xf bound_ctrl:1
	;;#ASMEND
	;;#ASMSTART
	v_max_f32 v8, v9, v9 row_half_mirror row_mask:0xf bank_mask:0xf bound_ctrl:1
	;;#ASMEND
	;;#ASMSTART
	v_max_f32 v9, v8, v8 row_mirror row_mask:0xf bank_mask:0xf bound_ctrl:1
	;;#ASMEND
	v_permlanex16_b32 v8, v9, s18, 0xfedcba98 op_sel:[1,1]
	s_delay_alu instid0(VALU_DEP_1) | instskip(NEXT) | instid1(VALU_DEP_1)
	v_dual_max_f32 v9, v9, v9 :: v_dual_max_f32 v8, v8, v8
	v_max_f32_e32 v8, v9, v8
	s_delay_alu instid0(VALU_DEP_1)
	v_cmp_eq_f32_e32 vcc_lo, v7, v8
	s_ctz_i32_b32 s16, vcc_lo
	s_cmp_lg_u32 vcc_lo, 0
	s_cselect_b32 s16, s16, 0
	s_and_b32 vcc_lo, exec_lo, s3
	v_readlane_b32 s16, v6, s16
	s_cbranch_vccz .LBB217_12
; %bb.18:                               ;   in Loop: Header=BB217_13 Depth=1
	s_delay_alu instid0(VALU_DEP_1) | instskip(NEXT) | instid1(SALU_CYCLE_1)
	s_ashr_i32 s17, s16, 31
	s_lshl_b64 s[20:21], s[16:17], 2
	s_delay_alu instid0(SALU_CYCLE_1)
	s_add_u32 s20, s6, s20
	s_addc_u32 s21, s7, s21
	s_load_b32 s17, s[20:21], 0x0
	s_waitcnt lgkmcnt(0)
	v_subrev_f32_e32 v8, s17, v8
	s_branch .LBB217_12
.LBB217_19:
	v_dual_mov_b32 v1, 0 :: v_dual_mov_b32 v4, 0
.LBB217_20:
	s_mov_b32 s2, exec_lo
	v_cmpx_gt_i32_e64 s13, v0
	s_cbranch_execz .LBB217_23
; %bb.21:
	s_clause 0x1
	s_load_b32 s2, s[0:1], 0x34
	s_load_b32 s3, s[0:1], 0x44
	v_max_f32_e32 v3, v4, v4
	s_load_b64 s[0:1], s[0:1], 0x20
	s_ashr_i32 s4, s15, 31
	s_delay_alu instid0(VALU_DEP_1) | instskip(SKIP_1) | instid1(VALU_DEP_1)
	v_max_f32_e32 v3, 0x1e3ce508, v3
	s_waitcnt lgkmcnt(0)
	v_div_scale_f32 v4, null, v3, v3, s2
	v_div_scale_f32 v7, vcc_lo, s2, v3, s2
	s_mul_i32 s1, s15, s1
	s_delay_alu instid0(VALU_DEP_2) | instskip(SKIP_4) | instid1(VALU_DEP_1)
	v_rcp_f32_e32 v5, v4
	s_mul_i32 s4, s4, s0
	s_and_b32 s3, s3, 0xffff
	s_waitcnt_depctr 0xfff
	v_fma_f32 v6, -v4, v5, 1.0
	v_fmac_f32_e32 v5, v6, v5
	s_delay_alu instid0(VALU_DEP_1) | instskip(NEXT) | instid1(VALU_DEP_1)
	v_mul_f32_e32 v6, v7, v5
	v_fma_f32 v8, -v4, v6, v7
	s_delay_alu instid0(VALU_DEP_1) | instskip(NEXT) | instid1(VALU_DEP_1)
	v_fmac_f32_e32 v6, v8, v5
	v_fma_f32 v4, -v4, v6, v7
	s_delay_alu instid0(VALU_DEP_1) | instskip(NEXT) | instid1(VALU_DEP_1)
	v_div_fmas_f32 v4, v4, v5, v6
	v_div_fixup_f32 v3, v4, v3, s2
	s_mul_hi_u32 s2, s15, s0
	s_delay_alu instid0(SALU_CYCLE_1) | instskip(SKIP_1) | instid1(VALU_DEP_1)
	s_add_i32 s1, s2, s1
	s_mul_i32 s2, s15, s0
	v_mul_f32_e32 v2, v2, v3
	s_add_i32 s1, s1, s4
	s_mov_b32 s4, 0
	.p2align	6
.LBB217_22:                             ; =>This Inner Loop Header: Depth=1
	v_ashrrev_i32_e32 v4, 31, v0
	v_add_co_u32 v3, vcc_lo, s2, v0
	v_add_nc_u32_e32 v0, s3, v0
	s_delay_alu instid0(VALU_DEP_3) | instskip(NEXT) | instid1(VALU_DEP_2)
	v_add_co_ci_u32_e32 v4, vcc_lo, s1, v4, vcc_lo
	v_cmp_le_i32_e32 vcc_lo, s13, v0
	s_delay_alu instid0(VALU_DEP_2) | instskip(SKIP_1) | instid1(VALU_DEP_1)
	v_lshlrev_b64 v[3:4], 2, v[3:4]
	s_or_b32 s4, vcc_lo, s4
	v_add_co_u32 v5, s0, s8, v3
	s_delay_alu instid0(VALU_DEP_1) | instskip(SKIP_1) | instid1(VALU_DEP_1)
	v_add_co_ci_u32_e64 v6, s0, s9, v4, s0
	v_add_co_u32 v3, s0, s10, v3
	v_add_co_ci_u32_e64 v4, s0, s11, v4, s0
	global_store_b32 v[5:6], v2, off
	global_store_b32 v[3:4], v1, off
	s_and_not1_b32 exec_lo, exec_lo, s4
	s_cbranch_execnz .LBB217_22
.LBB217_23:
	s_nop 0
	s_sendmsg sendmsg(MSG_DEALLOC_VGPRS)
	s_endpgm
	.section	.rodata,"a",@progbits
	.p2align	6, 0x0
	.amdhsa_kernel _ZN5aiter20topk_softplus_kernelI12hip_bfloat16fDv1_fLb1ELi1EEEvPKT_PKT0_PfPimiiif
		.amdhsa_group_segment_fixed_size 0
		.amdhsa_private_segment_fixed_size 0
		.amdhsa_kernarg_size 312
		.amdhsa_user_sgpr_count 15
		.amdhsa_user_sgpr_dispatch_ptr 0
		.amdhsa_user_sgpr_queue_ptr 0
		.amdhsa_user_sgpr_kernarg_segment_ptr 1
		.amdhsa_user_sgpr_dispatch_id 0
		.amdhsa_user_sgpr_private_segment_size 0
		.amdhsa_wavefront_size32 1
		.amdhsa_uses_dynamic_stack 0
		.amdhsa_enable_private_segment 0
		.amdhsa_system_sgpr_workgroup_id_x 1
		.amdhsa_system_sgpr_workgroup_id_y 0
		.amdhsa_system_sgpr_workgroup_id_z 0
		.amdhsa_system_sgpr_workgroup_info 0
		.amdhsa_system_vgpr_workitem_id 0
		.amdhsa_next_free_vgpr 11
		.amdhsa_next_free_sgpr 22
		.amdhsa_reserve_vcc 1
		.amdhsa_float_round_mode_32 0
		.amdhsa_float_round_mode_16_64 0
		.amdhsa_float_denorm_mode_32 3
		.amdhsa_float_denorm_mode_16_64 3
		.amdhsa_dx10_clamp 1
		.amdhsa_ieee_mode 1
		.amdhsa_fp16_overflow 0
		.amdhsa_workgroup_processor_mode 1
		.amdhsa_memory_ordered 1
		.amdhsa_forward_progress 0
		.amdhsa_shared_vgpr_count 0
		.amdhsa_exception_fp_ieee_invalid_op 0
		.amdhsa_exception_fp_denorm_src 0
		.amdhsa_exception_fp_ieee_div_zero 0
		.amdhsa_exception_fp_ieee_overflow 0
		.amdhsa_exception_fp_ieee_underflow 0
		.amdhsa_exception_fp_ieee_inexact 0
		.amdhsa_exception_int_div_zero 0
	.end_amdhsa_kernel
	.section	.text._ZN5aiter20topk_softplus_kernelI12hip_bfloat16fDv1_fLb1ELi1EEEvPKT_PKT0_PfPimiiif,"axG",@progbits,_ZN5aiter20topk_softplus_kernelI12hip_bfloat16fDv1_fLb1ELi1EEEvPKT_PKT0_PfPimiiif,comdat
.Lfunc_end217:
	.size	_ZN5aiter20topk_softplus_kernelI12hip_bfloat16fDv1_fLb1ELi1EEEvPKT_PKT0_PfPimiiif, .Lfunc_end217-_ZN5aiter20topk_softplus_kernelI12hip_bfloat16fDv1_fLb1ELi1EEEvPKT_PKT0_PfPimiiif
                                        ; -- End function
	.section	.AMDGPU.csdata,"",@progbits
; Kernel info:
; codeLenInByte = 1448
; NumSgprs: 24
; NumVgprs: 11
; ScratchSize: 0
; MemoryBound: 0
; FloatMode: 240
; IeeeMode: 1
; LDSByteSize: 0 bytes/workgroup (compile time only)
; SGPRBlocks: 2
; VGPRBlocks: 1
; NumSGPRsForWavesPerEU: 24
; NumVGPRsForWavesPerEU: 11
; Occupancy: 16
; WaveLimiterHint : 0
; COMPUTE_PGM_RSRC2:SCRATCH_EN: 0
; COMPUTE_PGM_RSRC2:USER_SGPR: 15
; COMPUTE_PGM_RSRC2:TRAP_HANDLER: 0
; COMPUTE_PGM_RSRC2:TGID_X_EN: 1
; COMPUTE_PGM_RSRC2:TGID_Y_EN: 0
; COMPUTE_PGM_RSRC2:TGID_Z_EN: 0
; COMPUTE_PGM_RSRC2:TIDIG_COMP_CNT: 0
	.section	.text._ZN5aiter20topk_softplus_kernelI12hip_bfloat16fDv1_fLb0ELi1EEEvPKT_PKT0_PfPimiiif,"axG",@progbits,_ZN5aiter20topk_softplus_kernelI12hip_bfloat16fDv1_fLb0ELi1EEEvPKT_PKT0_PfPimiiif,comdat
	.protected	_ZN5aiter20topk_softplus_kernelI12hip_bfloat16fDv1_fLb0ELi1EEEvPKT_PKT0_PfPimiiif ; -- Begin function _ZN5aiter20topk_softplus_kernelI12hip_bfloat16fDv1_fLb0ELi1EEEvPKT_PKT0_PfPimiiif
	.globl	_ZN5aiter20topk_softplus_kernelI12hip_bfloat16fDv1_fLb0ELi1EEEvPKT_PKT0_PfPimiiif
	.p2align	8
	.type	_ZN5aiter20topk_softplus_kernelI12hip_bfloat16fDv1_fLb0ELi1EEEvPKT_PKT0_PfPimiiif,@function
_ZN5aiter20topk_softplus_kernelI12hip_bfloat16fDv1_fLb0ELi1EEEvPKT_PKT0_PfPimiiif: ; @_ZN5aiter20topk_softplus_kernelI12hip_bfloat16fDv1_fLb0ELi1EEEvPKT_PKT0_PfPimiiif
; %bb.0:
	s_clause 0x1
	s_load_b64 s[12:13], s[0:1], 0x28
	s_load_b256 s[4:11], s[0:1], 0x0
	v_lshl_add_u32 v3, v0, 2, 0
	s_waitcnt lgkmcnt(0)
	s_mul_i32 s16, s15, s12
	v_cmp_gt_i32_e64 s2, s12, v0
	s_ashr_i32 s17, s16, 31
	s_delay_alu instid0(SALU_CYCLE_1) | instskip(NEXT) | instid1(SALU_CYCLE_1)
	s_lshl_b64 s[16:17], s[16:17], 1
	s_add_u32 s3, s4, s16
	s_addc_u32 s4, s5, s17
	s_and_saveexec_b32 s5, s2
	s_cbranch_execz .LBB218_5
; %bb.1:
	s_load_b32 s16, s[0:1], 0x44
	s_cmp_lg_u64 s[6:7], 0
	v_lshl_add_u32 v4, v0, 2, 0
	v_mov_b32_e32 v1, v0
	s_cselect_b32 s14, -1, 0
	s_mov_b32 s17, 0
	s_waitcnt lgkmcnt(0)
	s_and_b32 s16, s16, 0xffff
	s_delay_alu instid0(SALU_CYCLE_1)
	s_lshl_b32 s18, s16, 2
	s_set_inst_prefetch_distance 0x1
	s_branch .LBB218_3
	.p2align	6
.LBB218_2:                              ;   in Loop: Header=BB218_3 Depth=1
	v_add_nc_u32_e32 v1, s16, v1
	ds_store_b32 v4, v5
	v_add_nc_u32_e32 v4, s18, v4
	v_cmp_le_i32_e32 vcc_lo, s12, v1
	s_or_b32 s17, vcc_lo, s17
	s_delay_alu instid0(SALU_CYCLE_1)
	s_and_not1_b32 exec_lo, exec_lo, s17
	s_cbranch_execz .LBB218_5
.LBB218_3:                              ; =>This Inner Loop Header: Depth=1
	v_ashrrev_i32_e32 v2, 31, v1
	s_delay_alu instid0(VALU_DEP_1) | instskip(NEXT) | instid1(VALU_DEP_1)
	v_lshlrev_b64 v[5:6], 1, v[1:2]
	v_add_co_u32 v5, vcc_lo, s3, v5
	s_delay_alu instid0(VALU_DEP_2) | instskip(SKIP_3) | instid1(VALU_DEP_1)
	v_add_co_ci_u32_e32 v6, vcc_lo, s4, v6, vcc_lo
	global_load_u16 v5, v[5:6], off
	s_waitcnt vmcnt(0)
	v_cvt_f32_u32_e32 v5, v5
	v_mul_f32_e32 v6, 0xbfb8aa3b, v5
	s_delay_alu instid0(VALU_DEP_1) | instskip(SKIP_1) | instid1(VALU_DEP_1)
	v_cmp_gt_f32_e32 vcc_lo, 0xc2fc0000, v6
	v_cndmask_b32_e64 v6, 0, 0x42800000, vcc_lo
	v_fmac_f32_e32 v6, 0xbfb8aa3b, v5
	s_delay_alu instid0(VALU_DEP_1) | instskip(SKIP_4) | instid1(VALU_DEP_1)
	v_exp_f32_e32 v5, v6
	v_cndmask_b32_e64 v6, 1.0, 0x1f800000, vcc_lo
	s_and_not1_b32 vcc_lo, exec_lo, s14
	s_waitcnt_depctr 0xfff
	v_fma_f32 v5, v5, v6, 1.0
	v_rcp_f32_e32 v5, v5
	s_cbranch_vccnz .LBB218_2
; %bb.4:                                ;   in Loop: Header=BB218_3 Depth=1
	v_lshlrev_b64 v[6:7], 2, v[1:2]
	s_delay_alu instid0(VALU_DEP_1) | instskip(NEXT) | instid1(VALU_DEP_2)
	v_add_co_u32 v6, vcc_lo, s6, v6
	v_add_co_ci_u32_e32 v7, vcc_lo, s7, v7, vcc_lo
	global_load_b32 v2, v[6:7], off
	s_waitcnt vmcnt(0)
	v_add_f32_e32 v5, v5, v2
	s_branch .LBB218_2
.LBB218_5:
	s_set_inst_prefetch_distance 0x2
	s_or_b32 exec_lo, exec_lo, s5
	v_add_nc_u32_e32 v1, s12, v0
	s_mov_b32 s5, exec_lo
	s_delay_alu instid0(VALU_DEP_1)
	v_cmpx_gt_i32_e64 s12, v1
	s_cbranch_execz .LBB218_10
; %bb.6:
	s_load_b32 s16, s[0:1], 0x44
	s_cmp_lg_u64 s[6:7], 0
	v_lshl_add_u32 v4, v1, 2, 0
	s_cselect_b32 s14, -1, 0
	s_mov_b32 s17, 0
	s_waitcnt lgkmcnt(0)
	s_and_b32 s16, s16, 0xffff
	s_delay_alu instid0(SALU_CYCLE_1)
	s_lshl_b32 s18, s16, 2
	s_set_inst_prefetch_distance 0x1
	s_branch .LBB218_8
	.p2align	6
.LBB218_7:                              ;   in Loop: Header=BB218_8 Depth=1
	v_add_nc_u32_e32 v1, s16, v1
	v_add_nc_u32_e32 v4, s18, v4
	s_delay_alu instid0(VALU_DEP_2) | instskip(SKIP_1) | instid1(SALU_CYCLE_1)
	v_cmp_le_i32_e32 vcc_lo, s12, v1
	s_or_b32 s17, vcc_lo, s17
	s_and_not1_b32 exec_lo, exec_lo, s17
	s_cbranch_execz .LBB218_10
.LBB218_8:                              ; =>This Inner Loop Header: Depth=1
	v_ashrrev_i32_e32 v2, 31, v1
	s_delay_alu instid0(VALU_DEP_1) | instskip(NEXT) | instid1(VALU_DEP_1)
	v_lshlrev_b64 v[5:6], 1, v[1:2]
	v_add_co_u32 v5, vcc_lo, s3, v5
	s_delay_alu instid0(VALU_DEP_2) | instskip(SKIP_3) | instid1(VALU_DEP_1)
	v_add_co_ci_u32_e32 v6, vcc_lo, s4, v6, vcc_lo
	global_load_u16 v5, v[5:6], off
	s_waitcnt vmcnt(0)
	v_lshlrev_b32_e32 v5, 16, v5
	v_mul_f32_e32 v6, 0xbfb8aa3b, v5
	s_delay_alu instid0(VALU_DEP_1) | instskip(SKIP_1) | instid1(VALU_DEP_1)
	v_cmp_gt_f32_e32 vcc_lo, 0xc2fc0000, v6
	v_cndmask_b32_e64 v6, 0, 0x42800000, vcc_lo
	v_fmac_f32_e32 v6, 0xbfb8aa3b, v5
	s_delay_alu instid0(VALU_DEP_1) | instskip(SKIP_4) | instid1(VALU_DEP_1)
	v_exp_f32_e32 v5, v6
	v_cndmask_b32_e64 v6, 1.0, 0x1f800000, vcc_lo
	s_and_not1_b32 vcc_lo, exec_lo, s14
	s_waitcnt_depctr 0xfff
	v_fma_f32 v5, v5, v6, 1.0
	v_rcp_f32_e32 v5, v5
	ds_store_b32 v4, v5
	s_cbranch_vccnz .LBB218_7
; %bb.9:                                ;   in Loop: Header=BB218_8 Depth=1
	v_lshlrev_b64 v[6:7], 2, v[1:2]
	s_delay_alu instid0(VALU_DEP_1) | instskip(NEXT) | instid1(VALU_DEP_2)
	v_add_co_u32 v6, vcc_lo, s6, v6
	v_add_co_ci_u32_e32 v7, vcc_lo, s7, v7, vcc_lo
	global_load_b32 v2, v[6:7], off
	s_waitcnt vmcnt(0)
	v_add_f32_e32 v2, v5, v2
	ds_store_b32 v4, v2
	s_branch .LBB218_7
.LBB218_10:
	s_set_inst_prefetch_distance 0x2
	s_or_b32 exec_lo, exec_lo, s5
	s_cmp_lt_i32 s13, 1
	s_waitcnt lgkmcnt(0)
	s_barrier
	buffer_gl0_inv
	s_cbranch_scc1 .LBB218_19
; %bb.11:
	s_add_u32 s4, s0, 56
	s_addc_u32 s5, s1, 0
	v_dual_mov_b32 v2, 0 :: v_dual_mov_b32 v1, 0
	v_mov_b32_e32 v4, 0xff800000
	s_cmp_lg_u64 s[6:7], 0
	s_mov_b32 s14, 0
	s_cselect_b32 s3, -1, 0
	s_mov_b32 s18, 0x76543210
	s_branch .LBB218_13
.LBB218_12:                             ;   in Loop: Header=BB218_13 Depth=1
	v_cmp_eq_u32_e32 vcc_lo, s14, v0
	s_delay_alu instid0(VALU_DEP_2)
	s_lshl_b32 s17, s16, 2
	s_add_i32 s14, s14, 1
	s_add_i32 s17, s17, 0
	s_cmp_eq_u32 s14, s13
	v_cndmask_b32_e64 v1, v1, s16, vcc_lo
	v_dual_mov_b32 v5, s17 :: v_dual_cndmask_b32 v2, v2, v7
	ds_store_b32 v5, v4
	s_cbranch_scc1 .LBB218_20
.LBB218_13:                             ; =>This Loop Header: Depth=1
                                        ;     Child Loop BB218_15 Depth 2
	v_dual_mov_b32 v5, s14 :: v_dual_mov_b32 v6, 0xff800000
	s_and_saveexec_b32 s16, s2
	s_cbranch_execz .LBB218_17
; %bb.14:                               ;   in Loop: Header=BB218_13 Depth=1
	s_load_b32 s17, s[4:5], 0xc
	v_dual_mov_b32 v5, s14 :: v_dual_mov_b32 v6, 0xff800000
	v_dual_mov_b32 v7, v3 :: v_dual_mov_b32 v8, v0
	s_mov_b32 s19, 0
	s_waitcnt lgkmcnt(0)
	s_and_b32 s17, s17, 0xffff
	s_delay_alu instid0(SALU_CYCLE_1)
	s_lshl_b32 s20, s17, 2
.LBB218_15:                             ;   Parent Loop BB218_13 Depth=1
                                        ; =>  This Inner Loop Header: Depth=2
	ds_load_b32 v9, v7
	v_add_nc_u32_e32 v7, s20, v7
	s_waitcnt lgkmcnt(0)
	v_cmp_gt_f32_e32 vcc_lo, v9, v6
	v_dual_cndmask_b32 v6, v6, v9 :: v_dual_cndmask_b32 v5, v5, v8
	v_add_nc_u32_e32 v8, s17, v8
	s_delay_alu instid0(VALU_DEP_1) | instskip(SKIP_1) | instid1(SALU_CYCLE_1)
	v_cmp_le_i32_e32 vcc_lo, s12, v8
	s_or_b32 s19, vcc_lo, s19
	s_and_not1_b32 exec_lo, exec_lo, s19
	s_cbranch_execnz .LBB218_15
; %bb.16:                               ;   in Loop: Header=BB218_13 Depth=1
	s_or_b32 exec_lo, exec_lo, s19
.LBB218_17:                             ;   in Loop: Header=BB218_13 Depth=1
	s_delay_alu instid0(SALU_CYCLE_1)
	s_or_b32 exec_lo, exec_lo, s16
	;;#ASMSTART
	v_max_f32 v7, v6, v6 quad_perm:[1,0,3,2] row_mask:0xf bank_mask:0xf bound_ctrl:1
	;;#ASMEND
	;;#ASMSTART
	v_max_f32 v8, v7, v7 quad_perm:[2,3,0,1] row_mask:0xf bank_mask:0xf bound_ctrl:1
	;;#ASMEND
	;;#ASMSTART
	v_max_f32 v7, v8, v8 row_half_mirror row_mask:0xf bank_mask:0xf bound_ctrl:1
	;;#ASMEND
	;;#ASMSTART
	v_max_f32 v8, v7, v7 row_mirror row_mask:0xf bank_mask:0xf bound_ctrl:1
	;;#ASMEND
	v_permlanex16_b32 v7, v8, s18, 0xfedcba98 op_sel:[1,1]
	s_delay_alu instid0(VALU_DEP_1) | instskip(NEXT) | instid1(VALU_DEP_1)
	v_dual_max_f32 v8, v8, v8 :: v_dual_max_f32 v7, v7, v7
	v_max_f32_e32 v7, v8, v7
	s_delay_alu instid0(VALU_DEP_1)
	v_cmp_eq_f32_e32 vcc_lo, v6, v7
	s_ctz_i32_b32 s16, vcc_lo
	s_cmp_lg_u32 vcc_lo, 0
	s_cselect_b32 s16, s16, 0
	s_and_b32 vcc_lo, exec_lo, s3
	v_readlane_b32 s16, v5, s16
	s_cbranch_vccz .LBB218_12
; %bb.18:                               ;   in Loop: Header=BB218_13 Depth=1
	s_delay_alu instid0(VALU_DEP_1) | instskip(NEXT) | instid1(SALU_CYCLE_1)
	s_ashr_i32 s17, s16, 31
	s_lshl_b64 s[20:21], s[16:17], 2
	s_delay_alu instid0(SALU_CYCLE_1)
	s_add_u32 s20, s6, s20
	s_addc_u32 s21, s7, s21
	s_load_b32 s17, s[20:21], 0x0
	s_waitcnt lgkmcnt(0)
	v_subrev_f32_e32 v7, s17, v7
	s_branch .LBB218_12
.LBB218_19:
	v_dual_mov_b32 v2, 0 :: v_dual_mov_b32 v1, 0
.LBB218_20:
	s_mov_b32 s2, exec_lo
	v_cmpx_gt_i32_e64 s13, v0
	s_cbranch_execz .LBB218_23
; %bb.21:
	s_clause 0x2
	s_load_b32 s4, s[0:1], 0x34
	s_load_b64 s[2:3], s[0:1], 0x20
	s_load_b32 s0, s[0:1], 0x44
	s_ashr_i32 s1, s15, 31
	s_waitcnt lgkmcnt(0)
	v_mul_f32_e32 v2, s4, v2
	s_mul_i32 s3, s15, s3
	s_mul_hi_u32 s4, s15, s2
	s_mul_i32 s5, s1, s2
	s_add_i32 s3, s4, s3
	s_mul_i32 s1, s15, s2
	s_and_b32 s2, s0, 0xffff
	s_add_i32 s3, s3, s5
	s_mov_b32 s4, 0
	.p2align	6
.LBB218_22:                             ; =>This Inner Loop Header: Depth=1
	v_ashrrev_i32_e32 v4, 31, v0
	v_add_co_u32 v3, vcc_lo, s1, v0
	v_add_nc_u32_e32 v0, s2, v0
	s_delay_alu instid0(VALU_DEP_3) | instskip(NEXT) | instid1(VALU_DEP_2)
	v_add_co_ci_u32_e32 v4, vcc_lo, s3, v4, vcc_lo
	v_cmp_le_i32_e32 vcc_lo, s13, v0
	s_delay_alu instid0(VALU_DEP_2) | instskip(SKIP_1) | instid1(VALU_DEP_1)
	v_lshlrev_b64 v[3:4], 2, v[3:4]
	s_or_b32 s4, vcc_lo, s4
	v_add_co_u32 v5, s0, s8, v3
	s_delay_alu instid0(VALU_DEP_1) | instskip(SKIP_1) | instid1(VALU_DEP_1)
	v_add_co_ci_u32_e64 v6, s0, s9, v4, s0
	v_add_co_u32 v3, s0, s10, v3
	v_add_co_ci_u32_e64 v4, s0, s11, v4, s0
	global_store_b32 v[5:6], v2, off
	global_store_b32 v[3:4], v1, off
	s_and_not1_b32 exec_lo, exec_lo, s4
	s_cbranch_execnz .LBB218_22
.LBB218_23:
	s_nop 0
	s_sendmsg sendmsg(MSG_DEALLOC_VGPRS)
	s_endpgm
	.section	.rodata,"a",@progbits
	.p2align	6, 0x0
	.amdhsa_kernel _ZN5aiter20topk_softplus_kernelI12hip_bfloat16fDv1_fLb0ELi1EEEvPKT_PKT0_PfPimiiif
		.amdhsa_group_segment_fixed_size 0
		.amdhsa_private_segment_fixed_size 0
		.amdhsa_kernarg_size 312
		.amdhsa_user_sgpr_count 15
		.amdhsa_user_sgpr_dispatch_ptr 0
		.amdhsa_user_sgpr_queue_ptr 0
		.amdhsa_user_sgpr_kernarg_segment_ptr 1
		.amdhsa_user_sgpr_dispatch_id 0
		.amdhsa_user_sgpr_private_segment_size 0
		.amdhsa_wavefront_size32 1
		.amdhsa_uses_dynamic_stack 0
		.amdhsa_enable_private_segment 0
		.amdhsa_system_sgpr_workgroup_id_x 1
		.amdhsa_system_sgpr_workgroup_id_y 0
		.amdhsa_system_sgpr_workgroup_id_z 0
		.amdhsa_system_sgpr_workgroup_info 0
		.amdhsa_system_vgpr_workitem_id 0
		.amdhsa_next_free_vgpr 10
		.amdhsa_next_free_sgpr 22
		.amdhsa_reserve_vcc 1
		.amdhsa_float_round_mode_32 0
		.amdhsa_float_round_mode_16_64 0
		.amdhsa_float_denorm_mode_32 3
		.amdhsa_float_denorm_mode_16_64 3
		.amdhsa_dx10_clamp 1
		.amdhsa_ieee_mode 1
		.amdhsa_fp16_overflow 0
		.amdhsa_workgroup_processor_mode 1
		.amdhsa_memory_ordered 1
		.amdhsa_forward_progress 0
		.amdhsa_shared_vgpr_count 0
		.amdhsa_exception_fp_ieee_invalid_op 0
		.amdhsa_exception_fp_denorm_src 0
		.amdhsa_exception_fp_ieee_div_zero 0
		.amdhsa_exception_fp_ieee_overflow 0
		.amdhsa_exception_fp_ieee_underflow 0
		.amdhsa_exception_fp_ieee_inexact 0
		.amdhsa_exception_int_div_zero 0
	.end_amdhsa_kernel
	.section	.text._ZN5aiter20topk_softplus_kernelI12hip_bfloat16fDv1_fLb0ELi1EEEvPKT_PKT0_PfPimiiif,"axG",@progbits,_ZN5aiter20topk_softplus_kernelI12hip_bfloat16fDv1_fLb0ELi1EEEvPKT_PKT0_PfPimiiif,comdat
.Lfunc_end218:
	.size	_ZN5aiter20topk_softplus_kernelI12hip_bfloat16fDv1_fLb0ELi1EEEvPKT_PKT0_PfPimiiif, .Lfunc_end218-_ZN5aiter20topk_softplus_kernelI12hip_bfloat16fDv1_fLb0ELi1EEEvPKT_PKT0_PfPimiiif
                                        ; -- End function
	.section	.AMDGPU.csdata,"",@progbits
; Kernel info:
; codeLenInByte = 1324
; NumSgprs: 24
; NumVgprs: 10
; ScratchSize: 0
; MemoryBound: 0
; FloatMode: 240
; IeeeMode: 1
; LDSByteSize: 0 bytes/workgroup (compile time only)
; SGPRBlocks: 2
; VGPRBlocks: 1
; NumSGPRsForWavesPerEU: 24
; NumVGPRsForWavesPerEU: 10
; Occupancy: 16
; WaveLimiterHint : 0
; COMPUTE_PGM_RSRC2:SCRATCH_EN: 0
; COMPUTE_PGM_RSRC2:USER_SGPR: 15
; COMPUTE_PGM_RSRC2:TRAP_HANDLER: 0
; COMPUTE_PGM_RSRC2:TGID_X_EN: 1
; COMPUTE_PGM_RSRC2:TGID_Y_EN: 0
; COMPUTE_PGM_RSRC2:TGID_Z_EN: 0
; COMPUTE_PGM_RSRC2:TIDIG_COMP_CNT: 0
	.section	.text._ZN5aiter20topk_softplus_kernelI12hip_bfloat16fDv4_fLb1ELi2EEEvPKT_PKT0_PfPimiiif,"axG",@progbits,_ZN5aiter20topk_softplus_kernelI12hip_bfloat16fDv4_fLb1ELi2EEEvPKT_PKT0_PfPimiiif,comdat
	.protected	_ZN5aiter20topk_softplus_kernelI12hip_bfloat16fDv4_fLb1ELi2EEEvPKT_PKT0_PfPimiiif ; -- Begin function _ZN5aiter20topk_softplus_kernelI12hip_bfloat16fDv4_fLb1ELi2EEEvPKT_PKT0_PfPimiiif
	.globl	_ZN5aiter20topk_softplus_kernelI12hip_bfloat16fDv4_fLb1ELi2EEEvPKT_PKT0_PfPimiiif
	.p2align	8
	.type	_ZN5aiter20topk_softplus_kernelI12hip_bfloat16fDv4_fLb1ELi2EEEvPKT_PKT0_PfPimiiif,@function
_ZN5aiter20topk_softplus_kernelI12hip_bfloat16fDv4_fLb1ELi2EEEvPKT_PKT0_PfPimiiif: ; @_ZN5aiter20topk_softplus_kernelI12hip_bfloat16fDv4_fLb1ELi2EEEvPKT_PKT0_PfPimiiif
; %bb.0:
	s_clause 0x1
	s_load_b64 s[12:13], s[0:1], 0x28
	s_load_b256 s[4:11], s[0:1], 0x0
	v_lshl_add_u32 v3, v0, 4, 0
	s_waitcnt lgkmcnt(0)
	s_ashr_i32 s2, s12, 31
	s_mul_i32 s16, s15, s12
	s_lshr_b32 s2, s2, 30
	s_ashr_i32 s17, s16, 31
	s_add_i32 s2, s12, s2
	s_delay_alu instid0(SALU_CYCLE_1) | instskip(NEXT) | instid1(SALU_CYCLE_1)
	s_ashr_i32 s14, s2, 2
	v_cmp_gt_i32_e64 s2, s14, v0
	s_delay_alu instid0(VALU_DEP_1)
	s_and_saveexec_b32 s18, s2
	s_cbranch_execz .LBB219_3
; %bb.1:
	s_load_b32 s3, s[0:1], 0x44
	v_lshlrev_b32_e32 v1, 3, v0
	s_lshl_b64 s[20:21], s[16:17], 1
	v_lshl_add_u32 v4, v0, 4, 0
	v_mov_b32_e32 v5, v0
	s_waitcnt lgkmcnt(0)
	s_and_b32 s19, s3, 0xffff
	s_add_u32 s3, s4, s20
	s_addc_u32 s20, s5, s21
	v_add_co_u32 v1, s3, s3, v1
	s_delay_alu instid0(VALU_DEP_1)
	v_add_co_ci_u32_e64 v2, null, s20, 0, s3
	s_mov_b32 s20, 0
	s_lshl_b32 s21, s19, 3
	s_lshl_b32 s22, s19, 4
	.p2align	6
.LBB219_2:                              ; =>This Inner Loop Header: Depth=1
	global_load_b64 v[6:7], v[1:2], off
	v_add_nc_u32_e32 v5, s19, v5
	v_add_co_u32 v1, vcc_lo, v1, s21
	v_add_co_ci_u32_e32 v2, vcc_lo, 0, v2, vcc_lo
	s_delay_alu instid0(VALU_DEP_3) | instskip(NEXT) | instid1(VALU_DEP_1)
	v_cmp_le_i32_e64 s3, s14, v5
	s_or_b32 s20, s3, s20
	s_waitcnt vmcnt(0)
	v_lshrrev_b32_e32 v8, 16, v6
	v_and_b32_e32 v6, 0xffff, v6
	v_lshrrev_b32_e32 v9, 16, v7
	v_and_b32_e32 v10, 0xffff, v7
	s_delay_alu instid0(VALU_DEP_4) | instskip(NEXT) | instid1(VALU_DEP_4)
	v_cvt_f32_u32_e32 v7, v8
	v_cvt_f32_u32_e32 v6, v6
	s_delay_alu instid0(VALU_DEP_4) | instskip(NEXT) | instid1(VALU_DEP_4)
	v_cvt_f32_u32_e32 v9, v9
	v_cvt_f32_u32_e32 v8, v10
	ds_store_b128 v4, v[6:9]
	v_add_nc_u32_e32 v4, s22, v4
	s_and_not1_b32 exec_lo, exec_lo, s20
	s_cbranch_execnz .LBB219_2
.LBB219_3:
	s_or_b32 exec_lo, exec_lo, s18
	v_lshl_add_u32 v1, s14, 2, v0
	v_lshlrev_b32_e32 v4, 2, v0
	s_mov_b32 s3, exec_lo
	s_delay_alu instid0(VALU_DEP_2)
	v_cmpx_gt_i32_e64 s12, v1
	s_cbranch_execz .LBB219_6
; %bb.4:
	s_load_b32 s18, s[0:1], 0x44
	s_lshl_b64 s[16:17], s[16:17], 1
	v_lshlrev_b32_e32 v2, 2, v0
	s_add_u32 s4, s4, s16
	s_addc_u32 s5, s5, s17
	s_lshl_b32 s16, s14, 4
	s_mov_b32 s17, 0
	v_add3_u32 v5, 0, s16, v2
	s_waitcnt lgkmcnt(0)
	s_and_b32 s16, s18, 0xffff
	s_delay_alu instid0(SALU_CYCLE_1)
	s_lshl_b32 s18, s16, 2
	.p2align	6
.LBB219_5:                              ; =>This Inner Loop Header: Depth=1
	v_ashrrev_i32_e32 v2, 31, v1
	s_delay_alu instid0(VALU_DEP_1) | instskip(SKIP_1) | instid1(VALU_DEP_2)
	v_lshlrev_b64 v[6:7], 1, v[1:2]
	v_add_nc_u32_e32 v1, s16, v1
	v_add_co_u32 v6, vcc_lo, s4, v6
	s_delay_alu instid0(VALU_DEP_3) | instskip(NEXT) | instid1(VALU_DEP_3)
	v_add_co_ci_u32_e32 v7, vcc_lo, s5, v7, vcc_lo
	v_cmp_le_i32_e32 vcc_lo, s12, v1
	global_load_u16 v2, v[6:7], off
	s_or_b32 s17, vcc_lo, s17
	s_waitcnt vmcnt(0)
	v_lshlrev_b32_e32 v2, 16, v2
	ds_store_b32 v5, v2
	v_add_nc_u32_e32 v5, s18, v5
	s_and_not1_b32 exec_lo, exec_lo, s17
	s_cbranch_execnz .LBB219_5
.LBB219_6:
	s_or_b32 exec_lo, exec_lo, s3
	v_cmp_gt_i32_e32 vcc_lo, s12, v0
	v_mov_b32_e32 v2, 0xff800000
	s_waitcnt lgkmcnt(0)
	s_barrier
	buffer_gl0_inv
	s_and_saveexec_b32 s4, vcc_lo
	s_cbranch_execz .LBB219_10
; %bb.7:
	s_load_b32 s3, s[0:1], 0x44
	v_lshl_add_u32 v1, v0, 2, 0
	v_dual_mov_b32 v2, 0xff800000 :: v_dual_mov_b32 v5, v0
	s_mov_b32 s5, 0
	s_waitcnt lgkmcnt(0)
	s_and_b32 s16, s3, 0xffff
	s_delay_alu instid0(SALU_CYCLE_1)
	s_lshl_b32 s17, s16, 2
.LBB219_8:                              ; =>This Inner Loop Header: Depth=1
	ds_load_b32 v6, v1
	v_dual_max_f32 v2, v2, v2 :: v_dual_add_nc_u32 v5, s16, v5
	v_add_nc_u32_e32 v1, s17, v1
	s_delay_alu instid0(VALU_DEP_2) | instskip(NEXT) | instid1(VALU_DEP_1)
	v_cmp_le_i32_e64 s3, s12, v5
	s_or_b32 s5, s3, s5
	s_waitcnt lgkmcnt(0)
	v_max_f32_e32 v6, v6, v6
	s_delay_alu instid0(VALU_DEP_1)
	v_max_f32_e32 v2, v2, v6
	s_and_not1_b32 exec_lo, exec_lo, s5
	s_cbranch_execnz .LBB219_8
; %bb.9:
	s_or_b32 exec_lo, exec_lo, s5
.LBB219_10:
	s_delay_alu instid0(SALU_CYCLE_1)
	s_or_b32 exec_lo, exec_lo, s4
	v_mov_b32_e32 v1, 0
	;;#ASMSTART
	v_max_f32 v5, v2, v2 quad_perm:[1,0,3,2] row_mask:0xf bank_mask:0xf bound_ctrl:1
	;;#ASMEND
	;;#ASMSTART
	v_max_f32 v2, v5, v5 quad_perm:[2,3,0,1] row_mask:0xf bank_mask:0xf bound_ctrl:1
	;;#ASMEND
	;;#ASMSTART
	v_max_f32 v5, v2, v2 row_half_mirror row_mask:0xf bank_mask:0xf bound_ctrl:1
	;;#ASMEND
	;;#ASMSTART
	v_max_f32 v2, v5, v5 row_mirror row_mask:0xf bank_mask:0xf bound_ctrl:1
	;;#ASMEND
	s_and_saveexec_b32 s4, vcc_lo
	s_cbranch_execz .LBB219_14
; %bb.11:
	s_load_b32 s3, s[0:1], 0x44
	s_mov_b32 s5, 0x76543210
	v_lshl_add_u32 v5, v0, 2, 0
	v_permlanex16_b32 v1, v2, s5, 0xfedcba98 op_sel:[1,1]
	v_mov_b32_e32 v6, v0
	s_mov_b32 s5, 0
	s_delay_alu instid0(VALU_DEP_2) | instskip(NEXT) | instid1(VALU_DEP_1)
	v_dual_max_f32 v2, v2, v2 :: v_dual_max_f32 v1, v1, v1
	v_dual_max_f32 v2, v2, v1 :: v_dual_mov_b32 v1, 0
	s_waitcnt lgkmcnt(0)
	s_and_b32 s16, s3, 0xffff
	s_delay_alu instid0(SALU_CYCLE_1)
	s_lshl_b32 s17, s16, 2
	.p2align	6
.LBB219_12:                             ; =>This Inner Loop Header: Depth=1
	ds_load_b32 v7, v5
	s_waitcnt lgkmcnt(0)
	v_sub_f32_e32 v7, v7, v2
	s_delay_alu instid0(VALU_DEP_1) | instskip(NEXT) | instid1(VALU_DEP_1)
	v_mul_f32_e32 v8, 0x3fb8aa3b, v7
	v_cmp_gt_f32_e64 s3, 0xc2fc0000, v8
	s_delay_alu instid0(VALU_DEP_1) | instskip(NEXT) | instid1(VALU_DEP_1)
	v_cndmask_b32_e64 v8, 0, 0x42800000, s3
	v_fmac_f32_e32 v8, 0x3fb8aa3b, v7
	s_delay_alu instid0(VALU_DEP_1) | instskip(SKIP_3) | instid1(VALU_DEP_1)
	v_exp_f32_e32 v7, v8
	v_cndmask_b32_e64 v8, 1.0, 0x1f800000, s3
	s_waitcnt_depctr 0xfff
	v_dual_mul_f32 v9, v7, v8 :: v_dual_add_nc_u32 v6, s16, v6
	v_cmp_le_i32_e64 s3, s12, v6
	v_fmac_f32_e32 v1, v7, v8
	ds_store_b32 v5, v9
	v_add_nc_u32_e32 v5, s17, v5
	s_or_b32 s5, s3, s5
	s_delay_alu instid0(SALU_CYCLE_1)
	s_and_not1_b32 exec_lo, exec_lo, s5
	s_cbranch_execnz .LBB219_12
; %bb.13:
	s_or_b32 exec_lo, exec_lo, s5
.LBB219_14:
	s_delay_alu instid0(SALU_CYCLE_1) | instskip(SKIP_1) | instid1(VALU_DEP_1)
	s_or_b32 exec_lo, exec_lo, s4
	v_mov_b32_dpp v2, v1 quad_perm:[1,0,3,2] row_mask:0xf bank_mask:0xf
	v_add_f32_e32 v1, v1, v2
	s_delay_alu instid0(VALU_DEP_1) | instskip(NEXT) | instid1(VALU_DEP_1)
	v_mov_b32_dpp v2, v1 quad_perm:[2,3,0,1] row_mask:0xf bank_mask:0xf
	v_add_f32_e32 v1, v1, v2
	s_delay_alu instid0(VALU_DEP_1) | instskip(NEXT) | instid1(VALU_DEP_1)
	v_mov_b32_dpp v2, v1 row_xmask:7 row_mask:0xf bank_mask:0xf
	v_add_f32_e32 v1, v1, v2
	s_delay_alu instid0(VALU_DEP_1)
	v_mov_b32_dpp v2, v1 row_xmask:15 row_mask:0xf bank_mask:0xf
	s_and_saveexec_b32 s3, vcc_lo
	s_cbranch_execz .LBB219_19
; %bb.15:
	s_delay_alu instid0(VALU_DEP_1)
	v_add_f32_e32 v1, v1, v2
	s_load_b32 s5, s[0:1], 0x44
	s_mov_b32 s4, 0x76543210
	s_cmp_lg_u64 s[6:7], 0
	v_lshl_add_u32 v6, v0, 2, 0
	v_permlanex16_b32 v2, v1, s4, 0xfedcba98 op_sel:[1,1]
	s_cselect_b32 s4, -1, 0
	s_mov_b32 s16, 0
	s_delay_alu instid0(VALU_DEP_1) | instskip(NEXT) | instid1(VALU_DEP_1)
	v_add_f32_e32 v1, v1, v2
	v_rcp_f32_e32 v5, v1
	v_mov_b32_e32 v1, v0
	s_waitcnt lgkmcnt(0)
	s_and_b32 s5, s5, 0xffff
	s_delay_alu instid0(SALU_CYCLE_1)
	s_lshl_b32 s17, s5, 2
	s_set_inst_prefetch_distance 0x1
	s_branch .LBB219_17
	.p2align	6
.LBB219_16:                             ;   in Loop: Header=BB219_17 Depth=1
	v_add_nc_u32_e32 v1, s5, v1
	v_add_nc_u32_e32 v6, s17, v6
	s_delay_alu instid0(VALU_DEP_2) | instskip(SKIP_1) | instid1(SALU_CYCLE_1)
	v_cmp_le_i32_e32 vcc_lo, s12, v1
	s_or_b32 s16, vcc_lo, s16
	s_and_not1_b32 exec_lo, exec_lo, s16
	s_cbranch_execz .LBB219_19
.LBB219_17:                             ; =>This Inner Loop Header: Depth=1
	ds_load_b32 v2, v6
	s_and_not1_b32 vcc_lo, exec_lo, s4
	s_waitcnt lgkmcnt(0)
	v_mul_f32_e32 v7, v5, v2
	ds_store_b32 v6, v7
	s_cbranch_vccnz .LBB219_16
; %bb.18:                               ;   in Loop: Header=BB219_17 Depth=1
	v_ashrrev_i32_e32 v2, 31, v1
	s_delay_alu instid0(VALU_DEP_1) | instskip(NEXT) | instid1(VALU_DEP_1)
	v_lshlrev_b64 v[8:9], 2, v[1:2]
	v_add_co_u32 v8, vcc_lo, s6, v8
	s_delay_alu instid0(VALU_DEP_2)
	v_add_co_ci_u32_e32 v9, vcc_lo, s7, v9, vcc_lo
	global_load_b32 v2, v[8:9], off
	s_waitcnt vmcnt(0)
	v_add_f32_e32 v2, v7, v2
	ds_store_b32 v6, v2
	s_branch .LBB219_16
.LBB219_19:
	s_set_inst_prefetch_distance 0x2
	s_or_b32 exec_lo, exec_lo, s3
	v_mov_b32_e32 v2, 0
	s_cmp_lt_i32 s13, 1
	s_waitcnt lgkmcnt(0)
	s_barrier
	buffer_gl0_inv
	s_cbranch_scc1 .LBB219_28
; %bb.20:
	s_add_u32 s4, s0, 56
	s_addc_u32 s5, s1, 0
	v_dual_mov_b32 v2, 0 :: v_dual_mov_b32 v1, 0
	v_dual_mov_b32 v6, 0xff800000 :: v_dual_mov_b32 v5, 0
	s_cmp_lg_u64 s[6:7], 0
	s_mov_b32 s18, 0
	s_cselect_b32 s12, -1, 0
	s_mov_b32 s19, 0x76543210
	s_branch .LBB219_22
.LBB219_21:                             ;   in Loop: Header=BB219_22 Depth=1
	v_cmp_eq_u32_e32 vcc_lo, s18, v0
	s_delay_alu instid0(VALU_DEP_2) | instskip(NEXT) | instid1(VALU_DEP_2)
	s_lshl_b32 s3, s16, 2
	v_add_f32_e32 v5, v5, v9
	s_add_i32 s3, s3, 0
	s_add_i32 s18, s18, 1
	v_cndmask_b32_e64 v1, v1, s16, vcc_lo
	v_dual_mov_b32 v7, s3 :: v_dual_cndmask_b32 v2, v2, v9
	s_cmp_eq_u32 s18, s13
	ds_store_b32 v7, v6
	s_cbranch_scc1 .LBB219_29
.LBB219_22:                             ; =>This Loop Header: Depth=1
                                        ;     Child Loop BB219_24 Depth 2
	v_dual_mov_b32 v7, s18 :: v_dual_mov_b32 v8, 0xff800000
	s_and_saveexec_b32 s16, s2
	s_cbranch_execz .LBB219_26
; %bb.23:                               ;   in Loop: Header=BB219_22 Depth=1
	s_load_b32 s3, s[4:5], 0xc
	v_dual_mov_b32 v7, s18 :: v_dual_mov_b32 v8, 0xff800000
	v_dual_mov_b32 v9, v3 :: v_dual_mov_b32 v10, v4
	v_mov_b32_e32 v11, v0
	s_mov_b32 s21, 0
	s_waitcnt lgkmcnt(0)
	s_and_b32 s17, s3, 0xffff
	s_delay_alu instid0(SALU_CYCLE_1)
	s_lshl_b32 s20, s17, 2
	s_lshl_b32 s22, s17, 4
	.p2align	6
.LBB219_24:                             ;   Parent Loop BB219_22 Depth=1
                                        ; =>  This Inner Loop Header: Depth=2
	ds_load_b128 v[12:15], v9
	v_add_nc_u32_e32 v11, s17, v11
	s_delay_alu instid0(VALU_DEP_1) | instskip(NEXT) | instid1(VALU_DEP_1)
	v_cmp_le_i32_e64 s3, s14, v11
	s_or_b32 s21, s3, s21
	s_waitcnt lgkmcnt(0)
	v_cmp_gt_f32_e32 vcc_lo, v12, v8
	v_dual_cndmask_b32 v8, v8, v12 :: v_dual_cndmask_b32 v7, v7, v10
	s_delay_alu instid0(VALU_DEP_1) | instskip(SKIP_2) | instid1(VALU_DEP_1)
	v_cmp_gt_f32_e32 vcc_lo, v13, v8
	v_dual_cndmask_b32 v8, v8, v13 :: v_dual_add_nc_u32 v13, 2, v10
	v_add_nc_u32_e32 v12, 1, v10
	v_cndmask_b32_e32 v7, v7, v12, vcc_lo
	s_delay_alu instid0(VALU_DEP_3) | instskip(SKIP_1) | instid1(VALU_DEP_3)
	v_cmp_gt_f32_e32 vcc_lo, v14, v8
	v_add_nc_u32_e32 v12, 3, v10
	v_dual_cndmask_b32 v8, v8, v14 :: v_dual_cndmask_b32 v7, v7, v13
	s_delay_alu instid0(VALU_DEP_1) | instskip(SKIP_1) | instid1(VALU_DEP_3)
	v_cmp_gt_f32_e32 vcc_lo, v15, v8
	v_add_nc_u32_e32 v9, s22, v9
	v_dual_cndmask_b32 v7, v7, v12 :: v_dual_add_nc_u32 v10, s20, v10
	v_cndmask_b32_e32 v8, v8, v15, vcc_lo
	s_and_not1_b32 exec_lo, exec_lo, s21
	s_cbranch_execnz .LBB219_24
; %bb.25:                               ;   in Loop: Header=BB219_22 Depth=1
	s_or_b32 exec_lo, exec_lo, s21
.LBB219_26:                             ;   in Loop: Header=BB219_22 Depth=1
	s_delay_alu instid0(SALU_CYCLE_1)
	s_or_b32 exec_lo, exec_lo, s16
	;;#ASMSTART
	v_max_f32 v9, v8, v8 quad_perm:[1,0,3,2] row_mask:0xf bank_mask:0xf bound_ctrl:1
	;;#ASMEND
	;;#ASMSTART
	v_max_f32 v10, v9, v9 quad_perm:[2,3,0,1] row_mask:0xf bank_mask:0xf bound_ctrl:1
	;;#ASMEND
	;;#ASMSTART
	v_max_f32 v9, v10, v10 row_half_mirror row_mask:0xf bank_mask:0xf bound_ctrl:1
	;;#ASMEND
	;;#ASMSTART
	v_max_f32 v10, v9, v9 row_mirror row_mask:0xf bank_mask:0xf bound_ctrl:1
	;;#ASMEND
	v_permlanex16_b32 v9, v10, s19, 0xfedcba98 op_sel:[1,1]
	s_delay_alu instid0(VALU_DEP_1) | instskip(NEXT) | instid1(VALU_DEP_1)
	v_dual_max_f32 v10, v10, v10 :: v_dual_max_f32 v9, v9, v9
	v_max_f32_e32 v9, v10, v9
	s_delay_alu instid0(VALU_DEP_1)
	v_cmp_eq_f32_e32 vcc_lo, v8, v9
	s_ctz_i32_b32 s3, vcc_lo
	s_cmp_lg_u32 vcc_lo, 0
	s_cselect_b32 s3, s3, 0
	s_and_b32 vcc_lo, exec_lo, s12
	v_readlane_b32 s16, v7, s3
	s_cbranch_vccz .LBB219_21
; %bb.27:                               ;   in Loop: Header=BB219_22 Depth=1
	s_delay_alu instid0(VALU_DEP_1) | instskip(NEXT) | instid1(SALU_CYCLE_1)
	s_ashr_i32 s17, s16, 31
	s_lshl_b64 s[20:21], s[16:17], 2
	s_delay_alu instid0(SALU_CYCLE_1)
	s_add_u32 s20, s6, s20
	s_addc_u32 s21, s7, s21
	s_load_b32 s3, s[20:21], 0x0
	s_waitcnt lgkmcnt(0)
	v_subrev_f32_e32 v9, s3, v9
	s_branch .LBB219_21
.LBB219_28:
	v_mov_b32_e32 v1, 0
	v_mov_b32_e32 v5, 0
.LBB219_29:
	s_mov_b32 s2, exec_lo
	v_cmpx_gt_i32_e64 s13, v0
	s_cbranch_execz .LBB219_32
; %bb.30:
	s_clause 0x1
	s_load_b32 s2, s[0:1], 0x34
	s_load_b32 s3, s[0:1], 0x44
	v_max_f32_e32 v3, v5, v5
	s_load_b64 s[0:1], s[0:1], 0x20
	s_ashr_i32 s4, s15, 31
	s_delay_alu instid0(VALU_DEP_1) | instskip(SKIP_1) | instid1(VALU_DEP_1)
	v_max_f32_e32 v3, 0x1e3ce508, v3
	s_waitcnt lgkmcnt(0)
	v_div_scale_f32 v4, null, v3, v3, s2
	v_div_scale_f32 v7, vcc_lo, s2, v3, s2
	s_mul_i32 s1, s15, s1
	s_delay_alu instid0(VALU_DEP_2) | instskip(SKIP_4) | instid1(VALU_DEP_1)
	v_rcp_f32_e32 v5, v4
	s_mul_i32 s4, s4, s0
	s_and_b32 s3, s3, 0xffff
	s_waitcnt_depctr 0xfff
	v_fma_f32 v6, -v4, v5, 1.0
	v_fmac_f32_e32 v5, v6, v5
	s_delay_alu instid0(VALU_DEP_1) | instskip(NEXT) | instid1(VALU_DEP_1)
	v_mul_f32_e32 v6, v7, v5
	v_fma_f32 v8, -v4, v6, v7
	s_delay_alu instid0(VALU_DEP_1) | instskip(NEXT) | instid1(VALU_DEP_1)
	v_fmac_f32_e32 v6, v8, v5
	v_fma_f32 v4, -v4, v6, v7
	s_delay_alu instid0(VALU_DEP_1) | instskip(NEXT) | instid1(VALU_DEP_1)
	v_div_fmas_f32 v4, v4, v5, v6
	v_div_fixup_f32 v3, v4, v3, s2
	s_mul_hi_u32 s2, s15, s0
	s_delay_alu instid0(SALU_CYCLE_1) | instskip(SKIP_1) | instid1(VALU_DEP_1)
	s_add_i32 s1, s2, s1
	s_mul_i32 s2, s15, s0
	v_mul_f32_e32 v2, v2, v3
	s_add_i32 s1, s1, s4
	s_mov_b32 s4, 0
	.p2align	6
.LBB219_31:                             ; =>This Inner Loop Header: Depth=1
	v_ashrrev_i32_e32 v4, 31, v0
	v_add_co_u32 v3, vcc_lo, s2, v0
	v_add_nc_u32_e32 v0, s3, v0
	s_delay_alu instid0(VALU_DEP_3) | instskip(NEXT) | instid1(VALU_DEP_2)
	v_add_co_ci_u32_e32 v4, vcc_lo, s1, v4, vcc_lo
	v_cmp_le_i32_e32 vcc_lo, s13, v0
	s_delay_alu instid0(VALU_DEP_2) | instskip(SKIP_1) | instid1(VALU_DEP_1)
	v_lshlrev_b64 v[3:4], 2, v[3:4]
	s_or_b32 s4, vcc_lo, s4
	v_add_co_u32 v5, s0, s8, v3
	s_delay_alu instid0(VALU_DEP_1) | instskip(SKIP_1) | instid1(VALU_DEP_1)
	v_add_co_ci_u32_e64 v6, s0, s9, v4, s0
	v_add_co_u32 v3, s0, s10, v3
	v_add_co_ci_u32_e64 v4, s0, s11, v4, s0
	global_store_b32 v[5:6], v2, off
	global_store_b32 v[3:4], v1, off
	s_and_not1_b32 exec_lo, exec_lo, s4
	s_cbranch_execnz .LBB219_31
.LBB219_32:
	s_nop 0
	s_sendmsg sendmsg(MSG_DEALLOC_VGPRS)
	s_endpgm
	.section	.rodata,"a",@progbits
	.p2align	6, 0x0
	.amdhsa_kernel _ZN5aiter20topk_softplus_kernelI12hip_bfloat16fDv4_fLb1ELi2EEEvPKT_PKT0_PfPimiiif
		.amdhsa_group_segment_fixed_size 0
		.amdhsa_private_segment_fixed_size 0
		.amdhsa_kernarg_size 312
		.amdhsa_user_sgpr_count 15
		.amdhsa_user_sgpr_dispatch_ptr 0
		.amdhsa_user_sgpr_queue_ptr 0
		.amdhsa_user_sgpr_kernarg_segment_ptr 1
		.amdhsa_user_sgpr_dispatch_id 0
		.amdhsa_user_sgpr_private_segment_size 0
		.amdhsa_wavefront_size32 1
		.amdhsa_uses_dynamic_stack 0
		.amdhsa_enable_private_segment 0
		.amdhsa_system_sgpr_workgroup_id_x 1
		.amdhsa_system_sgpr_workgroup_id_y 0
		.amdhsa_system_sgpr_workgroup_id_z 0
		.amdhsa_system_sgpr_workgroup_info 0
		.amdhsa_system_vgpr_workitem_id 0
		.amdhsa_next_free_vgpr 16
		.amdhsa_next_free_sgpr 23
		.amdhsa_reserve_vcc 1
		.amdhsa_float_round_mode_32 0
		.amdhsa_float_round_mode_16_64 0
		.amdhsa_float_denorm_mode_32 3
		.amdhsa_float_denorm_mode_16_64 3
		.amdhsa_dx10_clamp 1
		.amdhsa_ieee_mode 1
		.amdhsa_fp16_overflow 0
		.amdhsa_workgroup_processor_mode 1
		.amdhsa_memory_ordered 1
		.amdhsa_forward_progress 0
		.amdhsa_shared_vgpr_count 0
		.amdhsa_exception_fp_ieee_invalid_op 0
		.amdhsa_exception_fp_denorm_src 0
		.amdhsa_exception_fp_ieee_div_zero 0
		.amdhsa_exception_fp_ieee_overflow 0
		.amdhsa_exception_fp_ieee_underflow 0
		.amdhsa_exception_fp_ieee_inexact 0
		.amdhsa_exception_int_div_zero 0
	.end_amdhsa_kernel
	.section	.text._ZN5aiter20topk_softplus_kernelI12hip_bfloat16fDv4_fLb1ELi2EEEvPKT_PKT0_PfPimiiif,"axG",@progbits,_ZN5aiter20topk_softplus_kernelI12hip_bfloat16fDv4_fLb1ELi2EEEvPKT_PKT0_PfPimiiif,comdat
.Lfunc_end219:
	.size	_ZN5aiter20topk_softplus_kernelI12hip_bfloat16fDv4_fLb1ELi2EEEvPKT_PKT0_PfPimiiif, .Lfunc_end219-_ZN5aiter20topk_softplus_kernelI12hip_bfloat16fDv4_fLb1ELi2EEEvPKT_PKT0_PfPimiiif
                                        ; -- End function
	.section	.AMDGPU.csdata,"",@progbits
; Kernel info:
; codeLenInByte = 2092
; NumSgprs: 25
; NumVgprs: 16
; ScratchSize: 0
; MemoryBound: 0
; FloatMode: 240
; IeeeMode: 1
; LDSByteSize: 0 bytes/workgroup (compile time only)
; SGPRBlocks: 3
; VGPRBlocks: 1
; NumSGPRsForWavesPerEU: 25
; NumVGPRsForWavesPerEU: 16
; Occupancy: 16
; WaveLimiterHint : 0
; COMPUTE_PGM_RSRC2:SCRATCH_EN: 0
; COMPUTE_PGM_RSRC2:USER_SGPR: 15
; COMPUTE_PGM_RSRC2:TRAP_HANDLER: 0
; COMPUTE_PGM_RSRC2:TGID_X_EN: 1
; COMPUTE_PGM_RSRC2:TGID_Y_EN: 0
; COMPUTE_PGM_RSRC2:TGID_Z_EN: 0
; COMPUTE_PGM_RSRC2:TIDIG_COMP_CNT: 0
	.section	.text._ZN5aiter20topk_softplus_kernelI12hip_bfloat16fDv4_fLb0ELi2EEEvPKT_PKT0_PfPimiiif,"axG",@progbits,_ZN5aiter20topk_softplus_kernelI12hip_bfloat16fDv4_fLb0ELi2EEEvPKT_PKT0_PfPimiiif,comdat
	.protected	_ZN5aiter20topk_softplus_kernelI12hip_bfloat16fDv4_fLb0ELi2EEEvPKT_PKT0_PfPimiiif ; -- Begin function _ZN5aiter20topk_softplus_kernelI12hip_bfloat16fDv4_fLb0ELi2EEEvPKT_PKT0_PfPimiiif
	.globl	_ZN5aiter20topk_softplus_kernelI12hip_bfloat16fDv4_fLb0ELi2EEEvPKT_PKT0_PfPimiiif
	.p2align	8
	.type	_ZN5aiter20topk_softplus_kernelI12hip_bfloat16fDv4_fLb0ELi2EEEvPKT_PKT0_PfPimiiif,@function
_ZN5aiter20topk_softplus_kernelI12hip_bfloat16fDv4_fLb0ELi2EEEvPKT_PKT0_PfPimiiif: ; @_ZN5aiter20topk_softplus_kernelI12hip_bfloat16fDv4_fLb0ELi2EEEvPKT_PKT0_PfPimiiif
; %bb.0:
	s_clause 0x1
	s_load_b64 s[12:13], s[0:1], 0x28
	s_load_b256 s[4:11], s[0:1], 0x0
	v_lshl_add_u32 v3, v0, 4, 0
	s_waitcnt lgkmcnt(0)
	s_ashr_i32 s2, s12, 31
	s_mul_i32 s16, s15, s12
	s_lshr_b32 s2, s2, 30
	s_ashr_i32 s17, s16, 31
	s_add_i32 s2, s12, s2
	s_delay_alu instid0(SALU_CYCLE_1) | instskip(NEXT) | instid1(SALU_CYCLE_1)
	s_ashr_i32 s14, s2, 2
	v_cmp_gt_i32_e64 s2, s14, v0
	s_delay_alu instid0(VALU_DEP_1)
	s_and_saveexec_b32 s18, s2
	s_cbranch_execz .LBB220_3
; %bb.1:
	s_load_b32 s3, s[0:1], 0x44
	v_lshlrev_b32_e32 v1, 3, v0
	s_lshl_b64 s[20:21], s[16:17], 1
	v_lshl_add_u32 v4, v0, 4, 0
	v_mov_b32_e32 v5, v0
	s_waitcnt lgkmcnt(0)
	s_and_b32 s19, s3, 0xffff
	s_add_u32 s3, s4, s20
	s_addc_u32 s20, s5, s21
	v_add_co_u32 v1, s3, s3, v1
	s_delay_alu instid0(VALU_DEP_1)
	v_add_co_ci_u32_e64 v2, null, s20, 0, s3
	s_mov_b32 s20, 0
	s_lshl_b32 s21, s19, 3
	s_lshl_b32 s22, s19, 4
	.p2align	6
.LBB220_2:                              ; =>This Inner Loop Header: Depth=1
	global_load_b64 v[6:7], v[1:2], off
	v_add_nc_u32_e32 v5, s19, v5
	v_add_co_u32 v1, vcc_lo, v1, s21
	v_add_co_ci_u32_e32 v2, vcc_lo, 0, v2, vcc_lo
	s_delay_alu instid0(VALU_DEP_3) | instskip(NEXT) | instid1(VALU_DEP_1)
	v_cmp_le_i32_e64 s3, s14, v5
	s_or_b32 s20, s3, s20
	s_waitcnt vmcnt(0)
	v_lshrrev_b32_e32 v8, 16, v6
	v_and_b32_e32 v6, 0xffff, v6
	v_lshrrev_b32_e32 v9, 16, v7
	v_and_b32_e32 v10, 0xffff, v7
	s_delay_alu instid0(VALU_DEP_4) | instskip(NEXT) | instid1(VALU_DEP_4)
	v_cvt_f32_u32_e32 v7, v8
	v_cvt_f32_u32_e32 v6, v6
	s_delay_alu instid0(VALU_DEP_4) | instskip(NEXT) | instid1(VALU_DEP_4)
	v_cvt_f32_u32_e32 v9, v9
	v_cvt_f32_u32_e32 v8, v10
	ds_store_b128 v4, v[6:9]
	v_add_nc_u32_e32 v4, s22, v4
	s_and_not1_b32 exec_lo, exec_lo, s20
	s_cbranch_execnz .LBB220_2
.LBB220_3:
	s_or_b32 exec_lo, exec_lo, s18
	v_lshl_add_u32 v1, s14, 2, v0
	v_lshlrev_b32_e32 v4, 2, v0
	s_mov_b32 s3, exec_lo
	s_delay_alu instid0(VALU_DEP_2)
	v_cmpx_gt_i32_e64 s12, v1
	s_cbranch_execz .LBB220_6
; %bb.4:
	s_load_b32 s18, s[0:1], 0x44
	s_lshl_b64 s[16:17], s[16:17], 1
	v_lshlrev_b32_e32 v2, 2, v0
	s_add_u32 s4, s4, s16
	s_addc_u32 s5, s5, s17
	s_lshl_b32 s16, s14, 4
	s_mov_b32 s17, 0
	v_add3_u32 v5, 0, s16, v2
	s_waitcnt lgkmcnt(0)
	s_and_b32 s16, s18, 0xffff
	s_delay_alu instid0(SALU_CYCLE_1)
	s_lshl_b32 s18, s16, 2
	.p2align	6
.LBB220_5:                              ; =>This Inner Loop Header: Depth=1
	v_ashrrev_i32_e32 v2, 31, v1
	s_delay_alu instid0(VALU_DEP_1) | instskip(SKIP_1) | instid1(VALU_DEP_2)
	v_lshlrev_b64 v[6:7], 1, v[1:2]
	v_add_nc_u32_e32 v1, s16, v1
	v_add_co_u32 v6, vcc_lo, s4, v6
	s_delay_alu instid0(VALU_DEP_3) | instskip(NEXT) | instid1(VALU_DEP_3)
	v_add_co_ci_u32_e32 v7, vcc_lo, s5, v7, vcc_lo
	v_cmp_le_i32_e32 vcc_lo, s12, v1
	global_load_u16 v2, v[6:7], off
	s_or_b32 s17, vcc_lo, s17
	s_waitcnt vmcnt(0)
	v_lshlrev_b32_e32 v2, 16, v2
	ds_store_b32 v5, v2
	v_add_nc_u32_e32 v5, s18, v5
	s_and_not1_b32 exec_lo, exec_lo, s17
	s_cbranch_execnz .LBB220_5
.LBB220_6:
	s_or_b32 exec_lo, exec_lo, s3
	v_cmp_gt_i32_e32 vcc_lo, s12, v0
	v_mov_b32_e32 v2, 0xff800000
	s_waitcnt lgkmcnt(0)
	s_barrier
	buffer_gl0_inv
	s_and_saveexec_b32 s4, vcc_lo
	s_cbranch_execz .LBB220_10
; %bb.7:
	s_load_b32 s3, s[0:1], 0x44
	v_lshl_add_u32 v1, v0, 2, 0
	v_dual_mov_b32 v2, 0xff800000 :: v_dual_mov_b32 v5, v0
	s_mov_b32 s5, 0
	s_waitcnt lgkmcnt(0)
	s_and_b32 s16, s3, 0xffff
	s_delay_alu instid0(SALU_CYCLE_1)
	s_lshl_b32 s17, s16, 2
.LBB220_8:                              ; =>This Inner Loop Header: Depth=1
	ds_load_b32 v6, v1
	v_dual_max_f32 v2, v2, v2 :: v_dual_add_nc_u32 v5, s16, v5
	v_add_nc_u32_e32 v1, s17, v1
	s_delay_alu instid0(VALU_DEP_2) | instskip(NEXT) | instid1(VALU_DEP_1)
	v_cmp_le_i32_e64 s3, s12, v5
	s_or_b32 s5, s3, s5
	s_waitcnt lgkmcnt(0)
	v_max_f32_e32 v6, v6, v6
	s_delay_alu instid0(VALU_DEP_1)
	v_max_f32_e32 v2, v2, v6
	s_and_not1_b32 exec_lo, exec_lo, s5
	s_cbranch_execnz .LBB220_8
; %bb.9:
	s_or_b32 exec_lo, exec_lo, s5
.LBB220_10:
	s_delay_alu instid0(SALU_CYCLE_1)
	s_or_b32 exec_lo, exec_lo, s4
	v_mov_b32_e32 v1, 0
	;;#ASMSTART
	v_max_f32 v5, v2, v2 quad_perm:[1,0,3,2] row_mask:0xf bank_mask:0xf bound_ctrl:1
	;;#ASMEND
	;;#ASMSTART
	v_max_f32 v2, v5, v5 quad_perm:[2,3,0,1] row_mask:0xf bank_mask:0xf bound_ctrl:1
	;;#ASMEND
	;;#ASMSTART
	v_max_f32 v5, v2, v2 row_half_mirror row_mask:0xf bank_mask:0xf bound_ctrl:1
	;;#ASMEND
	;;#ASMSTART
	v_max_f32 v2, v5, v5 row_mirror row_mask:0xf bank_mask:0xf bound_ctrl:1
	;;#ASMEND
	s_and_saveexec_b32 s4, vcc_lo
	s_cbranch_execz .LBB220_14
; %bb.11:
	s_load_b32 s3, s[0:1], 0x44
	s_mov_b32 s5, 0x76543210
	v_lshl_add_u32 v5, v0, 2, 0
	v_permlanex16_b32 v1, v2, s5, 0xfedcba98 op_sel:[1,1]
	v_mov_b32_e32 v6, v0
	s_mov_b32 s5, 0
	s_delay_alu instid0(VALU_DEP_2) | instskip(NEXT) | instid1(VALU_DEP_1)
	v_dual_max_f32 v2, v2, v2 :: v_dual_max_f32 v1, v1, v1
	v_dual_max_f32 v2, v2, v1 :: v_dual_mov_b32 v1, 0
	s_waitcnt lgkmcnt(0)
	s_and_b32 s16, s3, 0xffff
	s_delay_alu instid0(SALU_CYCLE_1)
	s_lshl_b32 s17, s16, 2
	.p2align	6
.LBB220_12:                             ; =>This Inner Loop Header: Depth=1
	ds_load_b32 v7, v5
	s_waitcnt lgkmcnt(0)
	v_sub_f32_e32 v7, v7, v2
	s_delay_alu instid0(VALU_DEP_1) | instskip(NEXT) | instid1(VALU_DEP_1)
	v_mul_f32_e32 v8, 0x3fb8aa3b, v7
	v_cmp_gt_f32_e64 s3, 0xc2fc0000, v8
	s_delay_alu instid0(VALU_DEP_1) | instskip(NEXT) | instid1(VALU_DEP_1)
	v_cndmask_b32_e64 v8, 0, 0x42800000, s3
	v_fmac_f32_e32 v8, 0x3fb8aa3b, v7
	s_delay_alu instid0(VALU_DEP_1) | instskip(SKIP_3) | instid1(VALU_DEP_1)
	v_exp_f32_e32 v7, v8
	v_cndmask_b32_e64 v8, 1.0, 0x1f800000, s3
	s_waitcnt_depctr 0xfff
	v_dual_mul_f32 v9, v7, v8 :: v_dual_add_nc_u32 v6, s16, v6
	v_cmp_le_i32_e64 s3, s12, v6
	v_fmac_f32_e32 v1, v7, v8
	ds_store_b32 v5, v9
	v_add_nc_u32_e32 v5, s17, v5
	s_or_b32 s5, s3, s5
	s_delay_alu instid0(SALU_CYCLE_1)
	s_and_not1_b32 exec_lo, exec_lo, s5
	s_cbranch_execnz .LBB220_12
; %bb.13:
	s_or_b32 exec_lo, exec_lo, s5
.LBB220_14:
	s_delay_alu instid0(SALU_CYCLE_1) | instskip(SKIP_1) | instid1(VALU_DEP_1)
	s_or_b32 exec_lo, exec_lo, s4
	v_mov_b32_dpp v2, v1 quad_perm:[1,0,3,2] row_mask:0xf bank_mask:0xf
	v_add_f32_e32 v1, v1, v2
	s_delay_alu instid0(VALU_DEP_1) | instskip(NEXT) | instid1(VALU_DEP_1)
	v_mov_b32_dpp v2, v1 quad_perm:[2,3,0,1] row_mask:0xf bank_mask:0xf
	v_add_f32_e32 v1, v1, v2
	s_delay_alu instid0(VALU_DEP_1) | instskip(NEXT) | instid1(VALU_DEP_1)
	v_mov_b32_dpp v2, v1 row_xmask:7 row_mask:0xf bank_mask:0xf
	v_add_f32_e32 v1, v1, v2
	s_delay_alu instid0(VALU_DEP_1)
	v_mov_b32_dpp v2, v1 row_xmask:15 row_mask:0xf bank_mask:0xf
	s_and_saveexec_b32 s3, vcc_lo
	s_cbranch_execz .LBB220_19
; %bb.15:
	s_delay_alu instid0(VALU_DEP_1)
	v_add_f32_e32 v1, v1, v2
	s_load_b32 s5, s[0:1], 0x44
	s_mov_b32 s4, 0x76543210
	s_cmp_lg_u64 s[6:7], 0
	v_lshl_add_u32 v6, v0, 2, 0
	v_permlanex16_b32 v2, v1, s4, 0xfedcba98 op_sel:[1,1]
	s_cselect_b32 s4, -1, 0
	s_mov_b32 s16, 0
	s_delay_alu instid0(VALU_DEP_1) | instskip(NEXT) | instid1(VALU_DEP_1)
	v_add_f32_e32 v1, v1, v2
	v_rcp_f32_e32 v5, v1
	v_mov_b32_e32 v1, v0
	s_waitcnt lgkmcnt(0)
	s_and_b32 s5, s5, 0xffff
	s_delay_alu instid0(SALU_CYCLE_1)
	s_lshl_b32 s17, s5, 2
	s_set_inst_prefetch_distance 0x1
	s_branch .LBB220_17
	.p2align	6
.LBB220_16:                             ;   in Loop: Header=BB220_17 Depth=1
	v_add_nc_u32_e32 v1, s5, v1
	v_add_nc_u32_e32 v6, s17, v6
	s_delay_alu instid0(VALU_DEP_2) | instskip(SKIP_1) | instid1(SALU_CYCLE_1)
	v_cmp_le_i32_e32 vcc_lo, s12, v1
	s_or_b32 s16, vcc_lo, s16
	s_and_not1_b32 exec_lo, exec_lo, s16
	s_cbranch_execz .LBB220_19
.LBB220_17:                             ; =>This Inner Loop Header: Depth=1
	ds_load_b32 v2, v6
	s_and_not1_b32 vcc_lo, exec_lo, s4
	s_waitcnt lgkmcnt(0)
	v_mul_f32_e32 v7, v5, v2
	ds_store_b32 v6, v7
	s_cbranch_vccnz .LBB220_16
; %bb.18:                               ;   in Loop: Header=BB220_17 Depth=1
	v_ashrrev_i32_e32 v2, 31, v1
	s_delay_alu instid0(VALU_DEP_1) | instskip(NEXT) | instid1(VALU_DEP_1)
	v_lshlrev_b64 v[8:9], 2, v[1:2]
	v_add_co_u32 v8, vcc_lo, s6, v8
	s_delay_alu instid0(VALU_DEP_2)
	v_add_co_ci_u32_e32 v9, vcc_lo, s7, v9, vcc_lo
	global_load_b32 v2, v[8:9], off
	s_waitcnt vmcnt(0)
	v_add_f32_e32 v2, v7, v2
	ds_store_b32 v6, v2
	s_branch .LBB220_16
.LBB220_19:
	s_set_inst_prefetch_distance 0x2
	s_or_b32 exec_lo, exec_lo, s3
	s_cmp_lt_i32 s13, 1
	s_waitcnt lgkmcnt(0)
	s_barrier
	buffer_gl0_inv
	s_cbranch_scc1 .LBB220_28
; %bb.20:
	s_add_u32 s4, s0, 56
	s_addc_u32 s5, s1, 0
	v_dual_mov_b32 v2, 0 :: v_dual_mov_b32 v1, 0
	v_mov_b32_e32 v5, 0xff800000
	s_cmp_lg_u64 s[6:7], 0
	s_mov_b32 s18, 0
	s_cselect_b32 s12, -1, 0
	s_mov_b32 s19, 0x76543210
	s_branch .LBB220_22
.LBB220_21:                             ;   in Loop: Header=BB220_22 Depth=1
	v_cmp_eq_u32_e32 vcc_lo, s18, v0
	s_delay_alu instid0(VALU_DEP_2)
	s_lshl_b32 s3, s16, 2
	s_add_i32 s18, s18, 1
	s_add_i32 s3, s3, 0
	s_cmp_eq_u32 s18, s13
	v_cndmask_b32_e64 v1, v1, s16, vcc_lo
	v_mov_b32_e32 v6, s3
	v_cndmask_b32_e32 v2, v2, v8, vcc_lo
	ds_store_b32 v6, v5
	s_cbranch_scc1 .LBB220_29
.LBB220_22:                             ; =>This Loop Header: Depth=1
                                        ;     Child Loop BB220_24 Depth 2
	v_dual_mov_b32 v6, s18 :: v_dual_mov_b32 v7, 0xff800000
	s_and_saveexec_b32 s16, s2
	s_cbranch_execz .LBB220_26
; %bb.23:                               ;   in Loop: Header=BB220_22 Depth=1
	s_load_b32 s3, s[4:5], 0xc
	v_dual_mov_b32 v6, s18 :: v_dual_mov_b32 v7, 0xff800000
	v_dual_mov_b32 v8, v3 :: v_dual_mov_b32 v9, v4
	v_mov_b32_e32 v10, v0
	s_mov_b32 s21, 0
	s_waitcnt lgkmcnt(0)
	s_and_b32 s17, s3, 0xffff
	s_delay_alu instid0(SALU_CYCLE_1)
	s_lshl_b32 s20, s17, 2
	s_lshl_b32 s22, s17, 4
	.p2align	6
.LBB220_24:                             ;   Parent Loop BB220_22 Depth=1
                                        ; =>  This Inner Loop Header: Depth=2
	ds_load_b128 v[11:14], v8
	v_add_nc_u32_e32 v10, s17, v10
	s_delay_alu instid0(VALU_DEP_1) | instskip(NEXT) | instid1(VALU_DEP_1)
	v_cmp_le_i32_e64 s3, s14, v10
	s_or_b32 s21, s3, s21
	s_waitcnt lgkmcnt(0)
	v_cmp_gt_f32_e32 vcc_lo, v11, v7
	v_dual_cndmask_b32 v7, v7, v11 :: v_dual_cndmask_b32 v6, v6, v9
	s_delay_alu instid0(VALU_DEP_1) | instskip(SKIP_2) | instid1(VALU_DEP_1)
	v_cmp_gt_f32_e32 vcc_lo, v12, v7
	v_dual_cndmask_b32 v7, v7, v12 :: v_dual_add_nc_u32 v12, 2, v9
	v_add_nc_u32_e32 v11, 1, v9
	v_cndmask_b32_e32 v6, v6, v11, vcc_lo
	s_delay_alu instid0(VALU_DEP_3) | instskip(SKIP_1) | instid1(VALU_DEP_3)
	v_cmp_gt_f32_e32 vcc_lo, v13, v7
	v_add_nc_u32_e32 v11, 3, v9
	v_dual_cndmask_b32 v7, v7, v13 :: v_dual_cndmask_b32 v6, v6, v12
	s_delay_alu instid0(VALU_DEP_1) | instskip(SKIP_1) | instid1(VALU_DEP_3)
	v_cmp_gt_f32_e32 vcc_lo, v14, v7
	v_add_nc_u32_e32 v8, s22, v8
	v_dual_cndmask_b32 v6, v6, v11 :: v_dual_add_nc_u32 v9, s20, v9
	v_cndmask_b32_e32 v7, v7, v14, vcc_lo
	s_and_not1_b32 exec_lo, exec_lo, s21
	s_cbranch_execnz .LBB220_24
; %bb.25:                               ;   in Loop: Header=BB220_22 Depth=1
	s_or_b32 exec_lo, exec_lo, s21
.LBB220_26:                             ;   in Loop: Header=BB220_22 Depth=1
	s_delay_alu instid0(SALU_CYCLE_1)
	s_or_b32 exec_lo, exec_lo, s16
	;;#ASMSTART
	v_max_f32 v8, v7, v7 quad_perm:[1,0,3,2] row_mask:0xf bank_mask:0xf bound_ctrl:1
	;;#ASMEND
	;;#ASMSTART
	v_max_f32 v9, v8, v8 quad_perm:[2,3,0,1] row_mask:0xf bank_mask:0xf bound_ctrl:1
	;;#ASMEND
	;;#ASMSTART
	v_max_f32 v8, v9, v9 row_half_mirror row_mask:0xf bank_mask:0xf bound_ctrl:1
	;;#ASMEND
	;;#ASMSTART
	v_max_f32 v9, v8, v8 row_mirror row_mask:0xf bank_mask:0xf bound_ctrl:1
	;;#ASMEND
	v_permlanex16_b32 v8, v9, s19, 0xfedcba98 op_sel:[1,1]
	s_delay_alu instid0(VALU_DEP_1) | instskip(NEXT) | instid1(VALU_DEP_1)
	v_dual_max_f32 v9, v9, v9 :: v_dual_max_f32 v8, v8, v8
	v_max_f32_e32 v8, v9, v8
	s_delay_alu instid0(VALU_DEP_1)
	v_cmp_eq_f32_e32 vcc_lo, v7, v8
	s_ctz_i32_b32 s3, vcc_lo
	s_cmp_lg_u32 vcc_lo, 0
	s_cselect_b32 s3, s3, 0
	s_and_b32 vcc_lo, exec_lo, s12
	v_readlane_b32 s16, v6, s3
	s_cbranch_vccz .LBB220_21
; %bb.27:                               ;   in Loop: Header=BB220_22 Depth=1
	s_delay_alu instid0(VALU_DEP_1) | instskip(NEXT) | instid1(SALU_CYCLE_1)
	s_ashr_i32 s17, s16, 31
	s_lshl_b64 s[20:21], s[16:17], 2
	s_delay_alu instid0(SALU_CYCLE_1)
	s_add_u32 s20, s6, s20
	s_addc_u32 s21, s7, s21
	s_load_b32 s3, s[20:21], 0x0
	s_waitcnt lgkmcnt(0)
	v_subrev_f32_e32 v8, s3, v8
	s_branch .LBB220_21
.LBB220_28:
	v_dual_mov_b32 v2, 0 :: v_dual_mov_b32 v1, 0
.LBB220_29:
	s_mov_b32 s2, exec_lo
	v_cmpx_gt_i32_e64 s13, v0
	s_cbranch_execz .LBB220_32
; %bb.30:
	s_clause 0x2
	s_load_b32 s4, s[0:1], 0x34
	s_load_b64 s[2:3], s[0:1], 0x20
	s_load_b32 s0, s[0:1], 0x44
	s_ashr_i32 s1, s15, 31
	s_waitcnt lgkmcnt(0)
	v_mul_f32_e32 v2, s4, v2
	s_mul_i32 s3, s15, s3
	s_mul_hi_u32 s4, s15, s2
	s_mul_i32 s5, s1, s2
	s_add_i32 s3, s4, s3
	s_mul_i32 s1, s15, s2
	s_and_b32 s2, s0, 0xffff
	s_add_i32 s3, s3, s5
	s_mov_b32 s4, 0
	.p2align	6
.LBB220_31:                             ; =>This Inner Loop Header: Depth=1
	v_ashrrev_i32_e32 v4, 31, v0
	v_add_co_u32 v3, vcc_lo, s1, v0
	v_add_nc_u32_e32 v0, s2, v0
	s_delay_alu instid0(VALU_DEP_3) | instskip(NEXT) | instid1(VALU_DEP_2)
	v_add_co_ci_u32_e32 v4, vcc_lo, s3, v4, vcc_lo
	v_cmp_le_i32_e32 vcc_lo, s13, v0
	s_delay_alu instid0(VALU_DEP_2) | instskip(SKIP_1) | instid1(VALU_DEP_1)
	v_lshlrev_b64 v[3:4], 2, v[3:4]
	s_or_b32 s4, vcc_lo, s4
	v_add_co_u32 v5, s0, s8, v3
	s_delay_alu instid0(VALU_DEP_1) | instskip(SKIP_1) | instid1(VALU_DEP_1)
	v_add_co_ci_u32_e64 v6, s0, s9, v4, s0
	v_add_co_u32 v3, s0, s10, v3
	v_add_co_ci_u32_e64 v4, s0, s11, v4, s0
	global_store_b32 v[5:6], v2, off
	global_store_b32 v[3:4], v1, off
	s_and_not1_b32 exec_lo, exec_lo, s4
	s_cbranch_execnz .LBB220_31
.LBB220_32:
	s_nop 0
	s_sendmsg sendmsg(MSG_DEALLOC_VGPRS)
	s_endpgm
	.section	.rodata,"a",@progbits
	.p2align	6, 0x0
	.amdhsa_kernel _ZN5aiter20topk_softplus_kernelI12hip_bfloat16fDv4_fLb0ELi2EEEvPKT_PKT0_PfPimiiif
		.amdhsa_group_segment_fixed_size 0
		.amdhsa_private_segment_fixed_size 0
		.amdhsa_kernarg_size 312
		.amdhsa_user_sgpr_count 15
		.amdhsa_user_sgpr_dispatch_ptr 0
		.amdhsa_user_sgpr_queue_ptr 0
		.amdhsa_user_sgpr_kernarg_segment_ptr 1
		.amdhsa_user_sgpr_dispatch_id 0
		.amdhsa_user_sgpr_private_segment_size 0
		.amdhsa_wavefront_size32 1
		.amdhsa_uses_dynamic_stack 0
		.amdhsa_enable_private_segment 0
		.amdhsa_system_sgpr_workgroup_id_x 1
		.amdhsa_system_sgpr_workgroup_id_y 0
		.amdhsa_system_sgpr_workgroup_id_z 0
		.amdhsa_system_sgpr_workgroup_info 0
		.amdhsa_system_vgpr_workitem_id 0
		.amdhsa_next_free_vgpr 15
		.amdhsa_next_free_sgpr 23
		.amdhsa_reserve_vcc 1
		.amdhsa_float_round_mode_32 0
		.amdhsa_float_round_mode_16_64 0
		.amdhsa_float_denorm_mode_32 3
		.amdhsa_float_denorm_mode_16_64 3
		.amdhsa_dx10_clamp 1
		.amdhsa_ieee_mode 1
		.amdhsa_fp16_overflow 0
		.amdhsa_workgroup_processor_mode 1
		.amdhsa_memory_ordered 1
		.amdhsa_forward_progress 0
		.amdhsa_shared_vgpr_count 0
		.amdhsa_exception_fp_ieee_invalid_op 0
		.amdhsa_exception_fp_denorm_src 0
		.amdhsa_exception_fp_ieee_div_zero 0
		.amdhsa_exception_fp_ieee_overflow 0
		.amdhsa_exception_fp_ieee_underflow 0
		.amdhsa_exception_fp_ieee_inexact 0
		.amdhsa_exception_int_div_zero 0
	.end_amdhsa_kernel
	.section	.text._ZN5aiter20topk_softplus_kernelI12hip_bfloat16fDv4_fLb0ELi2EEEvPKT_PKT0_PfPimiiif,"axG",@progbits,_ZN5aiter20topk_softplus_kernelI12hip_bfloat16fDv4_fLb0ELi2EEEvPKT_PKT0_PfPimiiif,comdat
.Lfunc_end220:
	.size	_ZN5aiter20topk_softplus_kernelI12hip_bfloat16fDv4_fLb0ELi2EEEvPKT_PKT0_PfPimiiif, .Lfunc_end220-_ZN5aiter20topk_softplus_kernelI12hip_bfloat16fDv4_fLb0ELi2EEEvPKT_PKT0_PfPimiiif
                                        ; -- End function
	.section	.AMDGPU.csdata,"",@progbits
; Kernel info:
; codeLenInByte = 1968
; NumSgprs: 25
; NumVgprs: 15
; ScratchSize: 0
; MemoryBound: 0
; FloatMode: 240
; IeeeMode: 1
; LDSByteSize: 0 bytes/workgroup (compile time only)
; SGPRBlocks: 3
; VGPRBlocks: 1
; NumSGPRsForWavesPerEU: 25
; NumVGPRsForWavesPerEU: 15
; Occupancy: 16
; WaveLimiterHint : 0
; COMPUTE_PGM_RSRC2:SCRATCH_EN: 0
; COMPUTE_PGM_RSRC2:USER_SGPR: 15
; COMPUTE_PGM_RSRC2:TRAP_HANDLER: 0
; COMPUTE_PGM_RSRC2:TGID_X_EN: 1
; COMPUTE_PGM_RSRC2:TGID_Y_EN: 0
; COMPUTE_PGM_RSRC2:TGID_Z_EN: 0
; COMPUTE_PGM_RSRC2:TIDIG_COMP_CNT: 0
	.section	.text._ZN5aiter20topk_softplus_kernelI12hip_bfloat16fDv2_fLb1ELi2EEEvPKT_PKT0_PfPimiiif,"axG",@progbits,_ZN5aiter20topk_softplus_kernelI12hip_bfloat16fDv2_fLb1ELi2EEEvPKT_PKT0_PfPimiiif,comdat
	.protected	_ZN5aiter20topk_softplus_kernelI12hip_bfloat16fDv2_fLb1ELi2EEEvPKT_PKT0_PfPimiiif ; -- Begin function _ZN5aiter20topk_softplus_kernelI12hip_bfloat16fDv2_fLb1ELi2EEEvPKT_PKT0_PfPimiiif
	.globl	_ZN5aiter20topk_softplus_kernelI12hip_bfloat16fDv2_fLb1ELi2EEEvPKT_PKT0_PfPimiiif
	.p2align	8
	.type	_ZN5aiter20topk_softplus_kernelI12hip_bfloat16fDv2_fLb1ELi2EEEvPKT_PKT0_PfPimiiif,@function
_ZN5aiter20topk_softplus_kernelI12hip_bfloat16fDv2_fLb1ELi2EEEvPKT_PKT0_PfPimiiif: ; @_ZN5aiter20topk_softplus_kernelI12hip_bfloat16fDv2_fLb1ELi2EEEvPKT_PKT0_PfPimiiif
; %bb.0:
	s_clause 0x1
	s_load_b64 s[12:13], s[0:1], 0x28
	s_load_b256 s[4:11], s[0:1], 0x0
	v_lshl_add_u32 v3, v0, 3, 0
	s_waitcnt lgkmcnt(0)
	s_lshr_b32 s2, s12, 31
	s_mul_i32 s16, s15, s12
	s_add_i32 s2, s12, s2
	s_ashr_i32 s17, s16, 31
	s_ashr_i32 s14, s2, 1
	s_delay_alu instid0(SALU_CYCLE_1) | instskip(NEXT) | instid1(VALU_DEP_1)
	v_cmp_gt_i32_e64 s2, s14, v0
	s_and_saveexec_b32 s18, s2
	s_cbranch_execz .LBB221_3
; %bb.1:
	s_load_b32 s3, s[0:1], 0x44
	v_lshlrev_b32_e32 v1, 2, v0
	s_lshl_b64 s[20:21], s[16:17], 1
	v_lshl_add_u32 v4, v0, 3, 0
	v_mov_b32_e32 v5, v0
	s_waitcnt lgkmcnt(0)
	s_and_b32 s19, s3, 0xffff
	s_add_u32 s3, s4, s20
	s_addc_u32 s20, s5, s21
	v_add_co_u32 v1, s3, s3, v1
	s_delay_alu instid0(VALU_DEP_1)
	v_add_co_ci_u32_e64 v2, null, s20, 0, s3
	s_mov_b32 s20, 0
	s_lshl_b32 s21, s19, 2
	s_lshl_b32 s22, s19, 3
	.p2align	6
.LBB221_2:                              ; =>This Inner Loop Header: Depth=1
	global_load_b32 v6, v[1:2], off
	v_add_nc_u32_e32 v5, s19, v5
	v_add_co_u32 v1, vcc_lo, v1, s21
	v_add_co_ci_u32_e32 v2, vcc_lo, 0, v2, vcc_lo
	s_delay_alu instid0(VALU_DEP_3) | instskip(NEXT) | instid1(VALU_DEP_1)
	v_cmp_le_i32_e64 s3, s14, v5
	s_or_b32 s20, s3, s20
	s_waitcnt vmcnt(0)
	v_lshrrev_b32_e32 v7, 16, v6
	v_and_b32_e32 v6, 0xffff, v6
	s_delay_alu instid0(VALU_DEP_2) | instskip(NEXT) | instid1(VALU_DEP_2)
	v_cvt_f32_u32_e32 v7, v7
	v_cvt_f32_u32_e32 v6, v6
	ds_store_b64 v4, v[6:7]
	v_add_nc_u32_e32 v4, s22, v4
	s_and_not1_b32 exec_lo, exec_lo, s20
	s_cbranch_execnz .LBB221_2
.LBB221_3:
	s_or_b32 exec_lo, exec_lo, s18
	v_lshl_add_u32 v1, s14, 1, v0
	s_mov_b32 s3, exec_lo
	s_delay_alu instid0(VALU_DEP_1)
	v_cmpx_gt_i32_e64 s12, v1
	s_cbranch_execz .LBB221_6
; %bb.4:
	s_load_b32 s18, s[0:1], 0x44
	s_lshl_b64 s[16:17], s[16:17], 1
	v_lshlrev_b32_e32 v2, 2, v0
	s_add_u32 s4, s4, s16
	s_addc_u32 s5, s5, s17
	s_lshl_b32 s16, s14, 3
	s_mov_b32 s17, 0
	v_add3_u32 v4, 0, s16, v2
	s_waitcnt lgkmcnt(0)
	s_and_b32 s16, s18, 0xffff
	s_delay_alu instid0(SALU_CYCLE_1)
	s_lshl_b32 s18, s16, 2
	.p2align	6
.LBB221_5:                              ; =>This Inner Loop Header: Depth=1
	v_ashrrev_i32_e32 v2, 31, v1
	s_delay_alu instid0(VALU_DEP_1) | instskip(SKIP_1) | instid1(VALU_DEP_2)
	v_lshlrev_b64 v[5:6], 1, v[1:2]
	v_add_nc_u32_e32 v1, s16, v1
	v_add_co_u32 v5, vcc_lo, s4, v5
	s_delay_alu instid0(VALU_DEP_3) | instskip(NEXT) | instid1(VALU_DEP_3)
	v_add_co_ci_u32_e32 v6, vcc_lo, s5, v6, vcc_lo
	v_cmp_le_i32_e32 vcc_lo, s12, v1
	global_load_u16 v2, v[5:6], off
	s_or_b32 s17, vcc_lo, s17
	s_waitcnt vmcnt(0)
	v_lshlrev_b32_e32 v2, 16, v2
	ds_store_b32 v4, v2
	v_add_nc_u32_e32 v4, s18, v4
	s_and_not1_b32 exec_lo, exec_lo, s17
	s_cbranch_execnz .LBB221_5
.LBB221_6:
	s_or_b32 exec_lo, exec_lo, s3
	v_cmp_gt_i32_e32 vcc_lo, s12, v0
	v_mov_b32_e32 v2, 0xff800000
	s_waitcnt lgkmcnt(0)
	s_barrier
	buffer_gl0_inv
	s_and_saveexec_b32 s4, vcc_lo
	s_cbranch_execz .LBB221_10
; %bb.7:
	s_load_b32 s3, s[0:1], 0x44
	v_lshl_add_u32 v1, v0, 2, 0
	v_mov_b32_e32 v2, 0xff800000
	v_mov_b32_e32 v4, v0
	s_mov_b32 s5, 0
	s_waitcnt lgkmcnt(0)
	s_and_b32 s16, s3, 0xffff
	s_delay_alu instid0(SALU_CYCLE_1)
	s_lshl_b32 s17, s16, 2
.LBB221_8:                              ; =>This Inner Loop Header: Depth=1
	ds_load_b32 v5, v1
	v_add_nc_u32_e32 v4, s16, v4
	v_dual_max_f32 v2, v2, v2 :: v_dual_add_nc_u32 v1, s17, v1
	s_waitcnt lgkmcnt(0)
	v_max_f32_e32 v5, v5, v5
	s_delay_alu instid0(VALU_DEP_3) | instskip(NEXT) | instid1(VALU_DEP_2)
	v_cmp_le_i32_e64 s3, s12, v4
	v_max_f32_e32 v2, v2, v5
	s_delay_alu instid0(VALU_DEP_2) | instskip(NEXT) | instid1(SALU_CYCLE_1)
	s_or_b32 s5, s3, s5
	s_and_not1_b32 exec_lo, exec_lo, s5
	s_cbranch_execnz .LBB221_8
; %bb.9:
	s_or_b32 exec_lo, exec_lo, s5
.LBB221_10:
	s_delay_alu instid0(SALU_CYCLE_1)
	s_or_b32 exec_lo, exec_lo, s4
	v_mov_b32_e32 v1, 0
	;;#ASMSTART
	v_max_f32 v4, v2, v2 quad_perm:[1,0,3,2] row_mask:0xf bank_mask:0xf bound_ctrl:1
	;;#ASMEND
	;;#ASMSTART
	v_max_f32 v2, v4, v4 quad_perm:[2,3,0,1] row_mask:0xf bank_mask:0xf bound_ctrl:1
	;;#ASMEND
	;;#ASMSTART
	v_max_f32 v4, v2, v2 row_half_mirror row_mask:0xf bank_mask:0xf bound_ctrl:1
	;;#ASMEND
	;;#ASMSTART
	v_max_f32 v2, v4, v4 row_mirror row_mask:0xf bank_mask:0xf bound_ctrl:1
	;;#ASMEND
	s_and_saveexec_b32 s4, vcc_lo
	s_cbranch_execz .LBB221_14
; %bb.11:
	s_load_b32 s3, s[0:1], 0x44
	s_mov_b32 s5, 0x76543210
	v_lshl_add_u32 v4, v0, 2, 0
	v_permlanex16_b32 v1, v2, s5, 0xfedcba98 op_sel:[1,1]
	v_mov_b32_e32 v5, v0
	s_mov_b32 s5, 0
	s_delay_alu instid0(VALU_DEP_2) | instskip(NEXT) | instid1(VALU_DEP_1)
	v_dual_max_f32 v2, v2, v2 :: v_dual_max_f32 v1, v1, v1
	v_dual_max_f32 v2, v2, v1 :: v_dual_mov_b32 v1, 0
	s_waitcnt lgkmcnt(0)
	s_and_b32 s16, s3, 0xffff
	s_delay_alu instid0(SALU_CYCLE_1)
	s_lshl_b32 s17, s16, 2
	.p2align	6
.LBB221_12:                             ; =>This Inner Loop Header: Depth=1
	ds_load_b32 v6, v4
	s_waitcnt lgkmcnt(0)
	v_dual_sub_f32 v6, v6, v2 :: v_dual_add_nc_u32 v5, s16, v5
	s_delay_alu instid0(VALU_DEP_1) | instskip(NEXT) | instid1(VALU_DEP_1)
	v_mul_f32_e32 v7, 0x3fb8aa3b, v6
	v_cmp_gt_f32_e64 s3, 0xc2fc0000, v7
	s_delay_alu instid0(VALU_DEP_1) | instskip(NEXT) | instid1(VALU_DEP_1)
	v_cndmask_b32_e64 v7, 0, 0x42800000, s3
	v_fmac_f32_e32 v7, 0x3fb8aa3b, v6
	s_delay_alu instid0(VALU_DEP_1) | instskip(SKIP_2) | instid1(VALU_DEP_1)
	v_exp_f32_e32 v6, v7
	v_cndmask_b32_e64 v7, 1.0, 0x1f800000, s3
	v_cmp_le_i32_e64 s3, s12, v5
	s_or_b32 s5, s3, s5
	s_waitcnt_depctr 0xfff
	v_mul_f32_e32 v8, v6, v7
	v_fmac_f32_e32 v1, v6, v7
	ds_store_b32 v4, v8
	v_add_nc_u32_e32 v4, s17, v4
	s_and_not1_b32 exec_lo, exec_lo, s5
	s_cbranch_execnz .LBB221_12
; %bb.13:
	s_or_b32 exec_lo, exec_lo, s5
.LBB221_14:
	s_delay_alu instid0(SALU_CYCLE_1) | instskip(SKIP_1) | instid1(VALU_DEP_1)
	s_or_b32 exec_lo, exec_lo, s4
	v_mov_b32_dpp v2, v1 quad_perm:[1,0,3,2] row_mask:0xf bank_mask:0xf
	v_add_f32_e32 v1, v1, v2
	s_delay_alu instid0(VALU_DEP_1) | instskip(NEXT) | instid1(VALU_DEP_1)
	v_mov_b32_dpp v2, v1 quad_perm:[2,3,0,1] row_mask:0xf bank_mask:0xf
	v_add_f32_e32 v1, v1, v2
	s_delay_alu instid0(VALU_DEP_1) | instskip(NEXT) | instid1(VALU_DEP_1)
	v_mov_b32_dpp v2, v1 row_xmask:7 row_mask:0xf bank_mask:0xf
	v_add_f32_e32 v1, v1, v2
	s_delay_alu instid0(VALU_DEP_1)
	v_mov_b32_dpp v2, v1 row_xmask:15 row_mask:0xf bank_mask:0xf
	s_and_saveexec_b32 s3, vcc_lo
	s_cbranch_execz .LBB221_19
; %bb.15:
	s_delay_alu instid0(VALU_DEP_1)
	v_add_f32_e32 v1, v1, v2
	s_load_b32 s5, s[0:1], 0x44
	s_mov_b32 s4, 0x76543210
	s_cmp_lg_u64 s[6:7], 0
	v_lshl_add_u32 v5, v0, 2, 0
	v_permlanex16_b32 v2, v1, s4, 0xfedcba98 op_sel:[1,1]
	s_cselect_b32 s4, -1, 0
	s_mov_b32 s16, 0
	s_delay_alu instid0(VALU_DEP_1) | instskip(NEXT) | instid1(VALU_DEP_1)
	v_add_f32_e32 v1, v1, v2
	v_rcp_f32_e32 v4, v1
	v_mov_b32_e32 v1, v0
	s_waitcnt lgkmcnt(0)
	s_and_b32 s5, s5, 0xffff
	s_delay_alu instid0(SALU_CYCLE_1)
	s_lshl_b32 s17, s5, 2
	s_set_inst_prefetch_distance 0x1
	s_branch .LBB221_17
	.p2align	6
.LBB221_16:                             ;   in Loop: Header=BB221_17 Depth=1
	v_add_nc_u32_e32 v1, s5, v1
	v_add_nc_u32_e32 v5, s17, v5
	s_delay_alu instid0(VALU_DEP_2) | instskip(SKIP_1) | instid1(SALU_CYCLE_1)
	v_cmp_le_i32_e32 vcc_lo, s12, v1
	s_or_b32 s16, vcc_lo, s16
	s_and_not1_b32 exec_lo, exec_lo, s16
	s_cbranch_execz .LBB221_19
.LBB221_17:                             ; =>This Inner Loop Header: Depth=1
	ds_load_b32 v2, v5
	s_and_not1_b32 vcc_lo, exec_lo, s4
	s_waitcnt lgkmcnt(0)
	v_mul_f32_e32 v6, v4, v2
	ds_store_b32 v5, v6
	s_cbranch_vccnz .LBB221_16
; %bb.18:                               ;   in Loop: Header=BB221_17 Depth=1
	v_ashrrev_i32_e32 v2, 31, v1
	s_delay_alu instid0(VALU_DEP_1) | instskip(NEXT) | instid1(VALU_DEP_1)
	v_lshlrev_b64 v[7:8], 2, v[1:2]
	v_add_co_u32 v7, vcc_lo, s6, v7
	s_delay_alu instid0(VALU_DEP_2)
	v_add_co_ci_u32_e32 v8, vcc_lo, s7, v8, vcc_lo
	global_load_b32 v2, v[7:8], off
	s_waitcnt vmcnt(0)
	v_add_f32_e32 v2, v6, v2
	ds_store_b32 v5, v2
	s_branch .LBB221_16
.LBB221_19:
	s_set_inst_prefetch_distance 0x2
	s_or_b32 exec_lo, exec_lo, s3
	v_mov_b32_e32 v2, 0
	s_cmp_lt_i32 s13, 1
	s_waitcnt lgkmcnt(0)
	s_barrier
	buffer_gl0_inv
	s_cbranch_scc1 .LBB221_28
; %bb.20:
	s_add_u32 s4, s0, 56
	s_addc_u32 s5, s1, 0
	v_dual_mov_b32 v2, 0 :: v_dual_lshlrev_b32 v5, 1, v0
	v_dual_mov_b32 v6, 0xff800000 :: v_dual_mov_b32 v1, 0
	v_mov_b32_e32 v4, 0
	s_cmp_lg_u64 s[6:7], 0
	s_mov_b32 s18, 0
	s_cselect_b32 s12, -1, 0
	s_mov_b32 s19, 0x76543210
	s_branch .LBB221_22
.LBB221_21:                             ;   in Loop: Header=BB221_22 Depth=1
	v_cmp_eq_u32_e32 vcc_lo, s18, v0
	s_delay_alu instid0(VALU_DEP_2) | instskip(NEXT) | instid1(VALU_DEP_2)
	s_lshl_b32 s3, s16, 2
	v_add_f32_e32 v4, v4, v9
	s_add_i32 s3, s3, 0
	s_add_i32 s18, s18, 1
	v_cndmask_b32_e64 v1, v1, s16, vcc_lo
	v_dual_mov_b32 v7, s3 :: v_dual_cndmask_b32 v2, v2, v9
	s_cmp_eq_u32 s18, s13
	ds_store_b32 v7, v6
	s_cbranch_scc1 .LBB221_29
.LBB221_22:                             ; =>This Loop Header: Depth=1
                                        ;     Child Loop BB221_24 Depth 2
	v_dual_mov_b32 v7, s18 :: v_dual_mov_b32 v8, 0xff800000
	s_and_saveexec_b32 s16, s2
	s_cbranch_execz .LBB221_26
; %bb.23:                               ;   in Loop: Header=BB221_22 Depth=1
	s_load_b32 s3, s[4:5], 0xc
	v_dual_mov_b32 v7, s18 :: v_dual_mov_b32 v8, 0xff800000
	v_dual_mov_b32 v9, v3 :: v_dual_mov_b32 v10, v5
	v_mov_b32_e32 v11, v0
	s_mov_b32 s21, 0
	s_waitcnt lgkmcnt(0)
	s_and_b32 s17, s3, 0xffff
	s_delay_alu instid0(SALU_CYCLE_1)
	s_lshl_b32 s20, s17, 1
	s_lshl_b32 s22, s17, 3
	.p2align	6
.LBB221_24:                             ;   Parent Loop BB221_22 Depth=1
                                        ; =>  This Inner Loop Header: Depth=2
	ds_load_b64 v[12:13], v9
	v_add_nc_u32_e32 v9, s22, v9
	v_add_nc_u32_e32 v11, s17, v11
	s_delay_alu instid0(VALU_DEP_1) | instskip(NEXT) | instid1(VALU_DEP_1)
	v_cmp_le_i32_e64 s3, s14, v11
	s_or_b32 s21, s3, s21
	s_waitcnt lgkmcnt(0)
	v_cmp_gt_f32_e32 vcc_lo, v12, v8
	v_cndmask_b32_e32 v8, v8, v12, vcc_lo
	v_add_nc_u32_e32 v12, 1, v10
	v_cndmask_b32_e32 v7, v7, v10, vcc_lo
	s_delay_alu instid0(VALU_DEP_3) | instskip(SKIP_1) | instid1(VALU_DEP_3)
	v_cmp_gt_f32_e32 vcc_lo, v13, v8
	v_cndmask_b32_e32 v8, v8, v13, vcc_lo
	v_dual_cndmask_b32 v7, v7, v12 :: v_dual_add_nc_u32 v10, s20, v10
	s_and_not1_b32 exec_lo, exec_lo, s21
	s_cbranch_execnz .LBB221_24
; %bb.25:                               ;   in Loop: Header=BB221_22 Depth=1
	s_or_b32 exec_lo, exec_lo, s21
.LBB221_26:                             ;   in Loop: Header=BB221_22 Depth=1
	s_delay_alu instid0(SALU_CYCLE_1)
	s_or_b32 exec_lo, exec_lo, s16
	;;#ASMSTART
	v_max_f32 v9, v8, v8 quad_perm:[1,0,3,2] row_mask:0xf bank_mask:0xf bound_ctrl:1
	;;#ASMEND
	;;#ASMSTART
	v_max_f32 v10, v9, v9 quad_perm:[2,3,0,1] row_mask:0xf bank_mask:0xf bound_ctrl:1
	;;#ASMEND
	;;#ASMSTART
	v_max_f32 v9, v10, v10 row_half_mirror row_mask:0xf bank_mask:0xf bound_ctrl:1
	;;#ASMEND
	;;#ASMSTART
	v_max_f32 v10, v9, v9 row_mirror row_mask:0xf bank_mask:0xf bound_ctrl:1
	;;#ASMEND
	v_permlanex16_b32 v9, v10, s19, 0xfedcba98 op_sel:[1,1]
	s_delay_alu instid0(VALU_DEP_1) | instskip(NEXT) | instid1(VALU_DEP_1)
	v_dual_max_f32 v10, v10, v10 :: v_dual_max_f32 v9, v9, v9
	v_max_f32_e32 v9, v10, v9
	s_delay_alu instid0(VALU_DEP_1)
	v_cmp_eq_f32_e32 vcc_lo, v8, v9
	s_ctz_i32_b32 s3, vcc_lo
	s_cmp_lg_u32 vcc_lo, 0
	s_cselect_b32 s3, s3, 0
	s_and_b32 vcc_lo, exec_lo, s12
	v_readlane_b32 s16, v7, s3
	s_cbranch_vccz .LBB221_21
; %bb.27:                               ;   in Loop: Header=BB221_22 Depth=1
	s_delay_alu instid0(VALU_DEP_1) | instskip(NEXT) | instid1(SALU_CYCLE_1)
	s_ashr_i32 s17, s16, 31
	s_lshl_b64 s[20:21], s[16:17], 2
	s_delay_alu instid0(SALU_CYCLE_1)
	s_add_u32 s20, s6, s20
	s_addc_u32 s21, s7, s21
	s_load_b32 s3, s[20:21], 0x0
	s_waitcnt lgkmcnt(0)
	v_subrev_f32_e32 v9, s3, v9
	s_branch .LBB221_21
.LBB221_28:
	v_dual_mov_b32 v1, 0 :: v_dual_mov_b32 v4, 0
.LBB221_29:
	s_mov_b32 s2, exec_lo
	v_cmpx_gt_i32_e64 s13, v0
	s_cbranch_execz .LBB221_32
; %bb.30:
	s_clause 0x1
	s_load_b32 s2, s[0:1], 0x34
	s_load_b32 s3, s[0:1], 0x44
	v_max_f32_e32 v3, v4, v4
	s_load_b64 s[0:1], s[0:1], 0x20
	s_ashr_i32 s4, s15, 31
	s_delay_alu instid0(VALU_DEP_1) | instskip(SKIP_1) | instid1(VALU_DEP_1)
	v_max_f32_e32 v3, 0x1e3ce508, v3
	s_waitcnt lgkmcnt(0)
	v_div_scale_f32 v4, null, v3, v3, s2
	v_div_scale_f32 v7, vcc_lo, s2, v3, s2
	s_mul_i32 s1, s15, s1
	s_delay_alu instid0(VALU_DEP_2) | instskip(SKIP_4) | instid1(VALU_DEP_1)
	v_rcp_f32_e32 v5, v4
	s_mul_i32 s4, s4, s0
	s_and_b32 s3, s3, 0xffff
	s_waitcnt_depctr 0xfff
	v_fma_f32 v6, -v4, v5, 1.0
	v_fmac_f32_e32 v5, v6, v5
	s_delay_alu instid0(VALU_DEP_1) | instskip(NEXT) | instid1(VALU_DEP_1)
	v_mul_f32_e32 v6, v7, v5
	v_fma_f32 v8, -v4, v6, v7
	s_delay_alu instid0(VALU_DEP_1) | instskip(NEXT) | instid1(VALU_DEP_1)
	v_fmac_f32_e32 v6, v8, v5
	v_fma_f32 v4, -v4, v6, v7
	s_delay_alu instid0(VALU_DEP_1) | instskip(NEXT) | instid1(VALU_DEP_1)
	v_div_fmas_f32 v4, v4, v5, v6
	v_div_fixup_f32 v3, v4, v3, s2
	s_mul_hi_u32 s2, s15, s0
	s_delay_alu instid0(SALU_CYCLE_1) | instskip(SKIP_1) | instid1(VALU_DEP_1)
	s_add_i32 s1, s2, s1
	s_mul_i32 s2, s15, s0
	v_mul_f32_e32 v2, v2, v3
	s_add_i32 s1, s1, s4
	s_mov_b32 s4, 0
	.p2align	6
.LBB221_31:                             ; =>This Inner Loop Header: Depth=1
	v_ashrrev_i32_e32 v4, 31, v0
	v_add_co_u32 v3, vcc_lo, s2, v0
	v_add_nc_u32_e32 v0, s3, v0
	s_delay_alu instid0(VALU_DEP_3) | instskip(NEXT) | instid1(VALU_DEP_2)
	v_add_co_ci_u32_e32 v4, vcc_lo, s1, v4, vcc_lo
	v_cmp_le_i32_e32 vcc_lo, s13, v0
	s_delay_alu instid0(VALU_DEP_2) | instskip(SKIP_1) | instid1(VALU_DEP_1)
	v_lshlrev_b64 v[3:4], 2, v[3:4]
	s_or_b32 s4, vcc_lo, s4
	v_add_co_u32 v5, s0, s8, v3
	s_delay_alu instid0(VALU_DEP_1) | instskip(SKIP_1) | instid1(VALU_DEP_1)
	v_add_co_ci_u32_e64 v6, s0, s9, v4, s0
	v_add_co_u32 v3, s0, s10, v3
	v_add_co_ci_u32_e64 v4, s0, s11, v4, s0
	global_store_b32 v[5:6], v2, off
	global_store_b32 v[3:4], v1, off
	s_and_not1_b32 exec_lo, exec_lo, s4
	s_cbranch_execnz .LBB221_31
.LBB221_32:
	s_nop 0
	s_sendmsg sendmsg(MSG_DEALLOC_VGPRS)
	s_endpgm
	.section	.rodata,"a",@progbits
	.p2align	6, 0x0
	.amdhsa_kernel _ZN5aiter20topk_softplus_kernelI12hip_bfloat16fDv2_fLb1ELi2EEEvPKT_PKT0_PfPimiiif
		.amdhsa_group_segment_fixed_size 0
		.amdhsa_private_segment_fixed_size 0
		.amdhsa_kernarg_size 312
		.amdhsa_user_sgpr_count 15
		.amdhsa_user_sgpr_dispatch_ptr 0
		.amdhsa_user_sgpr_queue_ptr 0
		.amdhsa_user_sgpr_kernarg_segment_ptr 1
		.amdhsa_user_sgpr_dispatch_id 0
		.amdhsa_user_sgpr_private_segment_size 0
		.amdhsa_wavefront_size32 1
		.amdhsa_uses_dynamic_stack 0
		.amdhsa_enable_private_segment 0
		.amdhsa_system_sgpr_workgroup_id_x 1
		.amdhsa_system_sgpr_workgroup_id_y 0
		.amdhsa_system_sgpr_workgroup_id_z 0
		.amdhsa_system_sgpr_workgroup_info 0
		.amdhsa_system_vgpr_workitem_id 0
		.amdhsa_next_free_vgpr 14
		.amdhsa_next_free_sgpr 23
		.amdhsa_reserve_vcc 1
		.amdhsa_float_round_mode_32 0
		.amdhsa_float_round_mode_16_64 0
		.amdhsa_float_denorm_mode_32 3
		.amdhsa_float_denorm_mode_16_64 3
		.amdhsa_dx10_clamp 1
		.amdhsa_ieee_mode 1
		.amdhsa_fp16_overflow 0
		.amdhsa_workgroup_processor_mode 1
		.amdhsa_memory_ordered 1
		.amdhsa_forward_progress 0
		.amdhsa_shared_vgpr_count 0
		.amdhsa_exception_fp_ieee_invalid_op 0
		.amdhsa_exception_fp_denorm_src 0
		.amdhsa_exception_fp_ieee_div_zero 0
		.amdhsa_exception_fp_ieee_overflow 0
		.amdhsa_exception_fp_ieee_underflow 0
		.amdhsa_exception_fp_ieee_inexact 0
		.amdhsa_exception_int_div_zero 0
	.end_amdhsa_kernel
	.section	.text._ZN5aiter20topk_softplus_kernelI12hip_bfloat16fDv2_fLb1ELi2EEEvPKT_PKT0_PfPimiiif,"axG",@progbits,_ZN5aiter20topk_softplus_kernelI12hip_bfloat16fDv2_fLb1ELi2EEEvPKT_PKT0_PfPimiiif,comdat
.Lfunc_end221:
	.size	_ZN5aiter20topk_softplus_kernelI12hip_bfloat16fDv2_fLb1ELi2EEEvPKT_PKT0_PfPimiiif, .Lfunc_end221-_ZN5aiter20topk_softplus_kernelI12hip_bfloat16fDv2_fLb1ELi2EEEvPKT_PKT0_PfPimiiif
                                        ; -- End function
	.section	.AMDGPU.csdata,"",@progbits
; Kernel info:
; codeLenInByte = 2016
; NumSgprs: 25
; NumVgprs: 14
; ScratchSize: 0
; MemoryBound: 0
; FloatMode: 240
; IeeeMode: 1
; LDSByteSize: 0 bytes/workgroup (compile time only)
; SGPRBlocks: 3
; VGPRBlocks: 1
; NumSGPRsForWavesPerEU: 25
; NumVGPRsForWavesPerEU: 14
; Occupancy: 16
; WaveLimiterHint : 0
; COMPUTE_PGM_RSRC2:SCRATCH_EN: 0
; COMPUTE_PGM_RSRC2:USER_SGPR: 15
; COMPUTE_PGM_RSRC2:TRAP_HANDLER: 0
; COMPUTE_PGM_RSRC2:TGID_X_EN: 1
; COMPUTE_PGM_RSRC2:TGID_Y_EN: 0
; COMPUTE_PGM_RSRC2:TGID_Z_EN: 0
; COMPUTE_PGM_RSRC2:TIDIG_COMP_CNT: 0
	.section	.text._ZN5aiter20topk_softplus_kernelI12hip_bfloat16fDv2_fLb0ELi2EEEvPKT_PKT0_PfPimiiif,"axG",@progbits,_ZN5aiter20topk_softplus_kernelI12hip_bfloat16fDv2_fLb0ELi2EEEvPKT_PKT0_PfPimiiif,comdat
	.protected	_ZN5aiter20topk_softplus_kernelI12hip_bfloat16fDv2_fLb0ELi2EEEvPKT_PKT0_PfPimiiif ; -- Begin function _ZN5aiter20topk_softplus_kernelI12hip_bfloat16fDv2_fLb0ELi2EEEvPKT_PKT0_PfPimiiif
	.globl	_ZN5aiter20topk_softplus_kernelI12hip_bfloat16fDv2_fLb0ELi2EEEvPKT_PKT0_PfPimiiif
	.p2align	8
	.type	_ZN5aiter20topk_softplus_kernelI12hip_bfloat16fDv2_fLb0ELi2EEEvPKT_PKT0_PfPimiiif,@function
_ZN5aiter20topk_softplus_kernelI12hip_bfloat16fDv2_fLb0ELi2EEEvPKT_PKT0_PfPimiiif: ; @_ZN5aiter20topk_softplus_kernelI12hip_bfloat16fDv2_fLb0ELi2EEEvPKT_PKT0_PfPimiiif
; %bb.0:
	s_clause 0x1
	s_load_b64 s[12:13], s[0:1], 0x28
	s_load_b256 s[4:11], s[0:1], 0x0
	v_lshl_add_u32 v3, v0, 3, 0
	s_waitcnt lgkmcnt(0)
	s_lshr_b32 s2, s12, 31
	s_mul_i32 s16, s15, s12
	s_add_i32 s2, s12, s2
	s_ashr_i32 s17, s16, 31
	s_ashr_i32 s14, s2, 1
	s_delay_alu instid0(SALU_CYCLE_1) | instskip(NEXT) | instid1(VALU_DEP_1)
	v_cmp_gt_i32_e64 s2, s14, v0
	s_and_saveexec_b32 s18, s2
	s_cbranch_execz .LBB222_3
; %bb.1:
	s_load_b32 s3, s[0:1], 0x44
	v_lshlrev_b32_e32 v1, 2, v0
	s_lshl_b64 s[20:21], s[16:17], 1
	v_lshl_add_u32 v4, v0, 3, 0
	v_mov_b32_e32 v5, v0
	s_waitcnt lgkmcnt(0)
	s_and_b32 s19, s3, 0xffff
	s_add_u32 s3, s4, s20
	s_addc_u32 s20, s5, s21
	v_add_co_u32 v1, s3, s3, v1
	s_delay_alu instid0(VALU_DEP_1)
	v_add_co_ci_u32_e64 v2, null, s20, 0, s3
	s_mov_b32 s20, 0
	s_lshl_b32 s21, s19, 2
	s_lshl_b32 s22, s19, 3
	.p2align	6
.LBB222_2:                              ; =>This Inner Loop Header: Depth=1
	global_load_b32 v6, v[1:2], off
	v_add_nc_u32_e32 v5, s19, v5
	v_add_co_u32 v1, vcc_lo, v1, s21
	v_add_co_ci_u32_e32 v2, vcc_lo, 0, v2, vcc_lo
	s_delay_alu instid0(VALU_DEP_3) | instskip(NEXT) | instid1(VALU_DEP_1)
	v_cmp_le_i32_e64 s3, s14, v5
	s_or_b32 s20, s3, s20
	s_waitcnt vmcnt(0)
	v_lshrrev_b32_e32 v7, 16, v6
	v_and_b32_e32 v6, 0xffff, v6
	s_delay_alu instid0(VALU_DEP_2) | instskip(NEXT) | instid1(VALU_DEP_2)
	v_cvt_f32_u32_e32 v7, v7
	v_cvt_f32_u32_e32 v6, v6
	ds_store_b64 v4, v[6:7]
	v_add_nc_u32_e32 v4, s22, v4
	s_and_not1_b32 exec_lo, exec_lo, s20
	s_cbranch_execnz .LBB222_2
.LBB222_3:
	s_or_b32 exec_lo, exec_lo, s18
	v_lshl_add_u32 v1, s14, 1, v0
	s_mov_b32 s3, exec_lo
	s_delay_alu instid0(VALU_DEP_1)
	v_cmpx_gt_i32_e64 s12, v1
	s_cbranch_execz .LBB222_6
; %bb.4:
	s_load_b32 s18, s[0:1], 0x44
	s_lshl_b64 s[16:17], s[16:17], 1
	v_lshlrev_b32_e32 v2, 2, v0
	s_add_u32 s4, s4, s16
	s_addc_u32 s5, s5, s17
	s_lshl_b32 s16, s14, 3
	s_mov_b32 s17, 0
	v_add3_u32 v4, 0, s16, v2
	s_waitcnt lgkmcnt(0)
	s_and_b32 s16, s18, 0xffff
	s_delay_alu instid0(SALU_CYCLE_1)
	s_lshl_b32 s18, s16, 2
	.p2align	6
.LBB222_5:                              ; =>This Inner Loop Header: Depth=1
	v_ashrrev_i32_e32 v2, 31, v1
	s_delay_alu instid0(VALU_DEP_1) | instskip(SKIP_1) | instid1(VALU_DEP_2)
	v_lshlrev_b64 v[5:6], 1, v[1:2]
	v_add_nc_u32_e32 v1, s16, v1
	v_add_co_u32 v5, vcc_lo, s4, v5
	s_delay_alu instid0(VALU_DEP_3) | instskip(NEXT) | instid1(VALU_DEP_3)
	v_add_co_ci_u32_e32 v6, vcc_lo, s5, v6, vcc_lo
	v_cmp_le_i32_e32 vcc_lo, s12, v1
	global_load_u16 v2, v[5:6], off
	s_or_b32 s17, vcc_lo, s17
	s_waitcnt vmcnt(0)
	v_lshlrev_b32_e32 v2, 16, v2
	ds_store_b32 v4, v2
	v_add_nc_u32_e32 v4, s18, v4
	s_and_not1_b32 exec_lo, exec_lo, s17
	s_cbranch_execnz .LBB222_5
.LBB222_6:
	s_or_b32 exec_lo, exec_lo, s3
	v_cmp_gt_i32_e32 vcc_lo, s12, v0
	v_mov_b32_e32 v2, 0xff800000
	s_waitcnt lgkmcnt(0)
	s_barrier
	buffer_gl0_inv
	s_and_saveexec_b32 s4, vcc_lo
	s_cbranch_execz .LBB222_10
; %bb.7:
	s_load_b32 s3, s[0:1], 0x44
	v_lshl_add_u32 v1, v0, 2, 0
	v_mov_b32_e32 v2, 0xff800000
	v_mov_b32_e32 v4, v0
	s_mov_b32 s5, 0
	s_waitcnt lgkmcnt(0)
	s_and_b32 s16, s3, 0xffff
	s_delay_alu instid0(SALU_CYCLE_1)
	s_lshl_b32 s17, s16, 2
.LBB222_8:                              ; =>This Inner Loop Header: Depth=1
	ds_load_b32 v5, v1
	v_add_nc_u32_e32 v4, s16, v4
	v_dual_max_f32 v2, v2, v2 :: v_dual_add_nc_u32 v1, s17, v1
	s_waitcnt lgkmcnt(0)
	v_max_f32_e32 v5, v5, v5
	s_delay_alu instid0(VALU_DEP_3) | instskip(NEXT) | instid1(VALU_DEP_2)
	v_cmp_le_i32_e64 s3, s12, v4
	v_max_f32_e32 v2, v2, v5
	s_delay_alu instid0(VALU_DEP_2) | instskip(NEXT) | instid1(SALU_CYCLE_1)
	s_or_b32 s5, s3, s5
	s_and_not1_b32 exec_lo, exec_lo, s5
	s_cbranch_execnz .LBB222_8
; %bb.9:
	s_or_b32 exec_lo, exec_lo, s5
.LBB222_10:
	s_delay_alu instid0(SALU_CYCLE_1)
	s_or_b32 exec_lo, exec_lo, s4
	v_mov_b32_e32 v1, 0
	;;#ASMSTART
	v_max_f32 v4, v2, v2 quad_perm:[1,0,3,2] row_mask:0xf bank_mask:0xf bound_ctrl:1
	;;#ASMEND
	;;#ASMSTART
	v_max_f32 v2, v4, v4 quad_perm:[2,3,0,1] row_mask:0xf bank_mask:0xf bound_ctrl:1
	;;#ASMEND
	;;#ASMSTART
	v_max_f32 v4, v2, v2 row_half_mirror row_mask:0xf bank_mask:0xf bound_ctrl:1
	;;#ASMEND
	;;#ASMSTART
	v_max_f32 v2, v4, v4 row_mirror row_mask:0xf bank_mask:0xf bound_ctrl:1
	;;#ASMEND
	s_and_saveexec_b32 s4, vcc_lo
	s_cbranch_execz .LBB222_14
; %bb.11:
	s_load_b32 s3, s[0:1], 0x44
	s_mov_b32 s5, 0x76543210
	v_lshl_add_u32 v4, v0, 2, 0
	v_permlanex16_b32 v1, v2, s5, 0xfedcba98 op_sel:[1,1]
	v_mov_b32_e32 v5, v0
	s_mov_b32 s5, 0
	s_delay_alu instid0(VALU_DEP_2) | instskip(NEXT) | instid1(VALU_DEP_1)
	v_dual_max_f32 v2, v2, v2 :: v_dual_max_f32 v1, v1, v1
	v_dual_max_f32 v2, v2, v1 :: v_dual_mov_b32 v1, 0
	s_waitcnt lgkmcnt(0)
	s_and_b32 s16, s3, 0xffff
	s_delay_alu instid0(SALU_CYCLE_1)
	s_lshl_b32 s17, s16, 2
	.p2align	6
.LBB222_12:                             ; =>This Inner Loop Header: Depth=1
	ds_load_b32 v6, v4
	s_waitcnt lgkmcnt(0)
	v_dual_sub_f32 v6, v6, v2 :: v_dual_add_nc_u32 v5, s16, v5
	s_delay_alu instid0(VALU_DEP_1) | instskip(NEXT) | instid1(VALU_DEP_1)
	v_mul_f32_e32 v7, 0x3fb8aa3b, v6
	v_cmp_gt_f32_e64 s3, 0xc2fc0000, v7
	s_delay_alu instid0(VALU_DEP_1) | instskip(NEXT) | instid1(VALU_DEP_1)
	v_cndmask_b32_e64 v7, 0, 0x42800000, s3
	v_fmac_f32_e32 v7, 0x3fb8aa3b, v6
	s_delay_alu instid0(VALU_DEP_1) | instskip(SKIP_2) | instid1(VALU_DEP_1)
	v_exp_f32_e32 v6, v7
	v_cndmask_b32_e64 v7, 1.0, 0x1f800000, s3
	v_cmp_le_i32_e64 s3, s12, v5
	s_or_b32 s5, s3, s5
	s_waitcnt_depctr 0xfff
	v_mul_f32_e32 v8, v6, v7
	v_fmac_f32_e32 v1, v6, v7
	ds_store_b32 v4, v8
	v_add_nc_u32_e32 v4, s17, v4
	s_and_not1_b32 exec_lo, exec_lo, s5
	s_cbranch_execnz .LBB222_12
; %bb.13:
	s_or_b32 exec_lo, exec_lo, s5
.LBB222_14:
	s_delay_alu instid0(SALU_CYCLE_1) | instskip(SKIP_1) | instid1(VALU_DEP_1)
	s_or_b32 exec_lo, exec_lo, s4
	v_mov_b32_dpp v2, v1 quad_perm:[1,0,3,2] row_mask:0xf bank_mask:0xf
	v_add_f32_e32 v1, v1, v2
	s_delay_alu instid0(VALU_DEP_1) | instskip(NEXT) | instid1(VALU_DEP_1)
	v_mov_b32_dpp v2, v1 quad_perm:[2,3,0,1] row_mask:0xf bank_mask:0xf
	v_add_f32_e32 v1, v1, v2
	s_delay_alu instid0(VALU_DEP_1) | instskip(NEXT) | instid1(VALU_DEP_1)
	v_mov_b32_dpp v2, v1 row_xmask:7 row_mask:0xf bank_mask:0xf
	v_add_f32_e32 v1, v1, v2
	s_delay_alu instid0(VALU_DEP_1)
	v_mov_b32_dpp v2, v1 row_xmask:15 row_mask:0xf bank_mask:0xf
	s_and_saveexec_b32 s3, vcc_lo
	s_cbranch_execz .LBB222_19
; %bb.15:
	s_delay_alu instid0(VALU_DEP_1)
	v_add_f32_e32 v1, v1, v2
	s_load_b32 s5, s[0:1], 0x44
	s_mov_b32 s4, 0x76543210
	s_cmp_lg_u64 s[6:7], 0
	v_lshl_add_u32 v5, v0, 2, 0
	v_permlanex16_b32 v2, v1, s4, 0xfedcba98 op_sel:[1,1]
	s_cselect_b32 s4, -1, 0
	s_mov_b32 s16, 0
	s_delay_alu instid0(VALU_DEP_1) | instskip(NEXT) | instid1(VALU_DEP_1)
	v_add_f32_e32 v1, v1, v2
	v_rcp_f32_e32 v4, v1
	v_mov_b32_e32 v1, v0
	s_waitcnt lgkmcnt(0)
	s_and_b32 s5, s5, 0xffff
	s_delay_alu instid0(SALU_CYCLE_1)
	s_lshl_b32 s17, s5, 2
	s_set_inst_prefetch_distance 0x1
	s_branch .LBB222_17
	.p2align	6
.LBB222_16:                             ;   in Loop: Header=BB222_17 Depth=1
	v_add_nc_u32_e32 v1, s5, v1
	v_add_nc_u32_e32 v5, s17, v5
	s_delay_alu instid0(VALU_DEP_2) | instskip(SKIP_1) | instid1(SALU_CYCLE_1)
	v_cmp_le_i32_e32 vcc_lo, s12, v1
	s_or_b32 s16, vcc_lo, s16
	s_and_not1_b32 exec_lo, exec_lo, s16
	s_cbranch_execz .LBB222_19
.LBB222_17:                             ; =>This Inner Loop Header: Depth=1
	ds_load_b32 v2, v5
	s_and_not1_b32 vcc_lo, exec_lo, s4
	s_waitcnt lgkmcnt(0)
	v_mul_f32_e32 v6, v4, v2
	ds_store_b32 v5, v6
	s_cbranch_vccnz .LBB222_16
; %bb.18:                               ;   in Loop: Header=BB222_17 Depth=1
	v_ashrrev_i32_e32 v2, 31, v1
	s_delay_alu instid0(VALU_DEP_1) | instskip(NEXT) | instid1(VALU_DEP_1)
	v_lshlrev_b64 v[7:8], 2, v[1:2]
	v_add_co_u32 v7, vcc_lo, s6, v7
	s_delay_alu instid0(VALU_DEP_2)
	v_add_co_ci_u32_e32 v8, vcc_lo, s7, v8, vcc_lo
	global_load_b32 v2, v[7:8], off
	s_waitcnt vmcnt(0)
	v_add_f32_e32 v2, v6, v2
	ds_store_b32 v5, v2
	s_branch .LBB222_16
.LBB222_19:
	s_set_inst_prefetch_distance 0x2
	s_or_b32 exec_lo, exec_lo, s3
	s_cmp_lt_i32 s13, 1
	s_waitcnt lgkmcnt(0)
	s_barrier
	buffer_gl0_inv
	s_cbranch_scc1 .LBB222_28
; %bb.20:
	s_add_u32 s4, s0, 56
	s_addc_u32 s5, s1, 0
	v_dual_mov_b32 v1, 0 :: v_dual_lshlrev_b32 v4, 1, v0
	v_dual_mov_b32 v2, 0 :: v_dual_mov_b32 v5, 0xff800000
	s_cmp_lg_u64 s[6:7], 0
	s_mov_b32 s18, 0
	s_cselect_b32 s12, -1, 0
	s_mov_b32 s19, 0x76543210
	s_branch .LBB222_22
.LBB222_21:                             ;   in Loop: Header=BB222_22 Depth=1
	v_cmp_eq_u32_e32 vcc_lo, s18, v0
	s_delay_alu instid0(VALU_DEP_2)
	s_lshl_b32 s3, s16, 2
	s_add_i32 s18, s18, 1
	s_add_i32 s3, s3, 0
	s_cmp_eq_u32 s18, s13
	v_cndmask_b32_e64 v1, v1, s16, vcc_lo
	v_mov_b32_e32 v6, s3
	v_cndmask_b32_e32 v2, v2, v8, vcc_lo
	ds_store_b32 v6, v5
	s_cbranch_scc1 .LBB222_29
.LBB222_22:                             ; =>This Loop Header: Depth=1
                                        ;     Child Loop BB222_24 Depth 2
	v_dual_mov_b32 v6, s18 :: v_dual_mov_b32 v7, 0xff800000
	s_and_saveexec_b32 s16, s2
	s_cbranch_execz .LBB222_26
; %bb.23:                               ;   in Loop: Header=BB222_22 Depth=1
	s_load_b32 s3, s[4:5], 0xc
	v_dual_mov_b32 v6, s18 :: v_dual_mov_b32 v7, 0xff800000
	v_dual_mov_b32 v8, v3 :: v_dual_mov_b32 v9, v4
	v_mov_b32_e32 v10, v0
	s_mov_b32 s21, 0
	s_waitcnt lgkmcnt(0)
	s_and_b32 s17, s3, 0xffff
	s_delay_alu instid0(SALU_CYCLE_1)
	s_lshl_b32 s20, s17, 1
	s_lshl_b32 s22, s17, 3
	.p2align	6
.LBB222_24:                             ;   Parent Loop BB222_22 Depth=1
                                        ; =>  This Inner Loop Header: Depth=2
	ds_load_b64 v[11:12], v8
	v_add_nc_u32_e32 v8, s22, v8
	v_add_nc_u32_e32 v10, s17, v10
	s_delay_alu instid0(VALU_DEP_1) | instskip(NEXT) | instid1(VALU_DEP_1)
	v_cmp_le_i32_e64 s3, s14, v10
	s_or_b32 s21, s3, s21
	s_waitcnt lgkmcnt(0)
	v_cmp_gt_f32_e32 vcc_lo, v11, v7
	v_cndmask_b32_e32 v7, v7, v11, vcc_lo
	v_add_nc_u32_e32 v11, 1, v9
	v_cndmask_b32_e32 v6, v6, v9, vcc_lo
	s_delay_alu instid0(VALU_DEP_3) | instskip(SKIP_1) | instid1(VALU_DEP_3)
	v_cmp_gt_f32_e32 vcc_lo, v12, v7
	v_cndmask_b32_e32 v7, v7, v12, vcc_lo
	v_dual_cndmask_b32 v6, v6, v11 :: v_dual_add_nc_u32 v9, s20, v9
	s_and_not1_b32 exec_lo, exec_lo, s21
	s_cbranch_execnz .LBB222_24
; %bb.25:                               ;   in Loop: Header=BB222_22 Depth=1
	s_or_b32 exec_lo, exec_lo, s21
.LBB222_26:                             ;   in Loop: Header=BB222_22 Depth=1
	s_delay_alu instid0(SALU_CYCLE_1)
	s_or_b32 exec_lo, exec_lo, s16
	;;#ASMSTART
	v_max_f32 v8, v7, v7 quad_perm:[1,0,3,2] row_mask:0xf bank_mask:0xf bound_ctrl:1
	;;#ASMEND
	;;#ASMSTART
	v_max_f32 v9, v8, v8 quad_perm:[2,3,0,1] row_mask:0xf bank_mask:0xf bound_ctrl:1
	;;#ASMEND
	;;#ASMSTART
	v_max_f32 v8, v9, v9 row_half_mirror row_mask:0xf bank_mask:0xf bound_ctrl:1
	;;#ASMEND
	;;#ASMSTART
	v_max_f32 v9, v8, v8 row_mirror row_mask:0xf bank_mask:0xf bound_ctrl:1
	;;#ASMEND
	v_permlanex16_b32 v8, v9, s19, 0xfedcba98 op_sel:[1,1]
	s_delay_alu instid0(VALU_DEP_1) | instskip(NEXT) | instid1(VALU_DEP_1)
	v_dual_max_f32 v9, v9, v9 :: v_dual_max_f32 v8, v8, v8
	v_max_f32_e32 v8, v9, v8
	s_delay_alu instid0(VALU_DEP_1)
	v_cmp_eq_f32_e32 vcc_lo, v7, v8
	s_ctz_i32_b32 s3, vcc_lo
	s_cmp_lg_u32 vcc_lo, 0
	s_cselect_b32 s3, s3, 0
	s_and_b32 vcc_lo, exec_lo, s12
	v_readlane_b32 s16, v6, s3
	s_cbranch_vccz .LBB222_21
; %bb.27:                               ;   in Loop: Header=BB222_22 Depth=1
	s_delay_alu instid0(VALU_DEP_1) | instskip(NEXT) | instid1(SALU_CYCLE_1)
	s_ashr_i32 s17, s16, 31
	s_lshl_b64 s[20:21], s[16:17], 2
	s_delay_alu instid0(SALU_CYCLE_1)
	s_add_u32 s20, s6, s20
	s_addc_u32 s21, s7, s21
	s_load_b32 s3, s[20:21], 0x0
	s_waitcnt lgkmcnt(0)
	v_subrev_f32_e32 v8, s3, v8
	s_branch .LBB222_21
.LBB222_28:
	v_dual_mov_b32 v2, 0 :: v_dual_mov_b32 v1, 0
.LBB222_29:
	s_mov_b32 s2, exec_lo
	v_cmpx_gt_i32_e64 s13, v0
	s_cbranch_execz .LBB222_32
; %bb.30:
	s_clause 0x2
	s_load_b32 s4, s[0:1], 0x34
	s_load_b64 s[2:3], s[0:1], 0x20
	s_load_b32 s0, s[0:1], 0x44
	s_ashr_i32 s1, s15, 31
	s_waitcnt lgkmcnt(0)
	v_mul_f32_e32 v2, s4, v2
	s_mul_i32 s3, s15, s3
	s_mul_hi_u32 s4, s15, s2
	s_mul_i32 s5, s1, s2
	s_add_i32 s3, s4, s3
	s_mul_i32 s1, s15, s2
	s_and_b32 s2, s0, 0xffff
	s_add_i32 s3, s3, s5
	s_mov_b32 s4, 0
	.p2align	6
.LBB222_31:                             ; =>This Inner Loop Header: Depth=1
	v_ashrrev_i32_e32 v4, 31, v0
	v_add_co_u32 v3, vcc_lo, s1, v0
	v_add_nc_u32_e32 v0, s2, v0
	s_delay_alu instid0(VALU_DEP_3) | instskip(NEXT) | instid1(VALU_DEP_2)
	v_add_co_ci_u32_e32 v4, vcc_lo, s3, v4, vcc_lo
	v_cmp_le_i32_e32 vcc_lo, s13, v0
	s_delay_alu instid0(VALU_DEP_2) | instskip(SKIP_1) | instid1(VALU_DEP_1)
	v_lshlrev_b64 v[3:4], 2, v[3:4]
	s_or_b32 s4, vcc_lo, s4
	v_add_co_u32 v5, s0, s8, v3
	s_delay_alu instid0(VALU_DEP_1) | instskip(SKIP_1) | instid1(VALU_DEP_1)
	v_add_co_ci_u32_e64 v6, s0, s9, v4, s0
	v_add_co_u32 v3, s0, s10, v3
	v_add_co_ci_u32_e64 v4, s0, s11, v4, s0
	global_store_b32 v[5:6], v2, off
	global_store_b32 v[3:4], v1, off
	s_and_not1_b32 exec_lo, exec_lo, s4
	s_cbranch_execnz .LBB222_31
.LBB222_32:
	s_nop 0
	s_sendmsg sendmsg(MSG_DEALLOC_VGPRS)
	s_endpgm
	.section	.rodata,"a",@progbits
	.p2align	6, 0x0
	.amdhsa_kernel _ZN5aiter20topk_softplus_kernelI12hip_bfloat16fDv2_fLb0ELi2EEEvPKT_PKT0_PfPimiiif
		.amdhsa_group_segment_fixed_size 0
		.amdhsa_private_segment_fixed_size 0
		.amdhsa_kernarg_size 312
		.amdhsa_user_sgpr_count 15
		.amdhsa_user_sgpr_dispatch_ptr 0
		.amdhsa_user_sgpr_queue_ptr 0
		.amdhsa_user_sgpr_kernarg_segment_ptr 1
		.amdhsa_user_sgpr_dispatch_id 0
		.amdhsa_user_sgpr_private_segment_size 0
		.amdhsa_wavefront_size32 1
		.amdhsa_uses_dynamic_stack 0
		.amdhsa_enable_private_segment 0
		.amdhsa_system_sgpr_workgroup_id_x 1
		.amdhsa_system_sgpr_workgroup_id_y 0
		.amdhsa_system_sgpr_workgroup_id_z 0
		.amdhsa_system_sgpr_workgroup_info 0
		.amdhsa_system_vgpr_workitem_id 0
		.amdhsa_next_free_vgpr 13
		.amdhsa_next_free_sgpr 23
		.amdhsa_reserve_vcc 1
		.amdhsa_float_round_mode_32 0
		.amdhsa_float_round_mode_16_64 0
		.amdhsa_float_denorm_mode_32 3
		.amdhsa_float_denorm_mode_16_64 3
		.amdhsa_dx10_clamp 1
		.amdhsa_ieee_mode 1
		.amdhsa_fp16_overflow 0
		.amdhsa_workgroup_processor_mode 1
		.amdhsa_memory_ordered 1
		.amdhsa_forward_progress 0
		.amdhsa_shared_vgpr_count 0
		.amdhsa_exception_fp_ieee_invalid_op 0
		.amdhsa_exception_fp_denorm_src 0
		.amdhsa_exception_fp_ieee_div_zero 0
		.amdhsa_exception_fp_ieee_overflow 0
		.amdhsa_exception_fp_ieee_underflow 0
		.amdhsa_exception_fp_ieee_inexact 0
		.amdhsa_exception_int_div_zero 0
	.end_amdhsa_kernel
	.section	.text._ZN5aiter20topk_softplus_kernelI12hip_bfloat16fDv2_fLb0ELi2EEEvPKT_PKT0_PfPimiiif,"axG",@progbits,_ZN5aiter20topk_softplus_kernelI12hip_bfloat16fDv2_fLb0ELi2EEEvPKT_PKT0_PfPimiiif,comdat
.Lfunc_end222:
	.size	_ZN5aiter20topk_softplus_kernelI12hip_bfloat16fDv2_fLb0ELi2EEEvPKT_PKT0_PfPimiiif, .Lfunc_end222-_ZN5aiter20topk_softplus_kernelI12hip_bfloat16fDv2_fLb0ELi2EEEvPKT_PKT0_PfPimiiif
                                        ; -- End function
	.section	.AMDGPU.csdata,"",@progbits
; Kernel info:
; codeLenInByte = 1892
; NumSgprs: 25
; NumVgprs: 13
; ScratchSize: 0
; MemoryBound: 0
; FloatMode: 240
; IeeeMode: 1
; LDSByteSize: 0 bytes/workgroup (compile time only)
; SGPRBlocks: 3
; VGPRBlocks: 1
; NumSGPRsForWavesPerEU: 25
; NumVGPRsForWavesPerEU: 13
; Occupancy: 16
; WaveLimiterHint : 0
; COMPUTE_PGM_RSRC2:SCRATCH_EN: 0
; COMPUTE_PGM_RSRC2:USER_SGPR: 15
; COMPUTE_PGM_RSRC2:TRAP_HANDLER: 0
; COMPUTE_PGM_RSRC2:TGID_X_EN: 1
; COMPUTE_PGM_RSRC2:TGID_Y_EN: 0
; COMPUTE_PGM_RSRC2:TGID_Z_EN: 0
; COMPUTE_PGM_RSRC2:TIDIG_COMP_CNT: 0
	.section	.text._ZN5aiter20topk_softplus_kernelI12hip_bfloat16fDv1_fLb1ELi2EEEvPKT_PKT0_PfPimiiif,"axG",@progbits,_ZN5aiter20topk_softplus_kernelI12hip_bfloat16fDv1_fLb1ELi2EEEvPKT_PKT0_PfPimiiif,comdat
	.protected	_ZN5aiter20topk_softplus_kernelI12hip_bfloat16fDv1_fLb1ELi2EEEvPKT_PKT0_PfPimiiif ; -- Begin function _ZN5aiter20topk_softplus_kernelI12hip_bfloat16fDv1_fLb1ELi2EEEvPKT_PKT0_PfPimiiif
	.globl	_ZN5aiter20topk_softplus_kernelI12hip_bfloat16fDv1_fLb1ELi2EEEvPKT_PKT0_PfPimiiif
	.p2align	8
	.type	_ZN5aiter20topk_softplus_kernelI12hip_bfloat16fDv1_fLb1ELi2EEEvPKT_PKT0_PfPimiiif,@function
_ZN5aiter20topk_softplus_kernelI12hip_bfloat16fDv1_fLb1ELi2EEEvPKT_PKT0_PfPimiiif: ; @_ZN5aiter20topk_softplus_kernelI12hip_bfloat16fDv1_fLb1ELi2EEEvPKT_PKT0_PfPimiiif
; %bb.0:
	s_clause 0x1
	s_load_b64 s[12:13], s[0:1], 0x28
	s_load_b256 s[4:11], s[0:1], 0x0
	v_lshl_add_u32 v3, v0, 2, 0
	s_waitcnt lgkmcnt(0)
	s_mul_i32 s16, s15, s12
	v_cmp_gt_i32_e64 s2, s12, v0
	s_ashr_i32 s17, s16, 31
	s_delay_alu instid0(SALU_CYCLE_1) | instskip(NEXT) | instid1(SALU_CYCLE_1)
	s_lshl_b64 s[16:17], s[16:17], 1
	s_add_u32 s3, s4, s16
	s_addc_u32 s4, s5, s17
	s_and_saveexec_b32 s5, s2
	s_cbranch_execz .LBB223_3
; %bb.1:
	s_load_b32 s14, s[0:1], 0x44
	v_lshl_add_u32 v4, v0, 2, 0
	v_mov_b32_e32 v1, v0
	s_mov_b32 s16, 0
	s_waitcnt lgkmcnt(0)
	s_and_b32 s14, s14, 0xffff
	s_delay_alu instid0(SALU_CYCLE_1)
	s_lshl_b32 s17, s14, 2
	.p2align	6
.LBB223_2:                              ; =>This Inner Loop Header: Depth=1
	v_ashrrev_i32_e32 v2, 31, v1
	s_delay_alu instid0(VALU_DEP_1) | instskip(SKIP_1) | instid1(VALU_DEP_2)
	v_lshlrev_b64 v[5:6], 1, v[1:2]
	v_add_nc_u32_e32 v1, s14, v1
	v_add_co_u32 v5, vcc_lo, s3, v5
	s_delay_alu instid0(VALU_DEP_3) | instskip(NEXT) | instid1(VALU_DEP_3)
	v_add_co_ci_u32_e32 v6, vcc_lo, s4, v6, vcc_lo
	v_cmp_le_i32_e32 vcc_lo, s12, v1
	global_load_u16 v2, v[5:6], off
	s_or_b32 s16, vcc_lo, s16
	s_waitcnt vmcnt(0)
	v_cvt_f32_u32_e32 v2, v2
	ds_store_b32 v4, v2
	v_add_nc_u32_e32 v4, s17, v4
	s_and_not1_b32 exec_lo, exec_lo, s16
	s_cbranch_execnz .LBB223_2
.LBB223_3:
	s_or_b32 exec_lo, exec_lo, s5
	v_add_nc_u32_e32 v1, s12, v0
	s_mov_b32 s5, exec_lo
	s_delay_alu instid0(VALU_DEP_1)
	v_cmpx_gt_i32_e64 s12, v1
	s_cbranch_execz .LBB223_6
; %bb.4:
	s_load_b32 s14, s[0:1], 0x44
	v_lshl_add_u32 v4, v1, 2, 0
	s_mov_b32 s16, 0
	s_waitcnt lgkmcnt(0)
	s_and_b32 s14, s14, 0xffff
	s_delay_alu instid0(SALU_CYCLE_1)
	s_lshl_b32 s17, s14, 2
	.p2align	6
.LBB223_5:                              ; =>This Inner Loop Header: Depth=1
	v_ashrrev_i32_e32 v2, 31, v1
	s_delay_alu instid0(VALU_DEP_1) | instskip(SKIP_1) | instid1(VALU_DEP_2)
	v_lshlrev_b64 v[5:6], 1, v[1:2]
	v_add_nc_u32_e32 v1, s14, v1
	v_add_co_u32 v5, vcc_lo, s3, v5
	s_delay_alu instid0(VALU_DEP_3) | instskip(NEXT) | instid1(VALU_DEP_3)
	v_add_co_ci_u32_e32 v6, vcc_lo, s4, v6, vcc_lo
	v_cmp_le_i32_e32 vcc_lo, s12, v1
	global_load_u16 v2, v[5:6], off
	s_or_b32 s16, vcc_lo, s16
	s_waitcnt vmcnt(0)
	v_lshlrev_b32_e32 v2, 16, v2
	ds_store_b32 v4, v2
	v_add_nc_u32_e32 v4, s17, v4
	s_and_not1_b32 exec_lo, exec_lo, s16
	s_cbranch_execnz .LBB223_5
.LBB223_6:
	s_or_b32 exec_lo, exec_lo, s5
	v_mov_b32_e32 v2, 0xff800000
	s_waitcnt lgkmcnt(0)
	s_barrier
	buffer_gl0_inv
	s_and_saveexec_b32 s3, s2
	s_cbranch_execz .LBB223_10
; %bb.7:
	s_load_b32 s4, s[0:1], 0x44
	v_lshl_add_u32 v1, v0, 2, 0
	v_mov_b32_e32 v2, 0xff800000
	v_mov_b32_e32 v4, v0
	s_waitcnt lgkmcnt(0)
	s_and_b32 s5, s4, 0xffff
	s_mov_b32 s4, 0
	s_lshl_b32 s14, s5, 2
.LBB223_8:                              ; =>This Inner Loop Header: Depth=1
	ds_load_b32 v5, v1
	v_add_nc_u32_e32 v4, s5, v4
	v_dual_max_f32 v2, v2, v2 :: v_dual_add_nc_u32 v1, s14, v1
	s_waitcnt lgkmcnt(0)
	v_max_f32_e32 v5, v5, v5
	s_delay_alu instid0(VALU_DEP_3) | instskip(NEXT) | instid1(VALU_DEP_2)
	v_cmp_le_i32_e32 vcc_lo, s12, v4
	v_max_f32_e32 v2, v2, v5
	s_or_b32 s4, vcc_lo, s4
	s_delay_alu instid0(SALU_CYCLE_1)
	s_and_not1_b32 exec_lo, exec_lo, s4
	s_cbranch_execnz .LBB223_8
; %bb.9:
	s_or_b32 exec_lo, exec_lo, s4
.LBB223_10:
	s_delay_alu instid0(SALU_CYCLE_1)
	s_or_b32 exec_lo, exec_lo, s3
	v_mov_b32_e32 v1, 0
	;;#ASMSTART
	v_max_f32 v4, v2, v2 quad_perm:[1,0,3,2] row_mask:0xf bank_mask:0xf bound_ctrl:1
	;;#ASMEND
	;;#ASMSTART
	v_max_f32 v2, v4, v4 quad_perm:[2,3,0,1] row_mask:0xf bank_mask:0xf bound_ctrl:1
	;;#ASMEND
	;;#ASMSTART
	v_max_f32 v4, v2, v2 row_half_mirror row_mask:0xf bank_mask:0xf bound_ctrl:1
	;;#ASMEND
	;;#ASMSTART
	v_max_f32 v2, v4, v4 row_mirror row_mask:0xf bank_mask:0xf bound_ctrl:1
	;;#ASMEND
	s_and_saveexec_b32 s3, s2
	s_cbranch_execz .LBB223_14
; %bb.11:
	s_load_b32 s4, s[0:1], 0x44
	s_mov_b32 s5, 0x76543210
	v_lshl_add_u32 v4, v0, 2, 0
	v_permlanex16_b32 v1, v2, s5, 0xfedcba98 op_sel:[1,1]
	v_dual_mov_b32 v5, v0 :: v_dual_max_f32 v2, v2, v2
	s_delay_alu instid0(VALU_DEP_2) | instskip(NEXT) | instid1(VALU_DEP_1)
	v_max_f32_e32 v1, v1, v1
	v_dual_max_f32 v2, v2, v1 :: v_dual_mov_b32 v1, 0
	s_waitcnt lgkmcnt(0)
	s_and_b32 s5, s4, 0xffff
	s_mov_b32 s4, 0
	s_lshl_b32 s14, s5, 2
	.p2align	6
.LBB223_12:                             ; =>This Inner Loop Header: Depth=1
	ds_load_b32 v6, v4
	s_waitcnt lgkmcnt(0)
	v_dual_sub_f32 v6, v6, v2 :: v_dual_add_nc_u32 v5, s5, v5
	s_delay_alu instid0(VALU_DEP_1) | instskip(NEXT) | instid1(VALU_DEP_1)
	v_mul_f32_e32 v7, 0x3fb8aa3b, v6
	v_cmp_gt_f32_e32 vcc_lo, 0xc2fc0000, v7
	v_cndmask_b32_e64 v7, 0, 0x42800000, vcc_lo
	s_delay_alu instid0(VALU_DEP_1) | instskip(NEXT) | instid1(VALU_DEP_1)
	v_fmac_f32_e32 v7, 0x3fb8aa3b, v6
	v_exp_f32_e32 v6, v7
	v_cndmask_b32_e64 v7, 1.0, 0x1f800000, vcc_lo
	v_cmp_le_i32_e32 vcc_lo, s12, v5
	s_or_b32 s4, vcc_lo, s4
	s_waitcnt_depctr 0xfff
	v_mul_f32_e32 v8, v6, v7
	v_fmac_f32_e32 v1, v6, v7
	ds_store_b32 v4, v8
	v_add_nc_u32_e32 v4, s14, v4
	s_and_not1_b32 exec_lo, exec_lo, s4
	s_cbranch_execnz .LBB223_12
; %bb.13:
	s_or_b32 exec_lo, exec_lo, s4
.LBB223_14:
	s_delay_alu instid0(SALU_CYCLE_1) | instskip(SKIP_1) | instid1(VALU_DEP_1)
	s_or_b32 exec_lo, exec_lo, s3
	v_mov_b32_dpp v2, v1 quad_perm:[1,0,3,2] row_mask:0xf bank_mask:0xf
	v_add_f32_e32 v1, v1, v2
	s_delay_alu instid0(VALU_DEP_1) | instskip(NEXT) | instid1(VALU_DEP_1)
	v_mov_b32_dpp v2, v1 quad_perm:[2,3,0,1] row_mask:0xf bank_mask:0xf
	v_add_f32_e32 v1, v1, v2
	s_delay_alu instid0(VALU_DEP_1) | instskip(NEXT) | instid1(VALU_DEP_1)
	v_mov_b32_dpp v2, v1 row_xmask:7 row_mask:0xf bank_mask:0xf
	v_add_f32_e32 v1, v1, v2
	s_delay_alu instid0(VALU_DEP_1)
	v_mov_b32_dpp v2, v1 row_xmask:15 row_mask:0xf bank_mask:0xf
	s_and_saveexec_b32 s3, s2
	s_cbranch_execz .LBB223_19
; %bb.15:
	s_delay_alu instid0(VALU_DEP_1)
	v_add_f32_e32 v1, v1, v2
	s_load_b32 s5, s[0:1], 0x44
	s_mov_b32 s4, 0x76543210
	s_cmp_lg_u64 s[6:7], 0
	v_lshl_add_u32 v5, v0, 2, 0
	v_permlanex16_b32 v2, v1, s4, 0xfedcba98 op_sel:[1,1]
	s_cselect_b32 s4, -1, 0
	s_mov_b32 s14, 0
	s_delay_alu instid0(VALU_DEP_1) | instskip(NEXT) | instid1(VALU_DEP_1)
	v_add_f32_e32 v1, v1, v2
	v_rcp_f32_e32 v4, v1
	v_mov_b32_e32 v1, v0
	s_waitcnt lgkmcnt(0)
	s_and_b32 s5, s5, 0xffff
	s_delay_alu instid0(SALU_CYCLE_1)
	s_lshl_b32 s16, s5, 2
	s_set_inst_prefetch_distance 0x1
	s_branch .LBB223_17
	.p2align	6
.LBB223_16:                             ;   in Loop: Header=BB223_17 Depth=1
	v_add_nc_u32_e32 v1, s5, v1
	v_add_nc_u32_e32 v5, s16, v5
	s_delay_alu instid0(VALU_DEP_2) | instskip(SKIP_1) | instid1(SALU_CYCLE_1)
	v_cmp_le_i32_e32 vcc_lo, s12, v1
	s_or_b32 s14, vcc_lo, s14
	s_and_not1_b32 exec_lo, exec_lo, s14
	s_cbranch_execz .LBB223_19
.LBB223_17:                             ; =>This Inner Loop Header: Depth=1
	ds_load_b32 v2, v5
	s_and_not1_b32 vcc_lo, exec_lo, s4
	s_waitcnt lgkmcnt(0)
	v_mul_f32_e32 v6, v4, v2
	ds_store_b32 v5, v6
	s_cbranch_vccnz .LBB223_16
; %bb.18:                               ;   in Loop: Header=BB223_17 Depth=1
	v_ashrrev_i32_e32 v2, 31, v1
	s_delay_alu instid0(VALU_DEP_1) | instskip(NEXT) | instid1(VALU_DEP_1)
	v_lshlrev_b64 v[7:8], 2, v[1:2]
	v_add_co_u32 v7, vcc_lo, s6, v7
	s_delay_alu instid0(VALU_DEP_2)
	v_add_co_ci_u32_e32 v8, vcc_lo, s7, v8, vcc_lo
	global_load_b32 v2, v[7:8], off
	s_waitcnt vmcnt(0)
	v_add_f32_e32 v2, v6, v2
	ds_store_b32 v5, v2
	s_branch .LBB223_16
.LBB223_19:
	s_set_inst_prefetch_distance 0x2
	s_or_b32 exec_lo, exec_lo, s3
	v_mov_b32_e32 v2, 0
	s_cmp_lt_i32 s13, 1
	s_waitcnt lgkmcnt(0)
	s_barrier
	buffer_gl0_inv
	s_cbranch_scc1 .LBB223_28
; %bb.20:
	s_add_u32 s4, s0, 56
	s_addc_u32 s5, s1, 0
	v_dual_mov_b32 v2, 0 :: v_dual_mov_b32 v5, 0xff800000
	v_dual_mov_b32 v1, 0 :: v_dual_mov_b32 v4, 0
	s_cmp_lg_u64 s[6:7], 0
	s_mov_b32 s14, 0
	s_cselect_b32 s3, -1, 0
	s_mov_b32 s18, 0x76543210
	s_branch .LBB223_22
.LBB223_21:                             ;   in Loop: Header=BB223_22 Depth=1
	v_cmp_eq_u32_e32 vcc_lo, s14, v0
	s_delay_alu instid0(VALU_DEP_2) | instskip(NEXT) | instid1(VALU_DEP_2)
	s_lshl_b32 s17, s16, 2
	v_add_f32_e32 v4, v4, v8
	s_add_i32 s17, s17, 0
	s_add_i32 s14, s14, 1
	v_cndmask_b32_e64 v1, v1, s16, vcc_lo
	v_mov_b32_e32 v6, s17
	v_cndmask_b32_e32 v2, v2, v8, vcc_lo
	s_cmp_eq_u32 s14, s13
	ds_store_b32 v6, v5
	s_cbranch_scc1 .LBB223_29
.LBB223_22:                             ; =>This Loop Header: Depth=1
                                        ;     Child Loop BB223_24 Depth 2
	v_dual_mov_b32 v6, s14 :: v_dual_mov_b32 v7, 0xff800000
	s_and_saveexec_b32 s16, s2
	s_cbranch_execz .LBB223_26
; %bb.23:                               ;   in Loop: Header=BB223_22 Depth=1
	s_load_b32 s17, s[4:5], 0xc
	v_dual_mov_b32 v6, s14 :: v_dual_mov_b32 v7, 0xff800000
	v_dual_mov_b32 v8, v3 :: v_dual_mov_b32 v9, v0
	s_mov_b32 s19, 0
	s_waitcnt lgkmcnt(0)
	s_and_b32 s17, s17, 0xffff
	s_delay_alu instid0(SALU_CYCLE_1)
	s_lshl_b32 s20, s17, 2
.LBB223_24:                             ;   Parent Loop BB223_22 Depth=1
                                        ; =>  This Inner Loop Header: Depth=2
	ds_load_b32 v10, v8
	v_add_nc_u32_e32 v8, s20, v8
	s_waitcnt lgkmcnt(0)
	v_cmp_gt_f32_e32 vcc_lo, v10, v7
	v_dual_cndmask_b32 v7, v7, v10 :: v_dual_cndmask_b32 v6, v6, v9
	v_add_nc_u32_e32 v9, s17, v9
	s_delay_alu instid0(VALU_DEP_1) | instskip(SKIP_1) | instid1(SALU_CYCLE_1)
	v_cmp_le_i32_e32 vcc_lo, s12, v9
	s_or_b32 s19, vcc_lo, s19
	s_and_not1_b32 exec_lo, exec_lo, s19
	s_cbranch_execnz .LBB223_24
; %bb.25:                               ;   in Loop: Header=BB223_22 Depth=1
	s_or_b32 exec_lo, exec_lo, s19
.LBB223_26:                             ;   in Loop: Header=BB223_22 Depth=1
	s_delay_alu instid0(SALU_CYCLE_1)
	s_or_b32 exec_lo, exec_lo, s16
	;;#ASMSTART
	v_max_f32 v8, v7, v7 quad_perm:[1,0,3,2] row_mask:0xf bank_mask:0xf bound_ctrl:1
	;;#ASMEND
	;;#ASMSTART
	v_max_f32 v9, v8, v8 quad_perm:[2,3,0,1] row_mask:0xf bank_mask:0xf bound_ctrl:1
	;;#ASMEND
	;;#ASMSTART
	v_max_f32 v8, v9, v9 row_half_mirror row_mask:0xf bank_mask:0xf bound_ctrl:1
	;;#ASMEND
	;;#ASMSTART
	v_max_f32 v9, v8, v8 row_mirror row_mask:0xf bank_mask:0xf bound_ctrl:1
	;;#ASMEND
	v_permlanex16_b32 v8, v9, s18, 0xfedcba98 op_sel:[1,1]
	s_delay_alu instid0(VALU_DEP_1) | instskip(NEXT) | instid1(VALU_DEP_1)
	v_dual_max_f32 v9, v9, v9 :: v_dual_max_f32 v8, v8, v8
	v_max_f32_e32 v8, v9, v8
	s_delay_alu instid0(VALU_DEP_1)
	v_cmp_eq_f32_e32 vcc_lo, v7, v8
	s_ctz_i32_b32 s16, vcc_lo
	s_cmp_lg_u32 vcc_lo, 0
	s_cselect_b32 s16, s16, 0
	s_and_b32 vcc_lo, exec_lo, s3
	v_readlane_b32 s16, v6, s16
	s_cbranch_vccz .LBB223_21
; %bb.27:                               ;   in Loop: Header=BB223_22 Depth=1
	s_delay_alu instid0(VALU_DEP_1) | instskip(NEXT) | instid1(SALU_CYCLE_1)
	s_ashr_i32 s17, s16, 31
	s_lshl_b64 s[20:21], s[16:17], 2
	s_delay_alu instid0(SALU_CYCLE_1)
	s_add_u32 s20, s6, s20
	s_addc_u32 s21, s7, s21
	s_load_b32 s17, s[20:21], 0x0
	s_waitcnt lgkmcnt(0)
	v_subrev_f32_e32 v8, s17, v8
	s_branch .LBB223_21
.LBB223_28:
	v_dual_mov_b32 v1, 0 :: v_dual_mov_b32 v4, 0
.LBB223_29:
	s_mov_b32 s2, exec_lo
	v_cmpx_gt_i32_e64 s13, v0
	s_cbranch_execz .LBB223_32
; %bb.30:
	s_clause 0x1
	s_load_b32 s2, s[0:1], 0x34
	s_load_b32 s3, s[0:1], 0x44
	v_max_f32_e32 v3, v4, v4
	s_load_b64 s[0:1], s[0:1], 0x20
	s_ashr_i32 s4, s15, 31
	s_delay_alu instid0(VALU_DEP_1) | instskip(SKIP_1) | instid1(VALU_DEP_1)
	v_max_f32_e32 v3, 0x1e3ce508, v3
	s_waitcnt lgkmcnt(0)
	v_div_scale_f32 v4, null, v3, v3, s2
	v_div_scale_f32 v7, vcc_lo, s2, v3, s2
	s_mul_i32 s1, s15, s1
	s_delay_alu instid0(VALU_DEP_2) | instskip(SKIP_4) | instid1(VALU_DEP_1)
	v_rcp_f32_e32 v5, v4
	s_mul_i32 s4, s4, s0
	s_and_b32 s3, s3, 0xffff
	s_waitcnt_depctr 0xfff
	v_fma_f32 v6, -v4, v5, 1.0
	v_fmac_f32_e32 v5, v6, v5
	s_delay_alu instid0(VALU_DEP_1) | instskip(NEXT) | instid1(VALU_DEP_1)
	v_mul_f32_e32 v6, v7, v5
	v_fma_f32 v8, -v4, v6, v7
	s_delay_alu instid0(VALU_DEP_1) | instskip(NEXT) | instid1(VALU_DEP_1)
	v_fmac_f32_e32 v6, v8, v5
	v_fma_f32 v4, -v4, v6, v7
	s_delay_alu instid0(VALU_DEP_1) | instskip(NEXT) | instid1(VALU_DEP_1)
	v_div_fmas_f32 v4, v4, v5, v6
	v_div_fixup_f32 v3, v4, v3, s2
	s_mul_hi_u32 s2, s15, s0
	s_delay_alu instid0(SALU_CYCLE_1) | instskip(SKIP_1) | instid1(VALU_DEP_1)
	s_add_i32 s1, s2, s1
	s_mul_i32 s2, s15, s0
	v_mul_f32_e32 v2, v2, v3
	s_add_i32 s1, s1, s4
	s_mov_b32 s4, 0
	.p2align	6
.LBB223_31:                             ; =>This Inner Loop Header: Depth=1
	v_ashrrev_i32_e32 v4, 31, v0
	v_add_co_u32 v3, vcc_lo, s2, v0
	v_add_nc_u32_e32 v0, s3, v0
	s_delay_alu instid0(VALU_DEP_3) | instskip(NEXT) | instid1(VALU_DEP_2)
	v_add_co_ci_u32_e32 v4, vcc_lo, s1, v4, vcc_lo
	v_cmp_le_i32_e32 vcc_lo, s13, v0
	s_delay_alu instid0(VALU_DEP_2) | instskip(SKIP_1) | instid1(VALU_DEP_1)
	v_lshlrev_b64 v[3:4], 2, v[3:4]
	s_or_b32 s4, vcc_lo, s4
	v_add_co_u32 v5, s0, s8, v3
	s_delay_alu instid0(VALU_DEP_1) | instskip(SKIP_1) | instid1(VALU_DEP_1)
	v_add_co_ci_u32_e64 v6, s0, s9, v4, s0
	v_add_co_u32 v3, s0, s10, v3
	v_add_co_ci_u32_e64 v4, s0, s11, v4, s0
	global_store_b32 v[5:6], v2, off
	global_store_b32 v[3:4], v1, off
	s_and_not1_b32 exec_lo, exec_lo, s4
	s_cbranch_execnz .LBB223_31
.LBB223_32:
	s_nop 0
	s_sendmsg sendmsg(MSG_DEALLOC_VGPRS)
	s_endpgm
	.section	.rodata,"a",@progbits
	.p2align	6, 0x0
	.amdhsa_kernel _ZN5aiter20topk_softplus_kernelI12hip_bfloat16fDv1_fLb1ELi2EEEvPKT_PKT0_PfPimiiif
		.amdhsa_group_segment_fixed_size 0
		.amdhsa_private_segment_fixed_size 0
		.amdhsa_kernarg_size 312
		.amdhsa_user_sgpr_count 15
		.amdhsa_user_sgpr_dispatch_ptr 0
		.amdhsa_user_sgpr_queue_ptr 0
		.amdhsa_user_sgpr_kernarg_segment_ptr 1
		.amdhsa_user_sgpr_dispatch_id 0
		.amdhsa_user_sgpr_private_segment_size 0
		.amdhsa_wavefront_size32 1
		.amdhsa_uses_dynamic_stack 0
		.amdhsa_enable_private_segment 0
		.amdhsa_system_sgpr_workgroup_id_x 1
		.amdhsa_system_sgpr_workgroup_id_y 0
		.amdhsa_system_sgpr_workgroup_id_z 0
		.amdhsa_system_sgpr_workgroup_info 0
		.amdhsa_system_vgpr_workitem_id 0
		.amdhsa_next_free_vgpr 11
		.amdhsa_next_free_sgpr 22
		.amdhsa_reserve_vcc 1
		.amdhsa_float_round_mode_32 0
		.amdhsa_float_round_mode_16_64 0
		.amdhsa_float_denorm_mode_32 3
		.amdhsa_float_denorm_mode_16_64 3
		.amdhsa_dx10_clamp 1
		.amdhsa_ieee_mode 1
		.amdhsa_fp16_overflow 0
		.amdhsa_workgroup_processor_mode 1
		.amdhsa_memory_ordered 1
		.amdhsa_forward_progress 0
		.amdhsa_shared_vgpr_count 0
		.amdhsa_exception_fp_ieee_invalid_op 0
		.amdhsa_exception_fp_denorm_src 0
		.amdhsa_exception_fp_ieee_div_zero 0
		.amdhsa_exception_fp_ieee_overflow 0
		.amdhsa_exception_fp_ieee_underflow 0
		.amdhsa_exception_fp_ieee_inexact 0
		.amdhsa_exception_int_div_zero 0
	.end_amdhsa_kernel
	.section	.text._ZN5aiter20topk_softplus_kernelI12hip_bfloat16fDv1_fLb1ELi2EEEvPKT_PKT0_PfPimiiif,"axG",@progbits,_ZN5aiter20topk_softplus_kernelI12hip_bfloat16fDv1_fLb1ELi2EEEvPKT_PKT0_PfPimiiif,comdat
.Lfunc_end223:
	.size	_ZN5aiter20topk_softplus_kernelI12hip_bfloat16fDv1_fLb1ELi2EEEvPKT_PKT0_PfPimiiif, .Lfunc_end223-_ZN5aiter20topk_softplus_kernelI12hip_bfloat16fDv1_fLb1ELi2EEEvPKT_PKT0_PfPimiiif
                                        ; -- End function
	.section	.AMDGPU.csdata,"",@progbits
; Kernel info:
; codeLenInByte = 1880
; NumSgprs: 24
; NumVgprs: 11
; ScratchSize: 0
; MemoryBound: 0
; FloatMode: 240
; IeeeMode: 1
; LDSByteSize: 0 bytes/workgroup (compile time only)
; SGPRBlocks: 2
; VGPRBlocks: 1
; NumSGPRsForWavesPerEU: 24
; NumVGPRsForWavesPerEU: 11
; Occupancy: 16
; WaveLimiterHint : 0
; COMPUTE_PGM_RSRC2:SCRATCH_EN: 0
; COMPUTE_PGM_RSRC2:USER_SGPR: 15
; COMPUTE_PGM_RSRC2:TRAP_HANDLER: 0
; COMPUTE_PGM_RSRC2:TGID_X_EN: 1
; COMPUTE_PGM_RSRC2:TGID_Y_EN: 0
; COMPUTE_PGM_RSRC2:TGID_Z_EN: 0
; COMPUTE_PGM_RSRC2:TIDIG_COMP_CNT: 0
	.section	.text._ZN5aiter20topk_softplus_kernelI12hip_bfloat16fDv1_fLb0ELi2EEEvPKT_PKT0_PfPimiiif,"axG",@progbits,_ZN5aiter20topk_softplus_kernelI12hip_bfloat16fDv1_fLb0ELi2EEEvPKT_PKT0_PfPimiiif,comdat
	.protected	_ZN5aiter20topk_softplus_kernelI12hip_bfloat16fDv1_fLb0ELi2EEEvPKT_PKT0_PfPimiiif ; -- Begin function _ZN5aiter20topk_softplus_kernelI12hip_bfloat16fDv1_fLb0ELi2EEEvPKT_PKT0_PfPimiiif
	.globl	_ZN5aiter20topk_softplus_kernelI12hip_bfloat16fDv1_fLb0ELi2EEEvPKT_PKT0_PfPimiiif
	.p2align	8
	.type	_ZN5aiter20topk_softplus_kernelI12hip_bfloat16fDv1_fLb0ELi2EEEvPKT_PKT0_PfPimiiif,@function
_ZN5aiter20topk_softplus_kernelI12hip_bfloat16fDv1_fLb0ELi2EEEvPKT_PKT0_PfPimiiif: ; @_ZN5aiter20topk_softplus_kernelI12hip_bfloat16fDv1_fLb0ELi2EEEvPKT_PKT0_PfPimiiif
; %bb.0:
	s_clause 0x1
	s_load_b64 s[12:13], s[0:1], 0x28
	s_load_b256 s[4:11], s[0:1], 0x0
	v_lshl_add_u32 v3, v0, 2, 0
	s_waitcnt lgkmcnt(0)
	s_mul_i32 s16, s15, s12
	v_cmp_gt_i32_e64 s2, s12, v0
	s_ashr_i32 s17, s16, 31
	s_delay_alu instid0(SALU_CYCLE_1) | instskip(NEXT) | instid1(SALU_CYCLE_1)
	s_lshl_b64 s[16:17], s[16:17], 1
	s_add_u32 s3, s4, s16
	s_addc_u32 s4, s5, s17
	s_and_saveexec_b32 s5, s2
	s_cbranch_execz .LBB224_3
; %bb.1:
	s_load_b32 s14, s[0:1], 0x44
	v_lshl_add_u32 v4, v0, 2, 0
	v_mov_b32_e32 v1, v0
	s_mov_b32 s16, 0
	s_waitcnt lgkmcnt(0)
	s_and_b32 s14, s14, 0xffff
	s_delay_alu instid0(SALU_CYCLE_1)
	s_lshl_b32 s17, s14, 2
	.p2align	6
.LBB224_2:                              ; =>This Inner Loop Header: Depth=1
	v_ashrrev_i32_e32 v2, 31, v1
	s_delay_alu instid0(VALU_DEP_1) | instskip(SKIP_1) | instid1(VALU_DEP_2)
	v_lshlrev_b64 v[5:6], 1, v[1:2]
	v_add_nc_u32_e32 v1, s14, v1
	v_add_co_u32 v5, vcc_lo, s3, v5
	s_delay_alu instid0(VALU_DEP_3) | instskip(NEXT) | instid1(VALU_DEP_3)
	v_add_co_ci_u32_e32 v6, vcc_lo, s4, v6, vcc_lo
	v_cmp_le_i32_e32 vcc_lo, s12, v1
	global_load_u16 v2, v[5:6], off
	s_or_b32 s16, vcc_lo, s16
	s_waitcnt vmcnt(0)
	v_cvt_f32_u32_e32 v2, v2
	ds_store_b32 v4, v2
	v_add_nc_u32_e32 v4, s17, v4
	s_and_not1_b32 exec_lo, exec_lo, s16
	s_cbranch_execnz .LBB224_2
.LBB224_3:
	s_or_b32 exec_lo, exec_lo, s5
	v_add_nc_u32_e32 v1, s12, v0
	s_mov_b32 s5, exec_lo
	s_delay_alu instid0(VALU_DEP_1)
	v_cmpx_gt_i32_e64 s12, v1
	s_cbranch_execz .LBB224_6
; %bb.4:
	s_load_b32 s14, s[0:1], 0x44
	v_lshl_add_u32 v4, v1, 2, 0
	s_mov_b32 s16, 0
	s_waitcnt lgkmcnt(0)
	s_and_b32 s14, s14, 0xffff
	s_delay_alu instid0(SALU_CYCLE_1)
	s_lshl_b32 s17, s14, 2
	.p2align	6
.LBB224_5:                              ; =>This Inner Loop Header: Depth=1
	v_ashrrev_i32_e32 v2, 31, v1
	s_delay_alu instid0(VALU_DEP_1) | instskip(SKIP_1) | instid1(VALU_DEP_2)
	v_lshlrev_b64 v[5:6], 1, v[1:2]
	v_add_nc_u32_e32 v1, s14, v1
	v_add_co_u32 v5, vcc_lo, s3, v5
	s_delay_alu instid0(VALU_DEP_3) | instskip(NEXT) | instid1(VALU_DEP_3)
	v_add_co_ci_u32_e32 v6, vcc_lo, s4, v6, vcc_lo
	v_cmp_le_i32_e32 vcc_lo, s12, v1
	global_load_u16 v2, v[5:6], off
	s_or_b32 s16, vcc_lo, s16
	s_waitcnt vmcnt(0)
	v_lshlrev_b32_e32 v2, 16, v2
	ds_store_b32 v4, v2
	v_add_nc_u32_e32 v4, s17, v4
	s_and_not1_b32 exec_lo, exec_lo, s16
	s_cbranch_execnz .LBB224_5
.LBB224_6:
	s_or_b32 exec_lo, exec_lo, s5
	v_mov_b32_e32 v2, 0xff800000
	s_waitcnt lgkmcnt(0)
	s_barrier
	buffer_gl0_inv
	s_and_saveexec_b32 s3, s2
	s_cbranch_execz .LBB224_10
; %bb.7:
	s_load_b32 s4, s[0:1], 0x44
	v_lshl_add_u32 v1, v0, 2, 0
	v_mov_b32_e32 v2, 0xff800000
	v_mov_b32_e32 v4, v0
	s_waitcnt lgkmcnt(0)
	s_and_b32 s5, s4, 0xffff
	s_mov_b32 s4, 0
	s_lshl_b32 s14, s5, 2
.LBB224_8:                              ; =>This Inner Loop Header: Depth=1
	ds_load_b32 v5, v1
	v_add_nc_u32_e32 v4, s5, v4
	v_dual_max_f32 v2, v2, v2 :: v_dual_add_nc_u32 v1, s14, v1
	s_waitcnt lgkmcnt(0)
	v_max_f32_e32 v5, v5, v5
	s_delay_alu instid0(VALU_DEP_3) | instskip(NEXT) | instid1(VALU_DEP_2)
	v_cmp_le_i32_e32 vcc_lo, s12, v4
	v_max_f32_e32 v2, v2, v5
	s_or_b32 s4, vcc_lo, s4
	s_delay_alu instid0(SALU_CYCLE_1)
	s_and_not1_b32 exec_lo, exec_lo, s4
	s_cbranch_execnz .LBB224_8
; %bb.9:
	s_or_b32 exec_lo, exec_lo, s4
.LBB224_10:
	s_delay_alu instid0(SALU_CYCLE_1)
	s_or_b32 exec_lo, exec_lo, s3
	v_mov_b32_e32 v1, 0
	;;#ASMSTART
	v_max_f32 v4, v2, v2 quad_perm:[1,0,3,2] row_mask:0xf bank_mask:0xf bound_ctrl:1
	;;#ASMEND
	;;#ASMSTART
	v_max_f32 v2, v4, v4 quad_perm:[2,3,0,1] row_mask:0xf bank_mask:0xf bound_ctrl:1
	;;#ASMEND
	;;#ASMSTART
	v_max_f32 v4, v2, v2 row_half_mirror row_mask:0xf bank_mask:0xf bound_ctrl:1
	;;#ASMEND
	;;#ASMSTART
	v_max_f32 v2, v4, v4 row_mirror row_mask:0xf bank_mask:0xf bound_ctrl:1
	;;#ASMEND
	s_and_saveexec_b32 s3, s2
	s_cbranch_execz .LBB224_14
; %bb.11:
	s_load_b32 s4, s[0:1], 0x44
	s_mov_b32 s5, 0x76543210
	v_lshl_add_u32 v4, v0, 2, 0
	v_permlanex16_b32 v1, v2, s5, 0xfedcba98 op_sel:[1,1]
	v_dual_mov_b32 v5, v0 :: v_dual_max_f32 v2, v2, v2
	s_delay_alu instid0(VALU_DEP_2) | instskip(NEXT) | instid1(VALU_DEP_1)
	v_max_f32_e32 v1, v1, v1
	v_dual_max_f32 v2, v2, v1 :: v_dual_mov_b32 v1, 0
	s_waitcnt lgkmcnt(0)
	s_and_b32 s5, s4, 0xffff
	s_mov_b32 s4, 0
	s_lshl_b32 s14, s5, 2
	.p2align	6
.LBB224_12:                             ; =>This Inner Loop Header: Depth=1
	ds_load_b32 v6, v4
	s_waitcnt lgkmcnt(0)
	v_dual_sub_f32 v6, v6, v2 :: v_dual_add_nc_u32 v5, s5, v5
	s_delay_alu instid0(VALU_DEP_1) | instskip(NEXT) | instid1(VALU_DEP_1)
	v_mul_f32_e32 v7, 0x3fb8aa3b, v6
	v_cmp_gt_f32_e32 vcc_lo, 0xc2fc0000, v7
	v_cndmask_b32_e64 v7, 0, 0x42800000, vcc_lo
	s_delay_alu instid0(VALU_DEP_1) | instskip(NEXT) | instid1(VALU_DEP_1)
	v_fmac_f32_e32 v7, 0x3fb8aa3b, v6
	v_exp_f32_e32 v6, v7
	v_cndmask_b32_e64 v7, 1.0, 0x1f800000, vcc_lo
	v_cmp_le_i32_e32 vcc_lo, s12, v5
	s_or_b32 s4, vcc_lo, s4
	s_waitcnt_depctr 0xfff
	v_mul_f32_e32 v8, v6, v7
	v_fmac_f32_e32 v1, v6, v7
	ds_store_b32 v4, v8
	v_add_nc_u32_e32 v4, s14, v4
	s_and_not1_b32 exec_lo, exec_lo, s4
	s_cbranch_execnz .LBB224_12
; %bb.13:
	s_or_b32 exec_lo, exec_lo, s4
.LBB224_14:
	s_delay_alu instid0(SALU_CYCLE_1) | instskip(SKIP_1) | instid1(VALU_DEP_1)
	s_or_b32 exec_lo, exec_lo, s3
	v_mov_b32_dpp v2, v1 quad_perm:[1,0,3,2] row_mask:0xf bank_mask:0xf
	v_add_f32_e32 v1, v1, v2
	s_delay_alu instid0(VALU_DEP_1) | instskip(NEXT) | instid1(VALU_DEP_1)
	v_mov_b32_dpp v2, v1 quad_perm:[2,3,0,1] row_mask:0xf bank_mask:0xf
	v_add_f32_e32 v1, v1, v2
	s_delay_alu instid0(VALU_DEP_1) | instskip(NEXT) | instid1(VALU_DEP_1)
	v_mov_b32_dpp v2, v1 row_xmask:7 row_mask:0xf bank_mask:0xf
	v_add_f32_e32 v1, v1, v2
	s_delay_alu instid0(VALU_DEP_1)
	v_mov_b32_dpp v2, v1 row_xmask:15 row_mask:0xf bank_mask:0xf
	s_and_saveexec_b32 s3, s2
	s_cbranch_execz .LBB224_19
; %bb.15:
	s_delay_alu instid0(VALU_DEP_1)
	v_add_f32_e32 v1, v1, v2
	s_load_b32 s5, s[0:1], 0x44
	s_mov_b32 s4, 0x76543210
	s_cmp_lg_u64 s[6:7], 0
	v_lshl_add_u32 v5, v0, 2, 0
	v_permlanex16_b32 v2, v1, s4, 0xfedcba98 op_sel:[1,1]
	s_cselect_b32 s4, -1, 0
	s_mov_b32 s14, 0
	s_delay_alu instid0(VALU_DEP_1) | instskip(NEXT) | instid1(VALU_DEP_1)
	v_add_f32_e32 v1, v1, v2
	v_rcp_f32_e32 v4, v1
	v_mov_b32_e32 v1, v0
	s_waitcnt lgkmcnt(0)
	s_and_b32 s5, s5, 0xffff
	s_delay_alu instid0(SALU_CYCLE_1)
	s_lshl_b32 s16, s5, 2
	s_set_inst_prefetch_distance 0x1
	s_branch .LBB224_17
	.p2align	6
.LBB224_16:                             ;   in Loop: Header=BB224_17 Depth=1
	v_add_nc_u32_e32 v1, s5, v1
	v_add_nc_u32_e32 v5, s16, v5
	s_delay_alu instid0(VALU_DEP_2) | instskip(SKIP_1) | instid1(SALU_CYCLE_1)
	v_cmp_le_i32_e32 vcc_lo, s12, v1
	s_or_b32 s14, vcc_lo, s14
	s_and_not1_b32 exec_lo, exec_lo, s14
	s_cbranch_execz .LBB224_19
.LBB224_17:                             ; =>This Inner Loop Header: Depth=1
	ds_load_b32 v2, v5
	s_and_not1_b32 vcc_lo, exec_lo, s4
	s_waitcnt lgkmcnt(0)
	v_mul_f32_e32 v6, v4, v2
	ds_store_b32 v5, v6
	s_cbranch_vccnz .LBB224_16
; %bb.18:                               ;   in Loop: Header=BB224_17 Depth=1
	v_ashrrev_i32_e32 v2, 31, v1
	s_delay_alu instid0(VALU_DEP_1) | instskip(NEXT) | instid1(VALU_DEP_1)
	v_lshlrev_b64 v[7:8], 2, v[1:2]
	v_add_co_u32 v7, vcc_lo, s6, v7
	s_delay_alu instid0(VALU_DEP_2)
	v_add_co_ci_u32_e32 v8, vcc_lo, s7, v8, vcc_lo
	global_load_b32 v2, v[7:8], off
	s_waitcnt vmcnt(0)
	v_add_f32_e32 v2, v6, v2
	ds_store_b32 v5, v2
	s_branch .LBB224_16
.LBB224_19:
	s_set_inst_prefetch_distance 0x2
	s_or_b32 exec_lo, exec_lo, s3
	s_cmp_lt_i32 s13, 1
	s_waitcnt lgkmcnt(0)
	s_barrier
	buffer_gl0_inv
	s_cbranch_scc1 .LBB224_28
; %bb.20:
	s_add_u32 s4, s0, 56
	s_addc_u32 s5, s1, 0
	v_dual_mov_b32 v2, 0 :: v_dual_mov_b32 v1, 0
	v_mov_b32_e32 v4, 0xff800000
	s_cmp_lg_u64 s[6:7], 0
	s_mov_b32 s14, 0
	s_cselect_b32 s3, -1, 0
	s_mov_b32 s18, 0x76543210
	s_branch .LBB224_22
.LBB224_21:                             ;   in Loop: Header=BB224_22 Depth=1
	v_cmp_eq_u32_e32 vcc_lo, s14, v0
	s_delay_alu instid0(VALU_DEP_2)
	s_lshl_b32 s17, s16, 2
	s_add_i32 s14, s14, 1
	s_add_i32 s17, s17, 0
	s_cmp_eq_u32 s14, s13
	v_cndmask_b32_e64 v1, v1, s16, vcc_lo
	v_dual_mov_b32 v5, s17 :: v_dual_cndmask_b32 v2, v2, v7
	ds_store_b32 v5, v4
	s_cbranch_scc1 .LBB224_29
.LBB224_22:                             ; =>This Loop Header: Depth=1
                                        ;     Child Loop BB224_24 Depth 2
	v_dual_mov_b32 v5, s14 :: v_dual_mov_b32 v6, 0xff800000
	s_and_saveexec_b32 s16, s2
	s_cbranch_execz .LBB224_26
; %bb.23:                               ;   in Loop: Header=BB224_22 Depth=1
	s_load_b32 s17, s[4:5], 0xc
	v_dual_mov_b32 v5, s14 :: v_dual_mov_b32 v6, 0xff800000
	v_dual_mov_b32 v7, v3 :: v_dual_mov_b32 v8, v0
	s_mov_b32 s19, 0
	s_waitcnt lgkmcnt(0)
	s_and_b32 s17, s17, 0xffff
	s_delay_alu instid0(SALU_CYCLE_1)
	s_lshl_b32 s20, s17, 2
.LBB224_24:                             ;   Parent Loop BB224_22 Depth=1
                                        ; =>  This Inner Loop Header: Depth=2
	ds_load_b32 v9, v7
	v_add_nc_u32_e32 v7, s20, v7
	s_waitcnt lgkmcnt(0)
	v_cmp_gt_f32_e32 vcc_lo, v9, v6
	v_dual_cndmask_b32 v6, v6, v9 :: v_dual_cndmask_b32 v5, v5, v8
	v_add_nc_u32_e32 v8, s17, v8
	s_delay_alu instid0(VALU_DEP_1) | instskip(SKIP_1) | instid1(SALU_CYCLE_1)
	v_cmp_le_i32_e32 vcc_lo, s12, v8
	s_or_b32 s19, vcc_lo, s19
	s_and_not1_b32 exec_lo, exec_lo, s19
	s_cbranch_execnz .LBB224_24
; %bb.25:                               ;   in Loop: Header=BB224_22 Depth=1
	s_or_b32 exec_lo, exec_lo, s19
.LBB224_26:                             ;   in Loop: Header=BB224_22 Depth=1
	s_delay_alu instid0(SALU_CYCLE_1)
	s_or_b32 exec_lo, exec_lo, s16
	;;#ASMSTART
	v_max_f32 v7, v6, v6 quad_perm:[1,0,3,2] row_mask:0xf bank_mask:0xf bound_ctrl:1
	;;#ASMEND
	;;#ASMSTART
	v_max_f32 v8, v7, v7 quad_perm:[2,3,0,1] row_mask:0xf bank_mask:0xf bound_ctrl:1
	;;#ASMEND
	;;#ASMSTART
	v_max_f32 v7, v8, v8 row_half_mirror row_mask:0xf bank_mask:0xf bound_ctrl:1
	;;#ASMEND
	;;#ASMSTART
	v_max_f32 v8, v7, v7 row_mirror row_mask:0xf bank_mask:0xf bound_ctrl:1
	;;#ASMEND
	v_permlanex16_b32 v7, v8, s18, 0xfedcba98 op_sel:[1,1]
	s_delay_alu instid0(VALU_DEP_1) | instskip(NEXT) | instid1(VALU_DEP_1)
	v_dual_max_f32 v8, v8, v8 :: v_dual_max_f32 v7, v7, v7
	v_max_f32_e32 v7, v8, v7
	s_delay_alu instid0(VALU_DEP_1)
	v_cmp_eq_f32_e32 vcc_lo, v6, v7
	s_ctz_i32_b32 s16, vcc_lo
	s_cmp_lg_u32 vcc_lo, 0
	s_cselect_b32 s16, s16, 0
	s_and_b32 vcc_lo, exec_lo, s3
	v_readlane_b32 s16, v5, s16
	s_cbranch_vccz .LBB224_21
; %bb.27:                               ;   in Loop: Header=BB224_22 Depth=1
	s_delay_alu instid0(VALU_DEP_1) | instskip(NEXT) | instid1(SALU_CYCLE_1)
	s_ashr_i32 s17, s16, 31
	s_lshl_b64 s[20:21], s[16:17], 2
	s_delay_alu instid0(SALU_CYCLE_1)
	s_add_u32 s20, s6, s20
	s_addc_u32 s21, s7, s21
	s_load_b32 s17, s[20:21], 0x0
	s_waitcnt lgkmcnt(0)
	v_subrev_f32_e32 v7, s17, v7
	s_branch .LBB224_21
.LBB224_28:
	v_dual_mov_b32 v2, 0 :: v_dual_mov_b32 v1, 0
.LBB224_29:
	s_mov_b32 s2, exec_lo
	v_cmpx_gt_i32_e64 s13, v0
	s_cbranch_execz .LBB224_32
; %bb.30:
	s_clause 0x2
	s_load_b32 s4, s[0:1], 0x34
	s_load_b64 s[2:3], s[0:1], 0x20
	s_load_b32 s0, s[0:1], 0x44
	s_ashr_i32 s1, s15, 31
	s_waitcnt lgkmcnt(0)
	v_mul_f32_e32 v2, s4, v2
	s_mul_i32 s3, s15, s3
	s_mul_hi_u32 s4, s15, s2
	s_mul_i32 s5, s1, s2
	s_add_i32 s3, s4, s3
	s_mul_i32 s1, s15, s2
	s_and_b32 s2, s0, 0xffff
	s_add_i32 s3, s3, s5
	s_mov_b32 s4, 0
	.p2align	6
.LBB224_31:                             ; =>This Inner Loop Header: Depth=1
	v_ashrrev_i32_e32 v4, 31, v0
	v_add_co_u32 v3, vcc_lo, s1, v0
	v_add_nc_u32_e32 v0, s2, v0
	s_delay_alu instid0(VALU_DEP_3) | instskip(NEXT) | instid1(VALU_DEP_2)
	v_add_co_ci_u32_e32 v4, vcc_lo, s3, v4, vcc_lo
	v_cmp_le_i32_e32 vcc_lo, s13, v0
	s_delay_alu instid0(VALU_DEP_2) | instskip(SKIP_1) | instid1(VALU_DEP_1)
	v_lshlrev_b64 v[3:4], 2, v[3:4]
	s_or_b32 s4, vcc_lo, s4
	v_add_co_u32 v5, s0, s8, v3
	s_delay_alu instid0(VALU_DEP_1) | instskip(SKIP_1) | instid1(VALU_DEP_1)
	v_add_co_ci_u32_e64 v6, s0, s9, v4, s0
	v_add_co_u32 v3, s0, s10, v3
	v_add_co_ci_u32_e64 v4, s0, s11, v4, s0
	global_store_b32 v[5:6], v2, off
	global_store_b32 v[3:4], v1, off
	s_and_not1_b32 exec_lo, exec_lo, s4
	s_cbranch_execnz .LBB224_31
.LBB224_32:
	s_nop 0
	s_sendmsg sendmsg(MSG_DEALLOC_VGPRS)
	s_endpgm
	.section	.rodata,"a",@progbits
	.p2align	6, 0x0
	.amdhsa_kernel _ZN5aiter20topk_softplus_kernelI12hip_bfloat16fDv1_fLb0ELi2EEEvPKT_PKT0_PfPimiiif
		.amdhsa_group_segment_fixed_size 0
		.amdhsa_private_segment_fixed_size 0
		.amdhsa_kernarg_size 312
		.amdhsa_user_sgpr_count 15
		.amdhsa_user_sgpr_dispatch_ptr 0
		.amdhsa_user_sgpr_queue_ptr 0
		.amdhsa_user_sgpr_kernarg_segment_ptr 1
		.amdhsa_user_sgpr_dispatch_id 0
		.amdhsa_user_sgpr_private_segment_size 0
		.amdhsa_wavefront_size32 1
		.amdhsa_uses_dynamic_stack 0
		.amdhsa_enable_private_segment 0
		.amdhsa_system_sgpr_workgroup_id_x 1
		.amdhsa_system_sgpr_workgroup_id_y 0
		.amdhsa_system_sgpr_workgroup_id_z 0
		.amdhsa_system_sgpr_workgroup_info 0
		.amdhsa_system_vgpr_workitem_id 0
		.amdhsa_next_free_vgpr 10
		.amdhsa_next_free_sgpr 22
		.amdhsa_reserve_vcc 1
		.amdhsa_float_round_mode_32 0
		.amdhsa_float_round_mode_16_64 0
		.amdhsa_float_denorm_mode_32 3
		.amdhsa_float_denorm_mode_16_64 3
		.amdhsa_dx10_clamp 1
		.amdhsa_ieee_mode 1
		.amdhsa_fp16_overflow 0
		.amdhsa_workgroup_processor_mode 1
		.amdhsa_memory_ordered 1
		.amdhsa_forward_progress 0
		.amdhsa_shared_vgpr_count 0
		.amdhsa_exception_fp_ieee_invalid_op 0
		.amdhsa_exception_fp_denorm_src 0
		.amdhsa_exception_fp_ieee_div_zero 0
		.amdhsa_exception_fp_ieee_overflow 0
		.amdhsa_exception_fp_ieee_underflow 0
		.amdhsa_exception_fp_ieee_inexact 0
		.amdhsa_exception_int_div_zero 0
	.end_amdhsa_kernel
	.section	.text._ZN5aiter20topk_softplus_kernelI12hip_bfloat16fDv1_fLb0ELi2EEEvPKT_PKT0_PfPimiiif,"axG",@progbits,_ZN5aiter20topk_softplus_kernelI12hip_bfloat16fDv1_fLb0ELi2EEEvPKT_PKT0_PfPimiiif,comdat
.Lfunc_end224:
	.size	_ZN5aiter20topk_softplus_kernelI12hip_bfloat16fDv1_fLb0ELi2EEEvPKT_PKT0_PfPimiiif, .Lfunc_end224-_ZN5aiter20topk_softplus_kernelI12hip_bfloat16fDv1_fLb0ELi2EEEvPKT_PKT0_PfPimiiif
                                        ; -- End function
	.section	.AMDGPU.csdata,"",@progbits
; Kernel info:
; codeLenInByte = 1756
; NumSgprs: 24
; NumVgprs: 10
; ScratchSize: 0
; MemoryBound: 0
; FloatMode: 240
; IeeeMode: 1
; LDSByteSize: 0 bytes/workgroup (compile time only)
; SGPRBlocks: 2
; VGPRBlocks: 1
; NumSGPRsForWavesPerEU: 24
; NumVGPRsForWavesPerEU: 10
; Occupancy: 16
; WaveLimiterHint : 0
; COMPUTE_PGM_RSRC2:SCRATCH_EN: 0
; COMPUTE_PGM_RSRC2:USER_SGPR: 15
; COMPUTE_PGM_RSRC2:TRAP_HANDLER: 0
; COMPUTE_PGM_RSRC2:TGID_X_EN: 1
; COMPUTE_PGM_RSRC2:TGID_Y_EN: 0
; COMPUTE_PGM_RSRC2:TGID_Z_EN: 0
; COMPUTE_PGM_RSRC2:TIDIG_COMP_CNT: 0
	.section	.text._ZN5aiter24topk_softplus_kernel_optI12hip_bfloat16fLi64ELb1ELi0EEEvPKT_PKT0_PfPimiif,"axG",@progbits,_ZN5aiter24topk_softplus_kernel_optI12hip_bfloat16fLi64ELb1ELi0EEEvPKT_PKT0_PfPimiif,comdat
	.protected	_ZN5aiter24topk_softplus_kernel_optI12hip_bfloat16fLi64ELb1ELi0EEEvPKT_PKT0_PfPimiif ; -- Begin function _ZN5aiter24topk_softplus_kernel_optI12hip_bfloat16fLi64ELb1ELi0EEEvPKT_PKT0_PfPimiif
	.globl	_ZN5aiter24topk_softplus_kernel_optI12hip_bfloat16fLi64ELb1ELi0EEEvPKT_PKT0_PfPimiif
	.p2align	8
	.type	_ZN5aiter24topk_softplus_kernel_optI12hip_bfloat16fLi64ELb1ELi0EEEvPKT_PKT0_PfPimiif,@function
_ZN5aiter24topk_softplus_kernel_optI12hip_bfloat16fLi64ELb1ELi0EEEvPKT_PKT0_PfPimiif: ; @_ZN5aiter24topk_softplus_kernel_optI12hip_bfloat16fLi64ELb1ELi0EEEvPKT_PKT0_PfPimiif
; %bb.0:
	s_load_b128 s[4:7], s[0:1], 0x0
	s_lshl_b32 s2, s15, 6
	v_lshlrev_b32_e32 v1, 1, v0
	s_ashr_i32 s3, s2, 31
	s_delay_alu instid0(SALU_CYCLE_1)
	s_lshl_b64 s[2:3], s[2:3], 1
	s_waitcnt lgkmcnt(0)
	s_add_u32 s4, s4, s2
	s_addc_u32 s5, s5, s3
	s_cmp_lg_u64 s[6:7], 0
	global_load_u16 v2, v1, s[4:5]
	s_cselect_b32 s3, -1, 0
	s_waitcnt vmcnt(0)
	v_lshlrev_b32_e32 v2, 16, v2
	s_delay_alu instid0(VALU_DEP_1) | instskip(NEXT) | instid1(VALU_DEP_1)
	v_mul_f32_e32 v3, 0x3fb8aa3b, v2
	v_cmp_gt_f32_e32 vcc_lo, 0xc2fc0000, v3
	v_cndmask_b32_e64 v3, 0, 0x42800000, vcc_lo
	v_cndmask_b32_e64 v4, 1.0, 0x1f800000, vcc_lo
	s_delay_alu instid0(VALU_DEP_2) | instskip(NEXT) | instid1(VALU_DEP_1)
	v_fmac_f32_e32 v3, 0x3fb8aa3b, v2
	v_exp_f32_e32 v3, v3
	s_waitcnt_depctr 0xfff
	v_fma_f32 v3, v3, v4, 1.0
	s_delay_alu instid0(VALU_DEP_1) | instskip(SKIP_1) | instid1(VALU_DEP_1)
	v_cmp_gt_f32_e32 vcc_lo, 0x800000, v3
	v_cndmask_b32_e64 v4, 1.0, 0x4f800000, vcc_lo
	v_mul_f32_e32 v3, v3, v4
	v_cndmask_b32_e64 v4, 0, 0x42000000, vcc_lo
	v_cmp_lt_f32_e32 vcc_lo, 0x41a00000, v2
	s_delay_alu instid0(VALU_DEP_3) | instskip(SKIP_2) | instid1(VALU_DEP_1)
	v_log_f32_e32 v3, v3
	s_waitcnt_depctr 0xfff
	v_sub_f32_e32 v3, v3, v4
	v_mul_f32_e32 v3, 0x3f317218, v3
	s_delay_alu instid0(VALU_DEP_1) | instskip(NEXT) | instid1(VALU_DEP_1)
	v_cndmask_b32_e32 v2, v3, v2, vcc_lo
	v_mul_f32_e32 v3, 0x4f800000, v2
	v_cmp_gt_f32_e32 vcc_lo, 0xf800000, v2
	s_delay_alu instid0(VALU_DEP_2) | instskip(NEXT) | instid1(VALU_DEP_1)
	v_cndmask_b32_e32 v2, v2, v3, vcc_lo
	v_sqrt_f32_e32 v3, v2
	s_waitcnt_depctr 0xfff
	v_add_nc_u32_e32 v4, -1, v3
	v_add_nc_u32_e32 v5, 1, v3
	s_delay_alu instid0(VALU_DEP_2) | instskip(NEXT) | instid1(VALU_DEP_2)
	v_fma_f32 v6, -v4, v3, v2
	v_fma_f32 v7, -v5, v3, v2
	s_delay_alu instid0(VALU_DEP_2) | instskip(NEXT) | instid1(VALU_DEP_1)
	v_cmp_ge_f32_e64 s2, 0, v6
	v_cndmask_b32_e64 v3, v3, v4, s2
	s_delay_alu instid0(VALU_DEP_3) | instskip(NEXT) | instid1(VALU_DEP_1)
	v_cmp_lt_f32_e64 s2, 0, v7
	v_cndmask_b32_e64 v3, v3, v5, s2
	v_add_co_u32 v1, s2, s4, v1
	s_delay_alu instid0(VALU_DEP_2) | instskip(NEXT) | instid1(VALU_DEP_1)
	v_mul_f32_e32 v4, 0x37800000, v3
	v_cndmask_b32_e32 v3, v3, v4, vcc_lo
	v_cmp_class_f32_e64 vcc_lo, v2, 0x260
	s_delay_alu instid0(VALU_DEP_2) | instskip(SKIP_2) | instid1(VALU_DEP_2)
	v_dual_cndmask_b32 v4, v3, v2 :: v_dual_lshlrev_b32 v3, 2, v0
	v_add_co_ci_u32_e64 v2, null, s5, 0, s2
	s_and_b32 vcc_lo, exec_lo, s3
	v_mov_b32_e32 v6, v4
	s_cbranch_vccz .LBB225_2
; %bb.1:
	global_load_b32 v5, v3, s[6:7]
	s_waitcnt vmcnt(0)
	v_add_f32_e32 v6, v4, v5
.LBB225_2:
	global_load_u16 v1, v[1:2], off offset:64
	s_waitcnt vmcnt(0)
	v_lshlrev_b32_e32 v1, 16, v1
	s_delay_alu instid0(VALU_DEP_1) | instskip(NEXT) | instid1(VALU_DEP_1)
	v_mul_f32_e32 v2, 0x3fb8aa3b, v1
	v_cmp_gt_f32_e32 vcc_lo, 0xc2fc0000, v2
	v_cndmask_b32_e64 v2, 0, 0x42800000, vcc_lo
	v_cndmask_b32_e64 v5, 1.0, 0x1f800000, vcc_lo
	s_delay_alu instid0(VALU_DEP_2) | instskip(NEXT) | instid1(VALU_DEP_1)
	v_fmac_f32_e32 v2, 0x3fb8aa3b, v1
	v_exp_f32_e32 v2, v2
	s_waitcnt_depctr 0xfff
	v_fma_f32 v2, v2, v5, 1.0
	s_delay_alu instid0(VALU_DEP_1) | instskip(SKIP_1) | instid1(VALU_DEP_1)
	v_cmp_gt_f32_e32 vcc_lo, 0x800000, v2
	v_cndmask_b32_e64 v5, 1.0, 0x4f800000, vcc_lo
	v_mul_f32_e32 v2, v2, v5
	v_cndmask_b32_e64 v5, 0, 0x42000000, vcc_lo
	s_delay_alu instid0(VALU_DEP_2) | instskip(SKIP_2) | instid1(VALU_DEP_1)
	v_log_f32_e32 v2, v2
	s_waitcnt_depctr 0xfff
	v_sub_f32_e32 v2, v2, v5
	v_mul_f32_e32 v2, 0x3f317218, v2
	v_cmp_lt_f32_e32 vcc_lo, 0x41a00000, v1
	s_delay_alu instid0(VALU_DEP_2) | instskip(NEXT) | instid1(VALU_DEP_1)
	v_cndmask_b32_e32 v1, v2, v1, vcc_lo
	v_mul_f32_e32 v2, 0x4f800000, v1
	v_cmp_gt_f32_e32 vcc_lo, 0xf800000, v1
	s_delay_alu instid0(VALU_DEP_2) | instskip(NEXT) | instid1(VALU_DEP_1)
	v_cndmask_b32_e32 v1, v1, v2, vcc_lo
	v_sqrt_f32_e32 v2, v1
	s_waitcnt_depctr 0xfff
	v_add_nc_u32_e32 v5, -1, v2
	v_add_nc_u32_e32 v7, 1, v2
	s_delay_alu instid0(VALU_DEP_2) | instskip(NEXT) | instid1(VALU_DEP_2)
	v_fma_f32 v8, -v5, v2, v1
	v_fma_f32 v9, -v7, v2, v1
	s_delay_alu instid0(VALU_DEP_2) | instskip(NEXT) | instid1(VALU_DEP_1)
	v_cmp_ge_f32_e64 s2, 0, v8
	v_cndmask_b32_e64 v2, v2, v5, s2
	s_delay_alu instid0(VALU_DEP_3) | instskip(NEXT) | instid1(VALU_DEP_1)
	v_cmp_lt_f32_e64 s2, 0, v9
	v_cndmask_b32_e64 v2, v2, v7, s2
	s_delay_alu instid0(VALU_DEP_1) | instskip(NEXT) | instid1(VALU_DEP_1)
	v_mul_f32_e32 v5, 0x37800000, v2
	v_cndmask_b32_e32 v2, v2, v5, vcc_lo
	v_cmp_class_f32_e64 vcc_lo, v1, 0x260
	s_delay_alu instid0(VALU_DEP_2) | instskip(SKIP_1) | instid1(VALU_DEP_1)
	v_cndmask_b32_e32 v11, v2, v1, vcc_lo
	s_and_not1_b32 vcc_lo, exec_lo, s3
	v_mov_b32_e32 v10, v11
	s_cbranch_vccnz .LBB225_4
; %bb.3:
	global_load_b32 v1, v3, s[6:7] offset:128
	s_waitcnt vmcnt(0)
	v_add_f32_e32 v10, v11, v1
.LBB225_4:
	s_clause 0x1
	s_load_b32 s8, s[0:1], 0x28
	s_load_b128 s[4:7], s[0:1], 0x10
	v_dual_mov_b32 v5, 0 :: v_dual_mov_b32 v2, 0
	v_mov_b32_e32 v1, 0
	s_waitcnt lgkmcnt(0)
	s_cmp_gt_i32 s8, 0
	s_cbranch_scc0 .LBB225_7
; %bb.5:
	v_cmp_lt_f32_e32 vcc_lo, v6, v10
	v_add_nc_u32_e32 v1, 32, v0
	s_mov_b32 s9, 0x76543210
	s_mov_b32 s10, s8
	v_mov_b32_e32 v5, 0
	v_cndmask_b32_e32 v9, v10, v6, vcc_lo
	v_cndmask_b32_e32 v6, v6, v10, vcc_lo
	;; [unrolled: 1-line block ×3, first 2 shown]
	v_dual_cndmask_b32 v7, v1, v0 :: v_dual_cndmask_b32 v8, v0, v1
	v_dual_cndmask_b32 v4, v4, v11 :: v_dual_mov_b32 v11, 0
	v_dual_mov_b32 v12, v0 :: v_dual_mov_b32 v1, 0
	v_mov_b32_e32 v2, 0
.LBB225_6:                              ; =>This Inner Loop Header: Depth=1
	s_delay_alu instid0(VALU_DEP_3) | instskip(SKIP_2) | instid1(VALU_DEP_1)
	v_cmp_eq_u32_e32 vcc_lo, 1, v11
	v_cmp_gt_u32_e64 s2, 2, v11
	v_dual_cndmask_b32 v13, v6, v9 :: v_dual_cndmask_b32 v14, v8, v7
	v_cndmask_b32_e64 v13, 0xff800000, v13, s2
	;;#ASMSTART
	v_max_f32 v16, v13, v13 quad_perm:[1,0,3,2] row_mask:0xf bank_mask:0xf bound_ctrl:1
	;;#ASMEND
	;;#ASMSTART
	v_max_f32 v17, v16, v16 quad_perm:[2,3,0,1] row_mask:0xf bank_mask:0xf bound_ctrl:1
	;;#ASMEND
	;;#ASMSTART
	v_max_f32 v16, v17, v17 row_half_mirror row_mask:0xf bank_mask:0xf bound_ctrl:1
	;;#ASMEND
	;;#ASMSTART
	v_max_f32 v17, v16, v16 row_mirror row_mask:0xf bank_mask:0xf bound_ctrl:1
	;;#ASMEND
	v_permlanex16_b32 v16, v17, s9, 0xfedcba98 op_sel:[1,1]
	v_max_f32_e32 v17, v17, v17
	v_cndmask_b32_e64 v15, 0, v14, s2
	s_delay_alu instid0(VALU_DEP_3) | instskip(NEXT) | instid1(VALU_DEP_1)
	v_max_f32_e32 v16, v16, v16
	v_max_f32_e32 v16, v17, v16
	s_delay_alu instid0(VALU_DEP_1) | instskip(SKIP_1) | instid1(VALU_DEP_2)
	v_cmp_eq_f32_e64 s3, v13, v16
	v_cndmask_b32_e32 v13, v4, v10, vcc_lo
	s_ctz_i32_b32 s11, s3
	s_cmp_lg_u32 s3, 0
	s_cselect_b32 s3, s11, 0
	s_add_i32 s10, s10, -1
	v_readlane_b32 s3, v15, s3
	s_delay_alu instid0(VALU_DEP_1)
	v_cmp_eq_u32_e32 vcc_lo, s3, v14
	s_and_b32 vcc_lo, s2, vcc_lo
	s_and_b32 s2, s3, 31
	v_cndmask_b32_e32 v13, 0, v13, vcc_lo
	v_add_co_ci_u32_e32 v11, vcc_lo, 0, v11, vcc_lo
	s_cmp_eq_u32 s10, 0
	s_delay_alu instid0(VALU_DEP_2) | instskip(SKIP_1) | instid1(VALU_DEP_2)
	v_readlane_b32 s11, v13, s2
	v_cmp_eq_u32_e64 s2, 0, v12
	v_dual_add_f32 v5, s11, v5 :: v_dual_add_nc_u32 v12, -1, v12
	s_delay_alu instid0(VALU_DEP_2)
	v_cndmask_b32_e64 v2, v2, s11, s2
	v_cndmask_b32_e64 v1, v1, s3, s2
	s_cbranch_scc0 .LBB225_6
.LBB225_7:
	s_mov_b32 s2, exec_lo
	v_cmpx_gt_i32_e64 s8, v0
	s_cbranch_execz .LBB225_9
; %bb.8:
	s_load_b32 s2, s[0:1], 0x30
	v_max_f32_e32 v0, v5, v5
	s_load_b64 s[0:1], s[0:1], 0x20
	s_ashr_i32 s3, s15, 31
	s_delay_alu instid0(VALU_DEP_1) | instskip(SKIP_1) | instid1(VALU_DEP_1)
	v_max_f32_e32 v0, 0x1e3ce508, v0
	s_waitcnt lgkmcnt(0)
	v_div_scale_f32 v4, null, v0, v0, s2
	s_mul_i32 s1, s15, s1
	s_mul_hi_u32 s8, s15, s0
	s_mul_i32 s3, s3, s0
	s_delay_alu instid0(VALU_DEP_1) | instskip(SKIP_3) | instid1(SALU_CYCLE_1)
	v_rcp_f32_e32 v5, v4
	s_add_i32 s1, s8, s1
	s_mul_i32 s0, s15, s0
	s_add_i32 s1, s1, s3
	s_lshl_b64 s[0:1], s[0:1], 2
	s_waitcnt_depctr 0xfff
	v_fma_f32 v6, -v4, v5, 1.0
	s_delay_alu instid0(VALU_DEP_1) | instskip(SKIP_1) | instid1(VALU_DEP_1)
	v_fmac_f32_e32 v5, v6, v5
	v_div_scale_f32 v7, vcc_lo, s2, v0, s2
	v_mul_f32_e32 v6, v7, v5
	s_delay_alu instid0(VALU_DEP_1) | instskip(NEXT) | instid1(VALU_DEP_1)
	v_fma_f32 v8, -v4, v6, v7
	v_fmac_f32_e32 v6, v8, v5
	s_delay_alu instid0(VALU_DEP_1) | instskip(NEXT) | instid1(VALU_DEP_1)
	v_fma_f32 v4, -v4, v6, v7
	v_div_fmas_f32 v4, v4, v5, v6
	s_delay_alu instid0(VALU_DEP_1)
	v_div_fixup_f32 v0, v4, v0, s2
	s_add_u32 s2, s4, s0
	s_addc_u32 s3, s5, s1
	s_add_u32 s0, s6, s0
	s_addc_u32 s1, s7, s1
	v_mul_f32_e32 v0, v2, v0
	s_clause 0x1
	global_store_b32 v3, v0, s[2:3]
	global_store_b32 v3, v1, s[0:1]
.LBB225_9:
	s_nop 0
	s_sendmsg sendmsg(MSG_DEALLOC_VGPRS)
	s_endpgm
	.section	.rodata,"a",@progbits
	.p2align	6, 0x0
	.amdhsa_kernel _ZN5aiter24topk_softplus_kernel_optI12hip_bfloat16fLi64ELb1ELi0EEEvPKT_PKT0_PfPimiif
		.amdhsa_group_segment_fixed_size 0
		.amdhsa_private_segment_fixed_size 0
		.amdhsa_kernarg_size 52
		.amdhsa_user_sgpr_count 15
		.amdhsa_user_sgpr_dispatch_ptr 0
		.amdhsa_user_sgpr_queue_ptr 0
		.amdhsa_user_sgpr_kernarg_segment_ptr 1
		.amdhsa_user_sgpr_dispatch_id 0
		.amdhsa_user_sgpr_private_segment_size 0
		.amdhsa_wavefront_size32 1
		.amdhsa_uses_dynamic_stack 0
		.amdhsa_enable_private_segment 0
		.amdhsa_system_sgpr_workgroup_id_x 1
		.amdhsa_system_sgpr_workgroup_id_y 0
		.amdhsa_system_sgpr_workgroup_id_z 0
		.amdhsa_system_sgpr_workgroup_info 0
		.amdhsa_system_vgpr_workitem_id 0
		.amdhsa_next_free_vgpr 18
		.amdhsa_next_free_sgpr 16
		.amdhsa_reserve_vcc 1
		.amdhsa_float_round_mode_32 0
		.amdhsa_float_round_mode_16_64 0
		.amdhsa_float_denorm_mode_32 3
		.amdhsa_float_denorm_mode_16_64 3
		.amdhsa_dx10_clamp 1
		.amdhsa_ieee_mode 1
		.amdhsa_fp16_overflow 0
		.amdhsa_workgroup_processor_mode 1
		.amdhsa_memory_ordered 1
		.amdhsa_forward_progress 0
		.amdhsa_shared_vgpr_count 0
		.amdhsa_exception_fp_ieee_invalid_op 0
		.amdhsa_exception_fp_denorm_src 0
		.amdhsa_exception_fp_ieee_div_zero 0
		.amdhsa_exception_fp_ieee_overflow 0
		.amdhsa_exception_fp_ieee_underflow 0
		.amdhsa_exception_fp_ieee_inexact 0
		.amdhsa_exception_int_div_zero 0
	.end_amdhsa_kernel
	.section	.text._ZN5aiter24topk_softplus_kernel_optI12hip_bfloat16fLi64ELb1ELi0EEEvPKT_PKT0_PfPimiif,"axG",@progbits,_ZN5aiter24topk_softplus_kernel_optI12hip_bfloat16fLi64ELb1ELi0EEEvPKT_PKT0_PfPimiif,comdat
.Lfunc_end225:
	.size	_ZN5aiter24topk_softplus_kernel_optI12hip_bfloat16fLi64ELb1ELi0EEEvPKT_PKT0_PfPimiif, .Lfunc_end225-_ZN5aiter24topk_softplus_kernel_optI12hip_bfloat16fLi64ELb1ELi0EEEvPKT_PKT0_PfPimiif
                                        ; -- End function
	.section	.AMDGPU.csdata,"",@progbits
; Kernel info:
; codeLenInByte = 1344
; NumSgprs: 18
; NumVgprs: 18
; ScratchSize: 0
; MemoryBound: 0
; FloatMode: 240
; IeeeMode: 1
; LDSByteSize: 0 bytes/workgroup (compile time only)
; SGPRBlocks: 2
; VGPRBlocks: 2
; NumSGPRsForWavesPerEU: 18
; NumVGPRsForWavesPerEU: 18
; Occupancy: 16
; WaveLimiterHint : 0
; COMPUTE_PGM_RSRC2:SCRATCH_EN: 0
; COMPUTE_PGM_RSRC2:USER_SGPR: 15
; COMPUTE_PGM_RSRC2:TRAP_HANDLER: 0
; COMPUTE_PGM_RSRC2:TGID_X_EN: 1
; COMPUTE_PGM_RSRC2:TGID_Y_EN: 0
; COMPUTE_PGM_RSRC2:TGID_Z_EN: 0
; COMPUTE_PGM_RSRC2:TIDIG_COMP_CNT: 0
	.section	.text._ZN5aiter24topk_softplus_kernel_optI12hip_bfloat16fLi64ELb0ELi0EEEvPKT_PKT0_PfPimiif,"axG",@progbits,_ZN5aiter24topk_softplus_kernel_optI12hip_bfloat16fLi64ELb0ELi0EEEvPKT_PKT0_PfPimiif,comdat
	.protected	_ZN5aiter24topk_softplus_kernel_optI12hip_bfloat16fLi64ELb0ELi0EEEvPKT_PKT0_PfPimiif ; -- Begin function _ZN5aiter24topk_softplus_kernel_optI12hip_bfloat16fLi64ELb0ELi0EEEvPKT_PKT0_PfPimiif
	.globl	_ZN5aiter24topk_softplus_kernel_optI12hip_bfloat16fLi64ELb0ELi0EEEvPKT_PKT0_PfPimiif
	.p2align	8
	.type	_ZN5aiter24topk_softplus_kernel_optI12hip_bfloat16fLi64ELb0ELi0EEEvPKT_PKT0_PfPimiif,@function
_ZN5aiter24topk_softplus_kernel_optI12hip_bfloat16fLi64ELb0ELi0EEEvPKT_PKT0_PfPimiif: ; @_ZN5aiter24topk_softplus_kernel_optI12hip_bfloat16fLi64ELb0ELi0EEEvPKT_PKT0_PfPimiif
; %bb.0:
	s_load_b128 s[4:7], s[0:1], 0x0
	s_lshl_b32 s2, s15, 6
	v_lshlrev_b32_e32 v1, 1, v0
	s_ashr_i32 s3, s2, 31
	s_delay_alu instid0(SALU_CYCLE_1)
	s_lshl_b64 s[2:3], s[2:3], 1
	s_waitcnt lgkmcnt(0)
	s_add_u32 s4, s4, s2
	s_addc_u32 s5, s5, s3
	s_cmp_lg_u64 s[6:7], 0
	global_load_u16 v2, v1, s[4:5]
	s_cselect_b32 s3, -1, 0
	s_waitcnt vmcnt(0)
	v_lshlrev_b32_e32 v2, 16, v2
	s_delay_alu instid0(VALU_DEP_1) | instskip(NEXT) | instid1(VALU_DEP_1)
	v_mul_f32_e32 v3, 0x3fb8aa3b, v2
	v_cmp_gt_f32_e32 vcc_lo, 0xc2fc0000, v3
	v_cndmask_b32_e64 v3, 0, 0x42800000, vcc_lo
	v_cndmask_b32_e64 v4, 1.0, 0x1f800000, vcc_lo
	s_delay_alu instid0(VALU_DEP_2) | instskip(NEXT) | instid1(VALU_DEP_1)
	v_fmac_f32_e32 v3, 0x3fb8aa3b, v2
	v_exp_f32_e32 v3, v3
	s_waitcnt_depctr 0xfff
	v_fma_f32 v3, v3, v4, 1.0
	s_delay_alu instid0(VALU_DEP_1) | instskip(SKIP_1) | instid1(VALU_DEP_1)
	v_cmp_gt_f32_e32 vcc_lo, 0x800000, v3
	v_cndmask_b32_e64 v4, 1.0, 0x4f800000, vcc_lo
	v_mul_f32_e32 v3, v3, v4
	v_cndmask_b32_e64 v4, 0, 0x42000000, vcc_lo
	v_cmp_lt_f32_e32 vcc_lo, 0x41a00000, v2
	s_delay_alu instid0(VALU_DEP_3) | instskip(SKIP_2) | instid1(VALU_DEP_1)
	v_log_f32_e32 v3, v3
	s_waitcnt_depctr 0xfff
	v_sub_f32_e32 v3, v3, v4
	v_mul_f32_e32 v3, 0x3f317218, v3
	s_delay_alu instid0(VALU_DEP_1) | instskip(NEXT) | instid1(VALU_DEP_1)
	v_cndmask_b32_e32 v2, v3, v2, vcc_lo
	v_mul_f32_e32 v3, 0x4f800000, v2
	v_cmp_gt_f32_e32 vcc_lo, 0xf800000, v2
	s_delay_alu instid0(VALU_DEP_2) | instskip(NEXT) | instid1(VALU_DEP_1)
	v_cndmask_b32_e32 v2, v2, v3, vcc_lo
	v_sqrt_f32_e32 v3, v2
	s_waitcnt_depctr 0xfff
	v_add_nc_u32_e32 v4, -1, v3
	v_add_nc_u32_e32 v5, 1, v3
	s_delay_alu instid0(VALU_DEP_2) | instskip(NEXT) | instid1(VALU_DEP_2)
	v_fma_f32 v6, -v4, v3, v2
	v_fma_f32 v7, -v5, v3, v2
	s_delay_alu instid0(VALU_DEP_2) | instskip(NEXT) | instid1(VALU_DEP_1)
	v_cmp_ge_f32_e64 s2, 0, v6
	v_cndmask_b32_e64 v3, v3, v4, s2
	s_delay_alu instid0(VALU_DEP_3) | instskip(NEXT) | instid1(VALU_DEP_1)
	v_cmp_lt_f32_e64 s2, 0, v7
	v_cndmask_b32_e64 v3, v3, v5, s2
	v_add_co_u32 v1, s2, s4, v1
	s_delay_alu instid0(VALU_DEP_2) | instskip(NEXT) | instid1(VALU_DEP_1)
	v_mul_f32_e32 v4, 0x37800000, v3
	v_cndmask_b32_e32 v3, v3, v4, vcc_lo
	v_cmp_class_f32_e64 vcc_lo, v2, 0x260
	s_delay_alu instid0(VALU_DEP_2) | instskip(SKIP_2) | instid1(VALU_DEP_2)
	v_dual_cndmask_b32 v4, v3, v2 :: v_dual_lshlrev_b32 v3, 2, v0
	v_add_co_ci_u32_e64 v2, null, s5, 0, s2
	s_and_b32 vcc_lo, exec_lo, s3
	v_mov_b32_e32 v5, v4
	s_cbranch_vccz .LBB226_2
; %bb.1:
	global_load_b32 v5, v3, s[6:7]
	s_waitcnt vmcnt(0)
	v_add_f32_e32 v5, v4, v5
.LBB226_2:
	global_load_u16 v1, v[1:2], off offset:64
	s_waitcnt vmcnt(0)
	v_lshlrev_b32_e32 v1, 16, v1
	s_delay_alu instid0(VALU_DEP_1) | instskip(NEXT) | instid1(VALU_DEP_1)
	v_mul_f32_e32 v2, 0x3fb8aa3b, v1
	v_cmp_gt_f32_e32 vcc_lo, 0xc2fc0000, v2
	v_cndmask_b32_e64 v2, 0, 0x42800000, vcc_lo
	v_cndmask_b32_e64 v6, 1.0, 0x1f800000, vcc_lo
	s_delay_alu instid0(VALU_DEP_2) | instskip(NEXT) | instid1(VALU_DEP_1)
	v_fmac_f32_e32 v2, 0x3fb8aa3b, v1
	v_exp_f32_e32 v2, v2
	s_waitcnt_depctr 0xfff
	v_fma_f32 v2, v2, v6, 1.0
	s_delay_alu instid0(VALU_DEP_1) | instskip(SKIP_1) | instid1(VALU_DEP_1)
	v_cmp_gt_f32_e32 vcc_lo, 0x800000, v2
	v_cndmask_b32_e64 v6, 1.0, 0x4f800000, vcc_lo
	v_mul_f32_e32 v2, v2, v6
	v_cndmask_b32_e64 v6, 0, 0x42000000, vcc_lo
	v_cmp_lt_f32_e32 vcc_lo, 0x41a00000, v1
	s_delay_alu instid0(VALU_DEP_3) | instskip(SKIP_2) | instid1(VALU_DEP_1)
	v_log_f32_e32 v2, v2
	s_waitcnt_depctr 0xfff
	v_sub_f32_e32 v2, v2, v6
	v_mul_f32_e32 v2, 0x3f317218, v2
	s_delay_alu instid0(VALU_DEP_1) | instskip(NEXT) | instid1(VALU_DEP_1)
	v_cndmask_b32_e32 v1, v2, v1, vcc_lo
	v_mul_f32_e32 v2, 0x4f800000, v1
	v_cmp_gt_f32_e32 vcc_lo, 0xf800000, v1
	s_delay_alu instid0(VALU_DEP_2) | instskip(NEXT) | instid1(VALU_DEP_1)
	v_cndmask_b32_e32 v1, v1, v2, vcc_lo
	v_sqrt_f32_e32 v2, v1
	s_waitcnt_depctr 0xfff
	v_add_nc_u32_e32 v6, -1, v2
	v_add_nc_u32_e32 v7, 1, v2
	s_delay_alu instid0(VALU_DEP_2) | instskip(NEXT) | instid1(VALU_DEP_2)
	v_fma_f32 v8, -v6, v2, v1
	v_fma_f32 v9, -v7, v2, v1
	s_delay_alu instid0(VALU_DEP_2) | instskip(NEXT) | instid1(VALU_DEP_1)
	v_cmp_ge_f32_e64 s2, 0, v8
	v_cndmask_b32_e64 v2, v2, v6, s2
	s_delay_alu instid0(VALU_DEP_3) | instskip(NEXT) | instid1(VALU_DEP_1)
	v_cmp_lt_f32_e64 s2, 0, v9
	v_cndmask_b32_e64 v2, v2, v7, s2
	s_delay_alu instid0(VALU_DEP_1) | instskip(NEXT) | instid1(VALU_DEP_1)
	v_mul_f32_e32 v6, 0x37800000, v2
	v_cndmask_b32_e32 v2, v2, v6, vcc_lo
	v_cmp_class_f32_e64 vcc_lo, v1, 0x260
	s_delay_alu instid0(VALU_DEP_2) | instskip(SKIP_1) | instid1(VALU_DEP_1)
	v_cndmask_b32_e32 v2, v2, v1, vcc_lo
	s_and_not1_b32 vcc_lo, exec_lo, s3
	v_mov_b32_e32 v9, v2
	s_cbranch_vccnz .LBB226_4
; %bb.3:
	global_load_b32 v1, v3, s[6:7] offset:128
	s_waitcnt vmcnt(0)
	v_add_f32_e32 v9, v2, v1
.LBB226_4:
	s_clause 0x1
	s_load_b32 s8, s[0:1], 0x28
	s_load_b128 s[4:7], s[0:1], 0x10
	v_mov_b32_e32 v1, 0
	s_waitcnt lgkmcnt(0)
	s_cmp_gt_i32 s8, 0
	s_cbranch_scc0 .LBB226_10
; %bb.5:
	v_cmp_lt_f32_e32 vcc_lo, v5, v9
	v_add_nc_u32_e32 v1, 32, v0
	s_mov_b32 s9, 0x76543210
	s_mov_b32 s10, s8
	v_mov_b32_e32 v10, 0
	v_cndmask_b32_e32 v8, v9, v5, vcc_lo
	v_dual_cndmask_b32 v6, v1, v0 :: v_dual_cndmask_b32 v7, v0, v1
	v_cndmask_b32_e32 v5, v5, v9, vcc_lo
	v_dual_cndmask_b32 v9, v2, v4 :: v_dual_cndmask_b32 v4, v4, v2
	v_dual_mov_b32 v2, 0 :: v_dual_mov_b32 v11, v0
	v_mov_b32_e32 v1, 0
.LBB226_6:                              ; =>This Inner Loop Header: Depth=1
	v_cmp_eq_u32_e32 vcc_lo, 1, v10
	v_cmp_gt_u32_e64 s2, 2, v10
	v_cndmask_b32_e32 v12, v5, v8, vcc_lo
	s_delay_alu instid0(VALU_DEP_1)
	v_cndmask_b32_e64 v12, 0xff800000, v12, s2
	;;#ASMSTART
	v_max_f32 v13, v12, v12 quad_perm:[1,0,3,2] row_mask:0xf bank_mask:0xf bound_ctrl:1
	;;#ASMEND
	;;#ASMSTART
	v_max_f32 v14, v13, v13 quad_perm:[2,3,0,1] row_mask:0xf bank_mask:0xf bound_ctrl:1
	;;#ASMEND
	;;#ASMSTART
	v_max_f32 v13, v14, v14 row_half_mirror row_mask:0xf bank_mask:0xf bound_ctrl:1
	;;#ASMEND
	;;#ASMSTART
	v_max_f32 v14, v13, v13 row_mirror row_mask:0xf bank_mask:0xf bound_ctrl:1
	;;#ASMEND
	v_permlanex16_b32 v13, v14, s9, 0xfedcba98 op_sel:[1,1]
	s_delay_alu instid0(VALU_DEP_1) | instskip(NEXT) | instid1(VALU_DEP_1)
	v_dual_max_f32 v14, v14, v14 :: v_dual_max_f32 v13, v13, v13
	v_dual_max_f32 v13, v14, v13 :: v_dual_cndmask_b32 v14, v7, v6
	s_delay_alu instid0(VALU_DEP_1) | instskip(NEXT) | instid1(VALU_DEP_2)
	v_cmp_eq_f32_e64 s3, v12, v13
	v_cndmask_b32_e64 v12, 0, v14, s2
	s_delay_alu instid0(VALU_DEP_2)
	s_ctz_i32_b32 s11, s3
	s_cmp_lg_u32 s3, 0
	s_cselect_b32 s3, s11, 0
	s_add_i32 s10, s10, -1
	v_readlane_b32 s3, v12, s3
	v_cndmask_b32_e32 v12, v4, v9, vcc_lo
	s_delay_alu instid0(VALU_DEP_2) | instskip(SKIP_2) | instid1(VALU_DEP_2)
	v_cmp_eq_u32_e32 vcc_lo, s3, v14
	s_and_b32 vcc_lo, s2, vcc_lo
	s_and_b32 s2, s3, 31
	v_cndmask_b32_e32 v12, 0, v12, vcc_lo
	v_add_co_ci_u32_e32 v10, vcc_lo, 0, v10, vcc_lo
	s_cmp_eq_u32 s10, 0
	s_delay_alu instid0(VALU_DEP_2) | instskip(SKIP_2) | instid1(VALU_DEP_2)
	v_readlane_b32 s11, v12, s2
	v_cmp_eq_u32_e64 s2, 0, v11
	v_add_nc_u32_e32 v11, -1, v11
	v_cndmask_b32_e64 v2, v2, s11, s2
	v_cndmask_b32_e64 v1, v1, s3, s2
	s_cbranch_scc0 .LBB226_6
; %bb.7:
	s_mov_b32 s2, exec_lo
	v_cmpx_gt_i32_e64 s8, v0
	s_cbranch_execz .LBB226_9
.LBB226_8:
	s_clause 0x1
	s_load_b64 s[2:3], s[0:1], 0x20
	s_load_b32 s8, s[0:1], 0x30
	s_ashr_i32 s0, s15, 31
	s_waitcnt lgkmcnt(0)
	s_mul_i32 s1, s15, s3
	s_mul_hi_u32 s3, s15, s2
	s_mul_i32 s0, s0, s2
	s_add_i32 s1, s3, s1
	v_mul_f32_e32 v0, s8, v2
	s_add_i32 s1, s1, s0
	s_mul_i32 s0, s15, s2
	s_delay_alu instid0(SALU_CYCLE_1) | instskip(NEXT) | instid1(SALU_CYCLE_1)
	s_lshl_b64 s[0:1], s[0:1], 2
	s_add_u32 s2, s4, s0
	s_addc_u32 s3, s5, s1
	s_add_u32 s0, s6, s0
	s_addc_u32 s1, s7, s1
	s_clause 0x1
	global_store_b32 v3, v0, s[2:3]
	global_store_b32 v3, v1, s[0:1]
.LBB226_9:
	s_nop 0
	s_sendmsg sendmsg(MSG_DEALLOC_VGPRS)
	s_endpgm
.LBB226_10:
	v_mov_b32_e32 v2, 0
	s_mov_b32 s2, exec_lo
	v_cmpx_gt_i32_e64 s8, v0
	s_cbranch_execnz .LBB226_8
	s_branch .LBB226_9
	.section	.rodata,"a",@progbits
	.p2align	6, 0x0
	.amdhsa_kernel _ZN5aiter24topk_softplus_kernel_optI12hip_bfloat16fLi64ELb0ELi0EEEvPKT_PKT0_PfPimiif
		.amdhsa_group_segment_fixed_size 0
		.amdhsa_private_segment_fixed_size 0
		.amdhsa_kernarg_size 52
		.amdhsa_user_sgpr_count 15
		.amdhsa_user_sgpr_dispatch_ptr 0
		.amdhsa_user_sgpr_queue_ptr 0
		.amdhsa_user_sgpr_kernarg_segment_ptr 1
		.amdhsa_user_sgpr_dispatch_id 0
		.amdhsa_user_sgpr_private_segment_size 0
		.amdhsa_wavefront_size32 1
		.amdhsa_uses_dynamic_stack 0
		.amdhsa_enable_private_segment 0
		.amdhsa_system_sgpr_workgroup_id_x 1
		.amdhsa_system_sgpr_workgroup_id_y 0
		.amdhsa_system_sgpr_workgroup_id_z 0
		.amdhsa_system_sgpr_workgroup_info 0
		.amdhsa_system_vgpr_workitem_id 0
		.amdhsa_next_free_vgpr 15
		.amdhsa_next_free_sgpr 16
		.amdhsa_reserve_vcc 1
		.amdhsa_float_round_mode_32 0
		.amdhsa_float_round_mode_16_64 0
		.amdhsa_float_denorm_mode_32 3
		.amdhsa_float_denorm_mode_16_64 3
		.amdhsa_dx10_clamp 1
		.amdhsa_ieee_mode 1
		.amdhsa_fp16_overflow 0
		.amdhsa_workgroup_processor_mode 1
		.amdhsa_memory_ordered 1
		.amdhsa_forward_progress 0
		.amdhsa_shared_vgpr_count 0
		.amdhsa_exception_fp_ieee_invalid_op 0
		.amdhsa_exception_fp_denorm_src 0
		.amdhsa_exception_fp_ieee_div_zero 0
		.amdhsa_exception_fp_ieee_overflow 0
		.amdhsa_exception_fp_ieee_underflow 0
		.amdhsa_exception_fp_ieee_inexact 0
		.amdhsa_exception_int_div_zero 0
	.end_amdhsa_kernel
	.section	.text._ZN5aiter24topk_softplus_kernel_optI12hip_bfloat16fLi64ELb0ELi0EEEvPKT_PKT0_PfPimiif,"axG",@progbits,_ZN5aiter24topk_softplus_kernel_optI12hip_bfloat16fLi64ELb0ELi0EEEvPKT_PKT0_PfPimiif,comdat
.Lfunc_end226:
	.size	_ZN5aiter24topk_softplus_kernel_optI12hip_bfloat16fLi64ELb0ELi0EEEvPKT_PKT0_PfPimiif, .Lfunc_end226-_ZN5aiter24topk_softplus_kernel_optI12hip_bfloat16fLi64ELb0ELi0EEEvPKT_PKT0_PfPimiif
                                        ; -- End function
	.section	.AMDGPU.csdata,"",@progbits
; Kernel info:
; codeLenInByte = 1248
; NumSgprs: 18
; NumVgprs: 15
; ScratchSize: 0
; MemoryBound: 0
; FloatMode: 240
; IeeeMode: 1
; LDSByteSize: 0 bytes/workgroup (compile time only)
; SGPRBlocks: 2
; VGPRBlocks: 1
; NumSGPRsForWavesPerEU: 18
; NumVGPRsForWavesPerEU: 15
; Occupancy: 16
; WaveLimiterHint : 0
; COMPUTE_PGM_RSRC2:SCRATCH_EN: 0
; COMPUTE_PGM_RSRC2:USER_SGPR: 15
; COMPUTE_PGM_RSRC2:TRAP_HANDLER: 0
; COMPUTE_PGM_RSRC2:TGID_X_EN: 1
; COMPUTE_PGM_RSRC2:TGID_Y_EN: 0
; COMPUTE_PGM_RSRC2:TGID_Z_EN: 0
; COMPUTE_PGM_RSRC2:TIDIG_COMP_CNT: 0
	.section	.text._ZN5aiter24topk_softplus_kernel_optI12hip_bfloat16fLi128ELb1ELi0EEEvPKT_PKT0_PfPimiif,"axG",@progbits,_ZN5aiter24topk_softplus_kernel_optI12hip_bfloat16fLi128ELb1ELi0EEEvPKT_PKT0_PfPimiif,comdat
	.protected	_ZN5aiter24topk_softplus_kernel_optI12hip_bfloat16fLi128ELb1ELi0EEEvPKT_PKT0_PfPimiif ; -- Begin function _ZN5aiter24topk_softplus_kernel_optI12hip_bfloat16fLi128ELb1ELi0EEEvPKT_PKT0_PfPimiif
	.globl	_ZN5aiter24topk_softplus_kernel_optI12hip_bfloat16fLi128ELb1ELi0EEEvPKT_PKT0_PfPimiif
	.p2align	8
	.type	_ZN5aiter24topk_softplus_kernel_optI12hip_bfloat16fLi128ELb1ELi0EEEvPKT_PKT0_PfPimiif,@function
_ZN5aiter24topk_softplus_kernel_optI12hip_bfloat16fLi128ELb1ELi0EEEvPKT_PKT0_PfPimiif: ; @_ZN5aiter24topk_softplus_kernel_optI12hip_bfloat16fLi128ELb1ELi0EEEvPKT_PKT0_PfPimiif
; %bb.0:
	s_load_b128 s[4:7], s[0:1], 0x0
	s_lshl_b32 s2, s15, 7
	v_lshlrev_b32_e32 v1, 1, v0
	s_ashr_i32 s3, s2, 31
	s_delay_alu instid0(SALU_CYCLE_1)
	s_lshl_b64 s[2:3], s[2:3], 1
	s_waitcnt lgkmcnt(0)
	s_add_u32 s4, s4, s2
	s_addc_u32 s5, s5, s3
	s_cmp_lg_u64 s[6:7], 0
	global_load_u16 v2, v1, s[4:5]
	s_cselect_b32 s3, -1, 0
	s_waitcnt vmcnt(0)
	v_lshlrev_b32_e32 v2, 16, v2
	s_delay_alu instid0(VALU_DEP_1) | instskip(NEXT) | instid1(VALU_DEP_1)
	v_mul_f32_e32 v3, 0x3fb8aa3b, v2
	v_cmp_gt_f32_e32 vcc_lo, 0xc2fc0000, v3
	v_cndmask_b32_e64 v3, 0, 0x42800000, vcc_lo
	v_cndmask_b32_e64 v4, 1.0, 0x1f800000, vcc_lo
	s_delay_alu instid0(VALU_DEP_2) | instskip(NEXT) | instid1(VALU_DEP_1)
	v_fmac_f32_e32 v3, 0x3fb8aa3b, v2
	v_exp_f32_e32 v3, v3
	s_waitcnt_depctr 0xfff
	v_fma_f32 v3, v3, v4, 1.0
	s_delay_alu instid0(VALU_DEP_1) | instskip(SKIP_1) | instid1(VALU_DEP_1)
	v_cmp_gt_f32_e32 vcc_lo, 0x800000, v3
	v_cndmask_b32_e64 v4, 1.0, 0x4f800000, vcc_lo
	v_mul_f32_e32 v3, v3, v4
	v_cndmask_b32_e64 v4, 0, 0x42000000, vcc_lo
	v_cmp_lt_f32_e32 vcc_lo, 0x41a00000, v2
	s_delay_alu instid0(VALU_DEP_3) | instskip(SKIP_2) | instid1(VALU_DEP_1)
	v_log_f32_e32 v3, v3
	s_waitcnt_depctr 0xfff
	v_sub_f32_e32 v3, v3, v4
	v_mul_f32_e32 v3, 0x3f317218, v3
	s_delay_alu instid0(VALU_DEP_1) | instskip(NEXT) | instid1(VALU_DEP_1)
	v_cndmask_b32_e32 v2, v3, v2, vcc_lo
	v_mul_f32_e32 v3, 0x4f800000, v2
	v_cmp_gt_f32_e32 vcc_lo, 0xf800000, v2
	s_delay_alu instid0(VALU_DEP_2) | instskip(NEXT) | instid1(VALU_DEP_1)
	v_cndmask_b32_e32 v2, v2, v3, vcc_lo
	v_sqrt_f32_e32 v3, v2
	s_waitcnt_depctr 0xfff
	v_add_nc_u32_e32 v4, -1, v3
	v_add_nc_u32_e32 v5, 1, v3
	s_delay_alu instid0(VALU_DEP_2) | instskip(NEXT) | instid1(VALU_DEP_2)
	v_fma_f32 v6, -v4, v3, v2
	v_fma_f32 v7, -v5, v3, v2
	s_delay_alu instid0(VALU_DEP_2) | instskip(NEXT) | instid1(VALU_DEP_1)
	v_cmp_ge_f32_e64 s2, 0, v6
	v_cndmask_b32_e64 v3, v3, v4, s2
	s_delay_alu instid0(VALU_DEP_3) | instskip(NEXT) | instid1(VALU_DEP_1)
	v_cmp_lt_f32_e64 s2, 0, v7
	v_cndmask_b32_e64 v3, v3, v5, s2
	v_add_co_u32 v1, s2, s4, v1
	s_delay_alu instid0(VALU_DEP_2) | instskip(NEXT) | instid1(VALU_DEP_1)
	v_mul_f32_e32 v4, 0x37800000, v3
	v_cndmask_b32_e32 v3, v3, v4, vcc_lo
	v_cmp_class_f32_e64 vcc_lo, v2, 0x260
	s_delay_alu instid0(VALU_DEP_2) | instskip(SKIP_3) | instid1(VALU_DEP_3)
	v_cndmask_b32_e32 v5, v3, v2, vcc_lo
	v_lshlrev_b32_e32 v3, 2, v0
	v_add_co_ci_u32_e64 v2, null, s5, 0, s2
	s_and_b32 vcc_lo, exec_lo, s3
	v_mov_b32_e32 v6, v5
	s_cbranch_vccz .LBB227_2
; %bb.1:
	global_load_b32 v4, v3, s[6:7]
	s_waitcnt vmcnt(0)
	v_add_f32_e32 v6, v5, v4
.LBB227_2:
	global_load_u16 v4, v[1:2], off offset:64
	s_waitcnt vmcnt(0)
	v_lshlrev_b32_e32 v4, 16, v4
	s_delay_alu instid0(VALU_DEP_1) | instskip(NEXT) | instid1(VALU_DEP_1)
	v_mul_f32_e32 v7, 0x3fb8aa3b, v4
	v_cmp_gt_f32_e32 vcc_lo, 0xc2fc0000, v7
	v_cndmask_b32_e64 v7, 0, 0x42800000, vcc_lo
	v_cndmask_b32_e64 v8, 1.0, 0x1f800000, vcc_lo
	s_delay_alu instid0(VALU_DEP_2) | instskip(NEXT) | instid1(VALU_DEP_1)
	v_fmac_f32_e32 v7, 0x3fb8aa3b, v4
	v_exp_f32_e32 v7, v7
	s_waitcnt_depctr 0xfff
	v_fma_f32 v7, v7, v8, 1.0
	s_delay_alu instid0(VALU_DEP_1) | instskip(SKIP_1) | instid1(VALU_DEP_1)
	v_cmp_gt_f32_e32 vcc_lo, 0x800000, v7
	v_cndmask_b32_e64 v8, 1.0, 0x4f800000, vcc_lo
	v_mul_f32_e32 v7, v7, v8
	v_cndmask_b32_e64 v8, 0, 0x42000000, vcc_lo
	s_delay_alu instid0(VALU_DEP_2) | instskip(SKIP_2) | instid1(VALU_DEP_1)
	v_log_f32_e32 v7, v7
	s_waitcnt_depctr 0xfff
	v_sub_f32_e32 v7, v7, v8
	v_mul_f32_e32 v7, 0x3f317218, v7
	v_cmp_lt_f32_e32 vcc_lo, 0x41a00000, v4
	s_delay_alu instid0(VALU_DEP_2) | instskip(NEXT) | instid1(VALU_DEP_1)
	v_cndmask_b32_e32 v4, v7, v4, vcc_lo
	v_mul_f32_e32 v7, 0x4f800000, v4
	v_cmp_gt_f32_e32 vcc_lo, 0xf800000, v4
	s_delay_alu instid0(VALU_DEP_2) | instskip(NEXT) | instid1(VALU_DEP_1)
	v_cndmask_b32_e32 v7, v4, v7, vcc_lo
	v_sqrt_f32_e32 v4, v7
	s_waitcnt_depctr 0xfff
	v_add_nc_u32_e32 v8, -1, v4
	v_add_nc_u32_e32 v9, 1, v4
	s_delay_alu instid0(VALU_DEP_2) | instskip(NEXT) | instid1(VALU_DEP_2)
	v_fma_f32 v10, -v8, v4, v7
	v_fma_f32 v11, -v9, v4, v7
	s_delay_alu instid0(VALU_DEP_2) | instskip(NEXT) | instid1(VALU_DEP_1)
	v_cmp_ge_f32_e64 s2, 0, v10
	v_cndmask_b32_e64 v4, v4, v8, s2
	s_delay_alu instid0(VALU_DEP_3) | instskip(NEXT) | instid1(VALU_DEP_1)
	v_cmp_lt_f32_e64 s2, 0, v11
	v_cndmask_b32_e64 v4, v4, v9, s2
	s_delay_alu instid0(VALU_DEP_1) | instskip(NEXT) | instid1(VALU_DEP_1)
	v_mul_f32_e32 v8, 0x37800000, v4
	v_cndmask_b32_e32 v8, v4, v8, vcc_lo
	v_cmp_class_f32_e64 vcc_lo, v7, 0x260
	v_cndmask_b32_e64 v4, 0, 1, s3
	s_delay_alu instid0(VALU_DEP_3) | instskip(SKIP_1) | instid1(VALU_DEP_1)
	v_cndmask_b32_e32 v9, v8, v7, vcc_lo
	s_and_not1_b32 vcc_lo, exec_lo, s3
	v_mov_b32_e32 v12, v9
	s_cbranch_vccnz .LBB227_4
; %bb.3:
	global_load_b32 v7, v3, s[6:7] offset:128
	s_waitcnt vmcnt(0)
	v_add_f32_e32 v12, v9, v7
.LBB227_4:
	global_load_u16 v7, v[1:2], off offset:128
	s_waitcnt vmcnt(0)
	v_lshlrev_b32_e32 v7, 16, v7
	s_delay_alu instid0(VALU_DEP_1) | instskip(NEXT) | instid1(VALU_DEP_1)
	v_mul_f32_e32 v8, 0x3fb8aa3b, v7
	v_cmp_gt_f32_e32 vcc_lo, 0xc2fc0000, v8
	v_cndmask_b32_e64 v8, 0, 0x42800000, vcc_lo
	v_cndmask_b32_e64 v10, 1.0, 0x1f800000, vcc_lo
	s_delay_alu instid0(VALU_DEP_2) | instskip(NEXT) | instid1(VALU_DEP_1)
	v_fmac_f32_e32 v8, 0x3fb8aa3b, v7
	v_exp_f32_e32 v8, v8
	s_waitcnt_depctr 0xfff
	v_fma_f32 v8, v8, v10, 1.0
	s_delay_alu instid0(VALU_DEP_1) | instskip(SKIP_1) | instid1(VALU_DEP_1)
	v_cmp_gt_f32_e32 vcc_lo, 0x800000, v8
	v_cndmask_b32_e64 v10, 1.0, 0x4f800000, vcc_lo
	v_mul_f32_e32 v8, v8, v10
	v_cndmask_b32_e64 v10, 0, 0x42000000, vcc_lo
	v_cmp_lt_f32_e32 vcc_lo, 0x41a00000, v7
	s_delay_alu instid0(VALU_DEP_3) | instskip(SKIP_2) | instid1(VALU_DEP_1)
	v_log_f32_e32 v8, v8
	s_waitcnt_depctr 0xfff
	v_sub_f32_e32 v8, v8, v10
	v_mul_f32_e32 v8, 0x3f317218, v8
	s_delay_alu instid0(VALU_DEP_1) | instskip(NEXT) | instid1(VALU_DEP_1)
	v_cndmask_b32_e32 v7, v8, v7, vcc_lo
	v_mul_f32_e32 v8, 0x4f800000, v7
	v_cmp_gt_f32_e32 vcc_lo, 0xf800000, v7
	s_delay_alu instid0(VALU_DEP_2) | instskip(NEXT) | instid1(VALU_DEP_1)
	v_cndmask_b32_e32 v7, v7, v8, vcc_lo
	v_sqrt_f32_e32 v8, v7
	s_waitcnt_depctr 0xfff
	v_add_nc_u32_e32 v10, -1, v8
	v_add_nc_u32_e32 v11, 1, v8
	s_delay_alu instid0(VALU_DEP_2) | instskip(NEXT) | instid1(VALU_DEP_2)
	v_fma_f32 v13, -v10, v8, v7
	v_fma_f32 v14, -v11, v8, v7
	s_delay_alu instid0(VALU_DEP_2) | instskip(NEXT) | instid1(VALU_DEP_1)
	v_cmp_ge_f32_e64 s2, 0, v13
	v_cndmask_b32_e64 v8, v8, v10, s2
	s_delay_alu instid0(VALU_DEP_3) | instskip(NEXT) | instid1(VALU_DEP_1)
	v_cmp_lt_f32_e64 s2, 0, v14
	v_cndmask_b32_e64 v8, v8, v11, s2
	s_delay_alu instid0(VALU_DEP_1) | instskip(NEXT) | instid1(VALU_DEP_1)
	v_mul_f32_e32 v10, 0x37800000, v8
	v_cndmask_b32_e32 v8, v8, v10, vcc_lo
	v_cmp_class_f32_e64 vcc_lo, v7, 0x260
	s_delay_alu instid0(VALU_DEP_2) | instskip(SKIP_1) | instid1(VALU_DEP_2)
	v_cndmask_b32_e32 v11, v8, v7, vcc_lo
	v_cmp_ne_u32_e32 vcc_lo, 1, v4
	v_mov_b32_e32 v7, v11
	s_cbranch_vccnz .LBB227_6
; %bb.5:
	global_load_b32 v7, v3, s[6:7] offset:256
	s_waitcnt vmcnt(0)
	v_add_f32_e32 v7, v11, v7
.LBB227_6:
	global_load_u16 v1, v[1:2], off offset:192
	s_waitcnt vmcnt(0)
	v_lshlrev_b32_e32 v1, 16, v1
	s_delay_alu instid0(VALU_DEP_1) | instskip(NEXT) | instid1(VALU_DEP_1)
	v_mul_f32_e32 v2, 0x3fb8aa3b, v1
	v_cmp_gt_f32_e32 vcc_lo, 0xc2fc0000, v2
	v_cndmask_b32_e64 v2, 0, 0x42800000, vcc_lo
	v_cndmask_b32_e64 v8, 1.0, 0x1f800000, vcc_lo
	s_delay_alu instid0(VALU_DEP_2) | instskip(NEXT) | instid1(VALU_DEP_1)
	v_fmac_f32_e32 v2, 0x3fb8aa3b, v1
	v_exp_f32_e32 v2, v2
	s_waitcnt_depctr 0xfff
	v_fma_f32 v2, v2, v8, 1.0
	s_delay_alu instid0(VALU_DEP_1) | instskip(SKIP_1) | instid1(VALU_DEP_1)
	v_cmp_gt_f32_e32 vcc_lo, 0x800000, v2
	v_cndmask_b32_e64 v8, 1.0, 0x4f800000, vcc_lo
	v_mul_f32_e32 v2, v2, v8
	v_cndmask_b32_e64 v8, 0, 0x42000000, vcc_lo
	v_cmp_lt_f32_e32 vcc_lo, 0x41a00000, v1
	s_delay_alu instid0(VALU_DEP_3) | instskip(SKIP_2) | instid1(VALU_DEP_1)
	v_log_f32_e32 v2, v2
	s_waitcnt_depctr 0xfff
	v_sub_f32_e32 v2, v2, v8
	v_mul_f32_e32 v2, 0x3f317218, v2
	s_delay_alu instid0(VALU_DEP_1) | instskip(NEXT) | instid1(VALU_DEP_1)
	v_cndmask_b32_e32 v1, v2, v1, vcc_lo
	v_mul_f32_e32 v2, 0x4f800000, v1
	v_cmp_gt_f32_e32 vcc_lo, 0xf800000, v1
	s_delay_alu instid0(VALU_DEP_2) | instskip(NEXT) | instid1(VALU_DEP_1)
	v_cndmask_b32_e32 v1, v1, v2, vcc_lo
	v_sqrt_f32_e32 v2, v1
	s_waitcnt_depctr 0xfff
	v_add_nc_u32_e32 v8, -1, v2
	v_add_nc_u32_e32 v10, 1, v2
	s_delay_alu instid0(VALU_DEP_2) | instskip(NEXT) | instid1(VALU_DEP_2)
	v_fma_f32 v13, -v8, v2, v1
	v_fma_f32 v14, -v10, v2, v1
	s_delay_alu instid0(VALU_DEP_2) | instskip(NEXT) | instid1(VALU_DEP_1)
	v_cmp_ge_f32_e64 s2, 0, v13
	v_cndmask_b32_e64 v2, v2, v8, s2
	s_delay_alu instid0(VALU_DEP_3) | instskip(NEXT) | instid1(VALU_DEP_1)
	v_cmp_lt_f32_e64 s2, 0, v14
	v_cndmask_b32_e64 v2, v2, v10, s2
	s_delay_alu instid0(VALU_DEP_1) | instskip(NEXT) | instid1(VALU_DEP_1)
	v_mul_f32_e32 v8, 0x37800000, v2
	v_cndmask_b32_e32 v2, v2, v8, vcc_lo
	v_cmp_class_f32_e64 vcc_lo, v1, 0x260
	s_delay_alu instid0(VALU_DEP_2) | instskip(SKIP_1) | instid1(VALU_DEP_2)
	v_cndmask_b32_e32 v1, v2, v1, vcc_lo
	v_cmp_ne_u32_e32 vcc_lo, 1, v4
	v_mov_b32_e32 v2, v1
	s_cbranch_vccnz .LBB227_8
; %bb.7:
	global_load_b32 v2, v3, s[6:7] offset:384
	s_waitcnt vmcnt(0)
	v_add_f32_e32 v2, v1, v2
.LBB227_8:
	v_cmp_lt_f32_e32 vcc_lo, v6, v12
	v_add_nc_u32_e32 v13, 32, v0
	v_add_nc_u32_e32 v4, 0x60, v0
	s_mov_b32 s2, exec_lo
	v_dual_mov_b32 v17, v7 :: v_dual_cndmask_b32 v8, v9, v5
	v_cndmask_b32_e32 v5, v5, v9, vcc_lo
	v_dual_cndmask_b32 v14, v0, v13 :: v_dual_add_nc_u32 v15, 64, v0
	v_dual_cndmask_b32 v10, v13, v0 :: v_dual_cndmask_b32 v9, v12, v6
	v_cndmask_b32_e32 v12, v6, v12, vcc_lo
	v_cmpx_lt_f32_e32 v7, v2
	s_xor_b32 s2, exec_lo, s2
; %bb.9:
	v_dual_mov_b32 v16, v7 :: v_dual_mov_b32 v17, v2
	v_dual_mov_b32 v6, v11 :: v_dual_mov_b32 v7, v2
	s_delay_alu instid0(VALU_DEP_2)
	v_dual_mov_b32 v13, v15 :: v_dual_mov_b32 v2, v16
	v_swap_b32 v11, v1
	v_swap_b32 v15, v4
; %bb.10:
	s_or_b32 exec_lo, exec_lo, s2
	v_cmp_lt_f32_e32 vcc_lo, v12, v7
	s_mov_b32 s2, exec_lo
	s_delay_alu instid0(VALU_DEP_3) | instskip(NEXT) | instid1(VALU_DEP_3)
	v_dual_cndmask_b32 v16, v11, v5 :: v_dual_cndmask_b32 v5, v5, v11
	v_dual_cndmask_b32 v13, v15, v14 :: v_dual_cndmask_b32 v6, v14, v15
	;; [unrolled: 1-line block ×3, first 2 shown]
	v_mov_b32_e32 v15, v9
	v_cmpx_lt_f32_e32 v9, v2
; %bb.11:
	v_mov_b32_e32 v17, v9
	v_dual_mov_b32 v11, v8 :: v_dual_mov_b32 v12, v10
	v_swap_b32 v8, v1
	v_swap_b32 v10, v4
	v_mov_b32_e32 v9, v2
	v_dual_mov_b32 v15, v2 :: v_dual_mov_b32 v2, v17
; %bb.12:
	s_or_b32 exec_lo, exec_lo, s2
	s_clause 0x1
	s_load_b32 s8, s[0:1], 0x28
	s_load_b128 s[4:7], s[0:1], 0x10
	v_mov_b32_e32 v11, 0
	s_waitcnt lgkmcnt(0)
	s_cmp_lt_i32 s8, 1
	s_cbranch_scc1 .LBB227_18
; %bb.13:
	v_cmp_lt_f32_e32 vcc_lo, v9, v14
	v_mov_b32_e32 v18, v0
	s_mov_b32 s9, 0x76543210
	s_mov_b32 s10, s8
	v_dual_mov_b32 v11, 0 :: v_dual_cndmask_b32 v12, v13, v10
	v_cndmask_b32_e32 v10, v10, v13, vcc_lo
	v_dual_cndmask_b32 v13, v14, v9 :: v_dual_cndmask_b32 v14, v15, v14
	v_cndmask_b32_e32 v15, v16, v8, vcc_lo
	v_dual_cndmask_b32 v16, v8, v16 :: v_dual_mov_b32 v17, 0
	v_dual_mov_b32 v8, 0 :: v_dual_mov_b32 v9, 0
.LBB227_14:                             ; =>This Inner Loop Header: Depth=1
	s_delay_alu instid0(VALU_DEP_2) | instskip(SKIP_1) | instid1(VALU_DEP_4)
	v_cmp_eq_u32_e32 vcc_lo, 1, v17
	v_cmp_eq_u32_e64 s2, 2, v17
	v_dual_cndmask_b32 v20, v6, v10 :: v_dual_cndmask_b32 v21, v5, v16
	s_delay_alu instid0(VALU_DEP_1) | instskip(SKIP_2) | instid1(VALU_DEP_4)
	v_cndmask_b32_e64 v20, v20, v12, s2
	v_cndmask_b32_e32 v19, v7, v14, vcc_lo
	v_cmp_eq_u32_e32 vcc_lo, 3, v17
	v_cndmask_b32_e64 v21, v21, v15, s2
	s_delay_alu instid0(VALU_DEP_4) | instskip(NEXT) | instid1(VALU_DEP_4)
	v_cndmask_b32_e32 v20, v20, v4, vcc_lo
	v_cndmask_b32_e64 v19, v19, v13, s2
	v_cmp_gt_u32_e64 s2, 4, v17
	s_delay_alu instid0(VALU_DEP_2) | instskip(NEXT) | instid1(VALU_DEP_2)
	v_cndmask_b32_e32 v19, v19, v2, vcc_lo
	v_cndmask_b32_e64 v22, 0, v20, s2
	s_delay_alu instid0(VALU_DEP_2)
	v_cndmask_b32_e64 v19, 0xff800000, v19, s2
	;;#ASMSTART
	v_max_f32 v23, v19, v19 quad_perm:[1,0,3,2] row_mask:0xf bank_mask:0xf bound_ctrl:1
	;;#ASMEND
	;;#ASMSTART
	v_max_f32 v24, v23, v23 quad_perm:[2,3,0,1] row_mask:0xf bank_mask:0xf bound_ctrl:1
	;;#ASMEND
	;;#ASMSTART
	v_max_f32 v23, v24, v24 row_half_mirror row_mask:0xf bank_mask:0xf bound_ctrl:1
	;;#ASMEND
	;;#ASMSTART
	v_max_f32 v24, v23, v23 row_mirror row_mask:0xf bank_mask:0xf bound_ctrl:1
	;;#ASMEND
	v_permlanex16_b32 v23, v24, s9, 0xfedcba98 op_sel:[1,1]
	s_delay_alu instid0(VALU_DEP_1) | instskip(NEXT) | instid1(VALU_DEP_1)
	v_dual_max_f32 v24, v24, v24 :: v_dual_max_f32 v23, v23, v23
	v_max_f32_e32 v23, v24, v23
	s_delay_alu instid0(VALU_DEP_1) | instskip(SKIP_1) | instid1(VALU_DEP_2)
	v_cmp_eq_f32_e64 s3, v19, v23
	v_cndmask_b32_e32 v19, v21, v1, vcc_lo
	s_ctz_i32_b32 s11, s3
	s_cmp_lg_u32 s3, 0
	s_cselect_b32 s3, s11, 0
	s_add_i32 s10, s10, -1
	v_readlane_b32 s3, v22, s3
	s_delay_alu instid0(VALU_DEP_1)
	v_cmp_eq_u32_e32 vcc_lo, s3, v20
	s_and_b32 vcc_lo, s2, vcc_lo
	s_and_b32 s2, s3, 31
	v_cndmask_b32_e32 v19, 0, v19, vcc_lo
	v_add_co_ci_u32_e32 v17, vcc_lo, 0, v17, vcc_lo
	s_cmp_eq_u32 s10, 0
	s_delay_alu instid0(VALU_DEP_2) | instskip(SKIP_1) | instid1(VALU_DEP_2)
	v_readlane_b32 s11, v19, s2
	v_cmp_eq_u32_e64 s2, 0, v18
	v_dual_add_f32 v11, s11, v11 :: v_dual_add_nc_u32 v18, -1, v18
	s_delay_alu instid0(VALU_DEP_2)
	v_cndmask_b32_e64 v9, v9, s11, s2
	v_cndmask_b32_e64 v8, v8, s3, s2
	s_cbranch_scc0 .LBB227_14
; %bb.15:
	s_mov_b32 s2, exec_lo
	v_cmpx_gt_i32_e64 s8, v0
	s_cbranch_execz .LBB227_17
.LBB227_16:
	s_load_b32 s2, s[0:1], 0x30
	v_max_f32_e32 v0, v11, v11
	s_load_b64 s[0:1], s[0:1], 0x20
	s_ashr_i32 s3, s15, 31
	s_delay_alu instid0(VALU_DEP_1) | instskip(SKIP_1) | instid1(VALU_DEP_1)
	v_max_f32_e32 v0, 0x1e3ce508, v0
	s_waitcnt lgkmcnt(0)
	v_div_scale_f32 v1, null, v0, v0, s2
	v_div_scale_f32 v5, vcc_lo, s2, v0, s2
	s_mul_i32 s1, s15, s1
	s_delay_alu instid0(VALU_DEP_2)
	v_rcp_f32_e32 v2, v1
	s_mul_hi_u32 s8, s15, s0
	s_mul_i32 s3, s3, s0
	s_add_i32 s1, s8, s1
	s_mul_i32 s0, s15, s0
	s_add_i32 s1, s1, s3
	s_delay_alu instid0(SALU_CYCLE_1) | instskip(SKIP_2) | instid1(VALU_DEP_1)
	s_lshl_b64 s[0:1], s[0:1], 2
	s_waitcnt_depctr 0xfff
	v_fma_f32 v4, -v1, v2, 1.0
	v_fmac_f32_e32 v2, v4, v2
	s_delay_alu instid0(VALU_DEP_1) | instskip(NEXT) | instid1(VALU_DEP_1)
	v_mul_f32_e32 v4, v5, v2
	v_fma_f32 v6, -v1, v4, v5
	s_delay_alu instid0(VALU_DEP_1) | instskip(NEXT) | instid1(VALU_DEP_1)
	v_fmac_f32_e32 v4, v6, v2
	v_fma_f32 v1, -v1, v4, v5
	s_delay_alu instid0(VALU_DEP_1) | instskip(NEXT) | instid1(VALU_DEP_1)
	v_div_fmas_f32 v1, v1, v2, v4
	v_div_fixup_f32 v0, v1, v0, s2
	s_add_u32 s2, s4, s0
	s_addc_u32 s3, s5, s1
	s_add_u32 s0, s6, s0
	s_addc_u32 s1, s7, s1
	v_mul_f32_e32 v0, v9, v0
	s_clause 0x1
	global_store_b32 v3, v0, s[2:3]
	global_store_b32 v3, v8, s[0:1]
.LBB227_17:
	s_nop 0
	s_sendmsg sendmsg(MSG_DEALLOC_VGPRS)
	s_endpgm
.LBB227_18:
	v_dual_mov_b32 v8, 0 :: v_dual_mov_b32 v9, 0
	s_mov_b32 s2, exec_lo
	v_cmpx_gt_i32_e64 s8, v0
	s_cbranch_execnz .LBB227_16
	s_branch .LBB227_17
	.section	.rodata,"a",@progbits
	.p2align	6, 0x0
	.amdhsa_kernel _ZN5aiter24topk_softplus_kernel_optI12hip_bfloat16fLi128ELb1ELi0EEEvPKT_PKT0_PfPimiif
		.amdhsa_group_segment_fixed_size 0
		.amdhsa_private_segment_fixed_size 0
		.amdhsa_kernarg_size 52
		.amdhsa_user_sgpr_count 15
		.amdhsa_user_sgpr_dispatch_ptr 0
		.amdhsa_user_sgpr_queue_ptr 0
		.amdhsa_user_sgpr_kernarg_segment_ptr 1
		.amdhsa_user_sgpr_dispatch_id 0
		.amdhsa_user_sgpr_private_segment_size 0
		.amdhsa_wavefront_size32 1
		.amdhsa_uses_dynamic_stack 0
		.amdhsa_enable_private_segment 0
		.amdhsa_system_sgpr_workgroup_id_x 1
		.amdhsa_system_sgpr_workgroup_id_y 0
		.amdhsa_system_sgpr_workgroup_id_z 0
		.amdhsa_system_sgpr_workgroup_info 0
		.amdhsa_system_vgpr_workitem_id 0
		.amdhsa_next_free_vgpr 25
		.amdhsa_next_free_sgpr 16
		.amdhsa_reserve_vcc 1
		.amdhsa_float_round_mode_32 0
		.amdhsa_float_round_mode_16_64 0
		.amdhsa_float_denorm_mode_32 3
		.amdhsa_float_denorm_mode_16_64 3
		.amdhsa_dx10_clamp 1
		.amdhsa_ieee_mode 1
		.amdhsa_fp16_overflow 0
		.amdhsa_workgroup_processor_mode 1
		.amdhsa_memory_ordered 1
		.amdhsa_forward_progress 0
		.amdhsa_shared_vgpr_count 0
		.amdhsa_exception_fp_ieee_invalid_op 0
		.amdhsa_exception_fp_denorm_src 0
		.amdhsa_exception_fp_ieee_div_zero 0
		.amdhsa_exception_fp_ieee_overflow 0
		.amdhsa_exception_fp_ieee_underflow 0
		.amdhsa_exception_fp_ieee_inexact 0
		.amdhsa_exception_int_div_zero 0
	.end_amdhsa_kernel
	.section	.text._ZN5aiter24topk_softplus_kernel_optI12hip_bfloat16fLi128ELb1ELi0EEEvPKT_PKT0_PfPimiif,"axG",@progbits,_ZN5aiter24topk_softplus_kernel_optI12hip_bfloat16fLi128ELb1ELi0EEEvPKT_PKT0_PfPimiif,comdat
.Lfunc_end227:
	.size	_ZN5aiter24topk_softplus_kernel_optI12hip_bfloat16fLi128ELb1ELi0EEEvPKT_PKT0_PfPimiif, .Lfunc_end227-_ZN5aiter24topk_softplus_kernel_optI12hip_bfloat16fLi128ELb1ELi0EEEvPKT_PKT0_PfPimiif
                                        ; -- End function
	.section	.AMDGPU.csdata,"",@progbits
; Kernel info:
; codeLenInByte = 2276
; NumSgprs: 18
; NumVgprs: 25
; ScratchSize: 0
; MemoryBound: 0
; FloatMode: 240
; IeeeMode: 1
; LDSByteSize: 0 bytes/workgroup (compile time only)
; SGPRBlocks: 2
; VGPRBlocks: 3
; NumSGPRsForWavesPerEU: 18
; NumVGPRsForWavesPerEU: 25
; Occupancy: 16
; WaveLimiterHint : 0
; COMPUTE_PGM_RSRC2:SCRATCH_EN: 0
; COMPUTE_PGM_RSRC2:USER_SGPR: 15
; COMPUTE_PGM_RSRC2:TRAP_HANDLER: 0
; COMPUTE_PGM_RSRC2:TGID_X_EN: 1
; COMPUTE_PGM_RSRC2:TGID_Y_EN: 0
; COMPUTE_PGM_RSRC2:TGID_Z_EN: 0
; COMPUTE_PGM_RSRC2:TIDIG_COMP_CNT: 0
	.section	.text._ZN5aiter24topk_softplus_kernel_optI12hip_bfloat16fLi128ELb0ELi0EEEvPKT_PKT0_PfPimiif,"axG",@progbits,_ZN5aiter24topk_softplus_kernel_optI12hip_bfloat16fLi128ELb0ELi0EEEvPKT_PKT0_PfPimiif,comdat
	.protected	_ZN5aiter24topk_softplus_kernel_optI12hip_bfloat16fLi128ELb0ELi0EEEvPKT_PKT0_PfPimiif ; -- Begin function _ZN5aiter24topk_softplus_kernel_optI12hip_bfloat16fLi128ELb0ELi0EEEvPKT_PKT0_PfPimiif
	.globl	_ZN5aiter24topk_softplus_kernel_optI12hip_bfloat16fLi128ELb0ELi0EEEvPKT_PKT0_PfPimiif
	.p2align	8
	.type	_ZN5aiter24topk_softplus_kernel_optI12hip_bfloat16fLi128ELb0ELi0EEEvPKT_PKT0_PfPimiif,@function
_ZN5aiter24topk_softplus_kernel_optI12hip_bfloat16fLi128ELb0ELi0EEEvPKT_PKT0_PfPimiif: ; @_ZN5aiter24topk_softplus_kernel_optI12hip_bfloat16fLi128ELb0ELi0EEEvPKT_PKT0_PfPimiif
; %bb.0:
	s_load_b128 s[4:7], s[0:1], 0x0
	s_lshl_b32 s2, s15, 7
	v_lshlrev_b32_e32 v1, 1, v0
	s_ashr_i32 s3, s2, 31
	s_delay_alu instid0(SALU_CYCLE_1)
	s_lshl_b64 s[2:3], s[2:3], 1
	s_waitcnt lgkmcnt(0)
	s_add_u32 s4, s4, s2
	s_addc_u32 s5, s5, s3
	s_cmp_lg_u64 s[6:7], 0
	global_load_u16 v2, v1, s[4:5]
	s_cselect_b32 s3, -1, 0
	s_waitcnt vmcnt(0)
	v_lshlrev_b32_e32 v2, 16, v2
	s_delay_alu instid0(VALU_DEP_1) | instskip(NEXT) | instid1(VALU_DEP_1)
	v_mul_f32_e32 v3, 0x3fb8aa3b, v2
	v_cmp_gt_f32_e32 vcc_lo, 0xc2fc0000, v3
	v_cndmask_b32_e64 v3, 0, 0x42800000, vcc_lo
	v_cndmask_b32_e64 v4, 1.0, 0x1f800000, vcc_lo
	s_delay_alu instid0(VALU_DEP_2) | instskip(NEXT) | instid1(VALU_DEP_1)
	v_fmac_f32_e32 v3, 0x3fb8aa3b, v2
	v_exp_f32_e32 v3, v3
	s_waitcnt_depctr 0xfff
	v_fma_f32 v3, v3, v4, 1.0
	s_delay_alu instid0(VALU_DEP_1) | instskip(SKIP_1) | instid1(VALU_DEP_1)
	v_cmp_gt_f32_e32 vcc_lo, 0x800000, v3
	v_cndmask_b32_e64 v4, 1.0, 0x4f800000, vcc_lo
	v_mul_f32_e32 v3, v3, v4
	v_cndmask_b32_e64 v4, 0, 0x42000000, vcc_lo
	v_cmp_lt_f32_e32 vcc_lo, 0x41a00000, v2
	s_delay_alu instid0(VALU_DEP_3) | instskip(SKIP_2) | instid1(VALU_DEP_1)
	v_log_f32_e32 v3, v3
	s_waitcnt_depctr 0xfff
	v_sub_f32_e32 v3, v3, v4
	v_mul_f32_e32 v3, 0x3f317218, v3
	s_delay_alu instid0(VALU_DEP_1) | instskip(NEXT) | instid1(VALU_DEP_1)
	v_cndmask_b32_e32 v2, v3, v2, vcc_lo
	v_mul_f32_e32 v3, 0x4f800000, v2
	v_cmp_gt_f32_e32 vcc_lo, 0xf800000, v2
	s_delay_alu instid0(VALU_DEP_2) | instskip(NEXT) | instid1(VALU_DEP_1)
	v_cndmask_b32_e32 v2, v2, v3, vcc_lo
	v_sqrt_f32_e32 v3, v2
	s_waitcnt_depctr 0xfff
	v_add_nc_u32_e32 v4, -1, v3
	v_add_nc_u32_e32 v5, 1, v3
	s_delay_alu instid0(VALU_DEP_2) | instskip(NEXT) | instid1(VALU_DEP_2)
	v_fma_f32 v6, -v4, v3, v2
	v_fma_f32 v7, -v5, v3, v2
	s_delay_alu instid0(VALU_DEP_2) | instskip(NEXT) | instid1(VALU_DEP_1)
	v_cmp_ge_f32_e64 s2, 0, v6
	v_cndmask_b32_e64 v3, v3, v4, s2
	s_delay_alu instid0(VALU_DEP_3) | instskip(NEXT) | instid1(VALU_DEP_1)
	v_cmp_lt_f32_e64 s2, 0, v7
	v_cndmask_b32_e64 v3, v3, v5, s2
	v_add_co_u32 v1, s2, s4, v1
	s_delay_alu instid0(VALU_DEP_2) | instskip(NEXT) | instid1(VALU_DEP_1)
	v_mul_f32_e32 v4, 0x37800000, v3
	v_cndmask_b32_e32 v3, v3, v4, vcc_lo
	v_cmp_class_f32_e64 vcc_lo, v2, 0x260
	s_delay_alu instid0(VALU_DEP_2) | instskip(SKIP_3) | instid1(VALU_DEP_3)
	v_cndmask_b32_e32 v5, v3, v2, vcc_lo
	v_lshlrev_b32_e32 v3, 2, v0
	v_add_co_ci_u32_e64 v2, null, s5, 0, s2
	s_and_b32 vcc_lo, exec_lo, s3
	v_mov_b32_e32 v6, v5
	s_cbranch_vccz .LBB228_2
; %bb.1:
	global_load_b32 v4, v3, s[6:7]
	s_waitcnt vmcnt(0)
	v_add_f32_e32 v6, v5, v4
.LBB228_2:
	global_load_u16 v4, v[1:2], off offset:64
	s_waitcnt vmcnt(0)
	v_lshlrev_b32_e32 v4, 16, v4
	s_delay_alu instid0(VALU_DEP_1) | instskip(NEXT) | instid1(VALU_DEP_1)
	v_mul_f32_e32 v7, 0x3fb8aa3b, v4
	v_cmp_gt_f32_e32 vcc_lo, 0xc2fc0000, v7
	v_cndmask_b32_e64 v7, 0, 0x42800000, vcc_lo
	v_cndmask_b32_e64 v8, 1.0, 0x1f800000, vcc_lo
	s_delay_alu instid0(VALU_DEP_2) | instskip(NEXT) | instid1(VALU_DEP_1)
	v_fmac_f32_e32 v7, 0x3fb8aa3b, v4
	v_exp_f32_e32 v7, v7
	s_waitcnt_depctr 0xfff
	v_fma_f32 v7, v7, v8, 1.0
	s_delay_alu instid0(VALU_DEP_1) | instskip(SKIP_1) | instid1(VALU_DEP_1)
	v_cmp_gt_f32_e32 vcc_lo, 0x800000, v7
	v_cndmask_b32_e64 v8, 1.0, 0x4f800000, vcc_lo
	v_mul_f32_e32 v7, v7, v8
	v_cndmask_b32_e64 v8, 0, 0x42000000, vcc_lo
	s_delay_alu instid0(VALU_DEP_2) | instskip(SKIP_2) | instid1(VALU_DEP_1)
	v_log_f32_e32 v7, v7
	s_waitcnt_depctr 0xfff
	v_sub_f32_e32 v7, v7, v8
	v_mul_f32_e32 v7, 0x3f317218, v7
	v_cmp_lt_f32_e32 vcc_lo, 0x41a00000, v4
	s_delay_alu instid0(VALU_DEP_2) | instskip(NEXT) | instid1(VALU_DEP_1)
	v_cndmask_b32_e32 v4, v7, v4, vcc_lo
	v_mul_f32_e32 v7, 0x4f800000, v4
	v_cmp_gt_f32_e32 vcc_lo, 0xf800000, v4
	s_delay_alu instid0(VALU_DEP_2) | instskip(NEXT) | instid1(VALU_DEP_1)
	v_cndmask_b32_e32 v7, v4, v7, vcc_lo
	v_sqrt_f32_e32 v4, v7
	s_waitcnt_depctr 0xfff
	v_add_nc_u32_e32 v8, -1, v4
	v_add_nc_u32_e32 v9, 1, v4
	s_delay_alu instid0(VALU_DEP_2) | instskip(NEXT) | instid1(VALU_DEP_2)
	v_fma_f32 v10, -v8, v4, v7
	v_fma_f32 v11, -v9, v4, v7
	s_delay_alu instid0(VALU_DEP_2) | instskip(NEXT) | instid1(VALU_DEP_1)
	v_cmp_ge_f32_e64 s2, 0, v10
	v_cndmask_b32_e64 v4, v4, v8, s2
	s_delay_alu instid0(VALU_DEP_3) | instskip(NEXT) | instid1(VALU_DEP_1)
	v_cmp_lt_f32_e64 s2, 0, v11
	v_cndmask_b32_e64 v4, v4, v9, s2
	s_delay_alu instid0(VALU_DEP_1) | instskip(NEXT) | instid1(VALU_DEP_1)
	v_mul_f32_e32 v8, 0x37800000, v4
	v_cndmask_b32_e32 v8, v4, v8, vcc_lo
	v_cmp_class_f32_e64 vcc_lo, v7, 0x260
	v_cndmask_b32_e64 v4, 0, 1, s3
	s_delay_alu instid0(VALU_DEP_3) | instskip(SKIP_1) | instid1(VALU_DEP_1)
	v_cndmask_b32_e32 v9, v8, v7, vcc_lo
	s_and_not1_b32 vcc_lo, exec_lo, s3
	v_mov_b32_e32 v12, v9
	s_cbranch_vccnz .LBB228_4
; %bb.3:
	global_load_b32 v7, v3, s[6:7] offset:128
	s_waitcnt vmcnt(0)
	v_add_f32_e32 v12, v9, v7
.LBB228_4:
	global_load_u16 v7, v[1:2], off offset:128
	s_waitcnt vmcnt(0)
	v_lshlrev_b32_e32 v7, 16, v7
	s_delay_alu instid0(VALU_DEP_1) | instskip(NEXT) | instid1(VALU_DEP_1)
	v_mul_f32_e32 v8, 0x3fb8aa3b, v7
	v_cmp_gt_f32_e32 vcc_lo, 0xc2fc0000, v8
	v_cndmask_b32_e64 v8, 0, 0x42800000, vcc_lo
	v_cndmask_b32_e64 v10, 1.0, 0x1f800000, vcc_lo
	s_delay_alu instid0(VALU_DEP_2) | instskip(NEXT) | instid1(VALU_DEP_1)
	v_fmac_f32_e32 v8, 0x3fb8aa3b, v7
	v_exp_f32_e32 v8, v8
	s_waitcnt_depctr 0xfff
	v_fma_f32 v8, v8, v10, 1.0
	s_delay_alu instid0(VALU_DEP_1) | instskip(SKIP_1) | instid1(VALU_DEP_1)
	v_cmp_gt_f32_e32 vcc_lo, 0x800000, v8
	v_cndmask_b32_e64 v10, 1.0, 0x4f800000, vcc_lo
	v_mul_f32_e32 v8, v8, v10
	v_cndmask_b32_e64 v10, 0, 0x42000000, vcc_lo
	v_cmp_lt_f32_e32 vcc_lo, 0x41a00000, v7
	s_delay_alu instid0(VALU_DEP_3) | instskip(SKIP_2) | instid1(VALU_DEP_1)
	v_log_f32_e32 v8, v8
	s_waitcnt_depctr 0xfff
	v_sub_f32_e32 v8, v8, v10
	v_mul_f32_e32 v8, 0x3f317218, v8
	s_delay_alu instid0(VALU_DEP_1) | instskip(NEXT) | instid1(VALU_DEP_1)
	v_cndmask_b32_e32 v7, v8, v7, vcc_lo
	v_mul_f32_e32 v8, 0x4f800000, v7
	v_cmp_gt_f32_e32 vcc_lo, 0xf800000, v7
	s_delay_alu instid0(VALU_DEP_2) | instskip(NEXT) | instid1(VALU_DEP_1)
	v_cndmask_b32_e32 v7, v7, v8, vcc_lo
	v_sqrt_f32_e32 v8, v7
	s_waitcnt_depctr 0xfff
	v_add_nc_u32_e32 v10, -1, v8
	v_add_nc_u32_e32 v11, 1, v8
	s_delay_alu instid0(VALU_DEP_2) | instskip(NEXT) | instid1(VALU_DEP_2)
	v_fma_f32 v13, -v10, v8, v7
	v_fma_f32 v14, -v11, v8, v7
	s_delay_alu instid0(VALU_DEP_2) | instskip(NEXT) | instid1(VALU_DEP_1)
	v_cmp_ge_f32_e64 s2, 0, v13
	v_cndmask_b32_e64 v8, v8, v10, s2
	s_delay_alu instid0(VALU_DEP_3) | instskip(NEXT) | instid1(VALU_DEP_1)
	v_cmp_lt_f32_e64 s2, 0, v14
	v_cndmask_b32_e64 v8, v8, v11, s2
	s_delay_alu instid0(VALU_DEP_1) | instskip(NEXT) | instid1(VALU_DEP_1)
	v_mul_f32_e32 v10, 0x37800000, v8
	v_cndmask_b32_e32 v8, v8, v10, vcc_lo
	v_cmp_class_f32_e64 vcc_lo, v7, 0x260
	s_delay_alu instid0(VALU_DEP_2) | instskip(SKIP_1) | instid1(VALU_DEP_2)
	v_cndmask_b32_e32 v11, v8, v7, vcc_lo
	v_cmp_ne_u32_e32 vcc_lo, 1, v4
	v_mov_b32_e32 v7, v11
	s_cbranch_vccnz .LBB228_6
; %bb.5:
	global_load_b32 v7, v3, s[6:7] offset:256
	s_waitcnt vmcnt(0)
	v_add_f32_e32 v7, v11, v7
.LBB228_6:
	global_load_u16 v1, v[1:2], off offset:192
	s_waitcnt vmcnt(0)
	v_lshlrev_b32_e32 v1, 16, v1
	s_delay_alu instid0(VALU_DEP_1) | instskip(NEXT) | instid1(VALU_DEP_1)
	v_mul_f32_e32 v2, 0x3fb8aa3b, v1
	v_cmp_gt_f32_e32 vcc_lo, 0xc2fc0000, v2
	v_cndmask_b32_e64 v2, 0, 0x42800000, vcc_lo
	v_cndmask_b32_e64 v8, 1.0, 0x1f800000, vcc_lo
	s_delay_alu instid0(VALU_DEP_2) | instskip(NEXT) | instid1(VALU_DEP_1)
	v_fmac_f32_e32 v2, 0x3fb8aa3b, v1
	v_exp_f32_e32 v2, v2
	s_waitcnt_depctr 0xfff
	v_fma_f32 v2, v2, v8, 1.0
	s_delay_alu instid0(VALU_DEP_1) | instskip(SKIP_1) | instid1(VALU_DEP_1)
	v_cmp_gt_f32_e32 vcc_lo, 0x800000, v2
	v_cndmask_b32_e64 v8, 1.0, 0x4f800000, vcc_lo
	v_mul_f32_e32 v2, v2, v8
	v_cndmask_b32_e64 v8, 0, 0x42000000, vcc_lo
	v_cmp_lt_f32_e32 vcc_lo, 0x41a00000, v1
	s_delay_alu instid0(VALU_DEP_3) | instskip(SKIP_2) | instid1(VALU_DEP_1)
	v_log_f32_e32 v2, v2
	s_waitcnt_depctr 0xfff
	v_sub_f32_e32 v2, v2, v8
	v_mul_f32_e32 v2, 0x3f317218, v2
	s_delay_alu instid0(VALU_DEP_1) | instskip(NEXT) | instid1(VALU_DEP_1)
	v_cndmask_b32_e32 v1, v2, v1, vcc_lo
	v_mul_f32_e32 v2, 0x4f800000, v1
	v_cmp_gt_f32_e32 vcc_lo, 0xf800000, v1
	s_delay_alu instid0(VALU_DEP_2) | instskip(NEXT) | instid1(VALU_DEP_1)
	v_cndmask_b32_e32 v1, v1, v2, vcc_lo
	v_sqrt_f32_e32 v2, v1
	s_waitcnt_depctr 0xfff
	v_add_nc_u32_e32 v8, -1, v2
	v_add_nc_u32_e32 v10, 1, v2
	s_delay_alu instid0(VALU_DEP_2) | instskip(NEXT) | instid1(VALU_DEP_2)
	v_fma_f32 v13, -v8, v2, v1
	v_fma_f32 v14, -v10, v2, v1
	s_delay_alu instid0(VALU_DEP_2) | instskip(NEXT) | instid1(VALU_DEP_1)
	v_cmp_ge_f32_e64 s2, 0, v13
	v_cndmask_b32_e64 v2, v2, v8, s2
	s_delay_alu instid0(VALU_DEP_3) | instskip(NEXT) | instid1(VALU_DEP_1)
	v_cmp_lt_f32_e64 s2, 0, v14
	v_cndmask_b32_e64 v2, v2, v10, s2
	s_delay_alu instid0(VALU_DEP_1) | instskip(NEXT) | instid1(VALU_DEP_1)
	v_mul_f32_e32 v8, 0x37800000, v2
	v_cndmask_b32_e32 v2, v2, v8, vcc_lo
	v_cmp_class_f32_e64 vcc_lo, v1, 0x260
	s_delay_alu instid0(VALU_DEP_2) | instskip(SKIP_1) | instid1(VALU_DEP_2)
	v_cndmask_b32_e32 v1, v2, v1, vcc_lo
	v_cmp_ne_u32_e32 vcc_lo, 1, v4
	v_mov_b32_e32 v2, v1
	s_cbranch_vccnz .LBB228_8
; %bb.7:
	global_load_b32 v2, v3, s[6:7] offset:384
	s_waitcnt vmcnt(0)
	v_add_f32_e32 v2, v1, v2
.LBB228_8:
	v_cmp_lt_f32_e32 vcc_lo, v6, v12
	v_add_nc_u32_e32 v13, 32, v0
	v_add_nc_u32_e32 v16, 64, v0
	s_mov_b32 s2, exec_lo
	v_dual_mov_b32 v17, v7 :: v_dual_cndmask_b32 v8, v9, v5
	v_dual_cndmask_b32 v5, v5, v9 :: v_dual_add_nc_u32 v4, 0x60, v0
	v_dual_cndmask_b32 v10, v13, v0 :: v_dual_cndmask_b32 v9, v12, v6
	v_dual_cndmask_b32 v13, v0, v13 :: v_dual_cndmask_b32 v14, v6, v12
	v_cmpx_lt_f32_e32 v7, v2
	s_xor_b32 s2, exec_lo, s2
; %bb.9:
	v_dual_mov_b32 v12, v16 :: v_dual_mov_b32 v15, v7
	v_dual_mov_b32 v6, v11 :: v_dual_mov_b32 v7, v2
	v_swap_b32 v11, v1
	v_swap_b32 v16, v4
	s_delay_alu instid0(VALU_DEP_4)
	v_dual_mov_b32 v17, v2 :: v_dual_mov_b32 v2, v15
; %bb.10:
	s_or_b32 exec_lo, exec_lo, s2
	v_cmp_lt_f32_e32 vcc_lo, v14, v7
	s_mov_b32 s2, exec_lo
	s_delay_alu instid0(VALU_DEP_3)
	v_dual_cndmask_b32 v15, v11, v5 :: v_dual_cndmask_b32 v6, v13, v16
	v_dual_cndmask_b32 v5, v5, v11 :: v_dual_cndmask_b32 v12, v16, v13
	v_cndmask_b32_e32 v13, v17, v14, vcc_lo
	v_dual_cndmask_b32 v7, v14, v7 :: v_dual_mov_b32 v14, v9
	v_cmpx_lt_f32_e32 v9, v2
; %bb.11:
	v_dual_mov_b32 v16, v9 :: v_dual_mov_b32 v9, v2
	v_dual_mov_b32 v11, v8 :: v_dual_mov_b32 v14, v10
	v_swap_b32 v8, v1
	v_swap_b32 v10, v4
	v_mov_b32_e32 v14, v2
	v_mov_b32_e32 v2, v16
; %bb.12:
	s_or_b32 exec_lo, exec_lo, s2
	s_clause 0x1
	s_load_b32 s8, s[0:1], 0x28
	s_load_b128 s[4:7], s[0:1], 0x10
	s_waitcnt lgkmcnt(0)
	s_cmp_lt_i32 s8, 1
	s_cbranch_scc1 .LBB228_18
; %bb.13:
	v_cmp_lt_f32_e32 vcc_lo, v9, v13
	v_dual_mov_b32 v16, 0 :: v_dual_mov_b32 v17, v0
	s_mov_b32 s9, 0x76543210
	s_mov_b32 s10, s8
	v_dual_cndmask_b32 v11, v12, v10 :: v_dual_cndmask_b32 v10, v10, v12
	v_cndmask_b32_e32 v12, v13, v9, vcc_lo
	v_dual_cndmask_b32 v13, v14, v13 :: v_dual_cndmask_b32 v14, v15, v8
	v_cndmask_b32_e32 v15, v8, v15, vcc_lo
	v_dual_mov_b32 v9, 0 :: v_dual_mov_b32 v8, 0
.LBB228_14:                             ; =>This Inner Loop Header: Depth=1
	v_cmp_eq_u32_e32 vcc_lo, 1, v16
	v_cmp_eq_u32_e64 s2, 2, v16
	v_cmp_gt_u32_e64 s3, 4, v16
	v_dual_cndmask_b32 v18, v7, v13 :: v_dual_cndmask_b32 v19, v6, v10
	v_cndmask_b32_e32 v20, v5, v15, vcc_lo
	v_cmp_eq_u32_e32 vcc_lo, 3, v16
	s_delay_alu instid0(VALU_DEP_3) | instskip(NEXT) | instid1(VALU_DEP_4)
	v_cndmask_b32_e64 v18, v18, v12, s2
	v_cndmask_b32_e64 v19, v19, v11, s2
	s_delay_alu instid0(VALU_DEP_1) | instskip(NEXT) | instid1(VALU_DEP_1)
	v_dual_cndmask_b32 v18, v18, v2 :: v_dual_cndmask_b32 v19, v19, v4
	v_cndmask_b32_e64 v18, 0xff800000, v18, s3
	;;#ASMSTART
	v_max_f32 v21, v18, v18 quad_perm:[1,0,3,2] row_mask:0xf bank_mask:0xf bound_ctrl:1
	;;#ASMEND
	;;#ASMSTART
	v_max_f32 v22, v21, v21 quad_perm:[2,3,0,1] row_mask:0xf bank_mask:0xf bound_ctrl:1
	;;#ASMEND
	;;#ASMSTART
	v_max_f32 v21, v22, v22 row_half_mirror row_mask:0xf bank_mask:0xf bound_ctrl:1
	;;#ASMEND
	;;#ASMSTART
	v_max_f32 v22, v21, v21 row_mirror row_mask:0xf bank_mask:0xf bound_ctrl:1
	;;#ASMEND
	v_permlanex16_b32 v21, v22, s9, 0xfedcba98 op_sel:[1,1]
	s_delay_alu instid0(VALU_DEP_1) | instskip(NEXT) | instid1(VALU_DEP_1)
	v_dual_max_f32 v22, v22, v22 :: v_dual_max_f32 v21, v21, v21
	v_max_f32_e32 v21, v22, v21
	v_cndmask_b32_e64 v20, v20, v14, s2
	s_delay_alu instid0(VALU_DEP_2) | instskip(SKIP_1) | instid1(VALU_DEP_2)
	v_cmp_eq_f32_e64 s2, v18, v21
	v_cndmask_b32_e64 v18, 0, v19, s3
	s_ctz_i32_b32 s11, s2
	s_cmp_lg_u32 s2, 0
	s_cselect_b32 s2, s11, 0
	s_add_i32 s10, s10, -1
	v_readlane_b32 s11, v18, s2
	v_cndmask_b32_e32 v18, v20, v1, vcc_lo
	s_delay_alu instid0(VALU_DEP_2)
	v_cmp_eq_u32_e32 vcc_lo, s11, v19
	s_and_b32 s2, s11, 31
	s_and_b32 vcc_lo, s3, vcc_lo
	s_cmp_eq_u32 s10, 0
	v_cndmask_b32_e32 v18, 0, v18, vcc_lo
	v_add_co_ci_u32_e32 v16, vcc_lo, 0, v16, vcc_lo
	s_delay_alu instid0(VALU_DEP_2) | instskip(SKIP_2) | instid1(VALU_DEP_2)
	v_readlane_b32 s3, v18, s2
	v_cmp_eq_u32_e64 s2, 0, v17
	v_add_nc_u32_e32 v17, -1, v17
	v_cndmask_b32_e64 v9, v9, s3, s2
	v_cndmask_b32_e64 v8, v8, s11, s2
	s_cbranch_scc0 .LBB228_14
; %bb.15:
	s_mov_b32 s2, exec_lo
	v_cmpx_gt_i32_e64 s8, v0
	s_cbranch_execz .LBB228_17
.LBB228_16:
	s_clause 0x1
	s_load_b64 s[2:3], s[0:1], 0x20
	s_load_b32 s8, s[0:1], 0x30
	s_ashr_i32 s0, s15, 31
	s_waitcnt lgkmcnt(0)
	s_mul_i32 s1, s15, s3
	s_mul_hi_u32 s3, s15, s2
	s_mul_i32 s0, s0, s2
	s_add_i32 s1, s3, s1
	v_mul_f32_e32 v0, s8, v9
	s_add_i32 s1, s1, s0
	s_mul_i32 s0, s15, s2
	s_delay_alu instid0(SALU_CYCLE_1) | instskip(NEXT) | instid1(SALU_CYCLE_1)
	s_lshl_b64 s[0:1], s[0:1], 2
	s_add_u32 s2, s4, s0
	s_addc_u32 s3, s5, s1
	s_add_u32 s0, s6, s0
	s_addc_u32 s1, s7, s1
	s_clause 0x1
	global_store_b32 v3, v0, s[2:3]
	global_store_b32 v3, v8, s[0:1]
.LBB228_17:
	s_nop 0
	s_sendmsg sendmsg(MSG_DEALLOC_VGPRS)
	s_endpgm
.LBB228_18:
	v_dual_mov_b32 v8, 0 :: v_dual_mov_b32 v9, 0
	s_mov_b32 s2, exec_lo
	v_cmpx_gt_i32_e64 s8, v0
	s_cbranch_execnz .LBB228_16
	s_branch .LBB228_17
	.section	.rodata,"a",@progbits
	.p2align	6, 0x0
	.amdhsa_kernel _ZN5aiter24topk_softplus_kernel_optI12hip_bfloat16fLi128ELb0ELi0EEEvPKT_PKT0_PfPimiif
		.amdhsa_group_segment_fixed_size 0
		.amdhsa_private_segment_fixed_size 0
		.amdhsa_kernarg_size 52
		.amdhsa_user_sgpr_count 15
		.amdhsa_user_sgpr_dispatch_ptr 0
		.amdhsa_user_sgpr_queue_ptr 0
		.amdhsa_user_sgpr_kernarg_segment_ptr 1
		.amdhsa_user_sgpr_dispatch_id 0
		.amdhsa_user_sgpr_private_segment_size 0
		.amdhsa_wavefront_size32 1
		.amdhsa_uses_dynamic_stack 0
		.amdhsa_enable_private_segment 0
		.amdhsa_system_sgpr_workgroup_id_x 1
		.amdhsa_system_sgpr_workgroup_id_y 0
		.amdhsa_system_sgpr_workgroup_id_z 0
		.amdhsa_system_sgpr_workgroup_info 0
		.amdhsa_system_vgpr_workitem_id 0
		.amdhsa_next_free_vgpr 23
		.amdhsa_next_free_sgpr 16
		.amdhsa_reserve_vcc 1
		.amdhsa_float_round_mode_32 0
		.amdhsa_float_round_mode_16_64 0
		.amdhsa_float_denorm_mode_32 3
		.amdhsa_float_denorm_mode_16_64 3
		.amdhsa_dx10_clamp 1
		.amdhsa_ieee_mode 1
		.amdhsa_fp16_overflow 0
		.amdhsa_workgroup_processor_mode 1
		.amdhsa_memory_ordered 1
		.amdhsa_forward_progress 0
		.amdhsa_shared_vgpr_count 0
		.amdhsa_exception_fp_ieee_invalid_op 0
		.amdhsa_exception_fp_denorm_src 0
		.amdhsa_exception_fp_ieee_div_zero 0
		.amdhsa_exception_fp_ieee_overflow 0
		.amdhsa_exception_fp_ieee_underflow 0
		.amdhsa_exception_fp_ieee_inexact 0
		.amdhsa_exception_int_div_zero 0
	.end_amdhsa_kernel
	.section	.text._ZN5aiter24topk_softplus_kernel_optI12hip_bfloat16fLi128ELb0ELi0EEEvPKT_PKT0_PfPimiif,"axG",@progbits,_ZN5aiter24topk_softplus_kernel_optI12hip_bfloat16fLi128ELb0ELi0EEEvPKT_PKT0_PfPimiif,comdat
.Lfunc_end228:
	.size	_ZN5aiter24topk_softplus_kernel_optI12hip_bfloat16fLi128ELb0ELi0EEEvPKT_PKT0_PfPimiif, .Lfunc_end228-_ZN5aiter24topk_softplus_kernel_optI12hip_bfloat16fLi128ELb0ELi0EEEvPKT_PKT0_PfPimiif
                                        ; -- End function
	.section	.AMDGPU.csdata,"",@progbits
; Kernel info:
; codeLenInByte = 2144
; NumSgprs: 18
; NumVgprs: 23
; ScratchSize: 0
; MemoryBound: 0
; FloatMode: 240
; IeeeMode: 1
; LDSByteSize: 0 bytes/workgroup (compile time only)
; SGPRBlocks: 2
; VGPRBlocks: 2
; NumSGPRsForWavesPerEU: 18
; NumVGPRsForWavesPerEU: 23
; Occupancy: 16
; WaveLimiterHint : 0
; COMPUTE_PGM_RSRC2:SCRATCH_EN: 0
; COMPUTE_PGM_RSRC2:USER_SGPR: 15
; COMPUTE_PGM_RSRC2:TRAP_HANDLER: 0
; COMPUTE_PGM_RSRC2:TGID_X_EN: 1
; COMPUTE_PGM_RSRC2:TGID_Y_EN: 0
; COMPUTE_PGM_RSRC2:TGID_Z_EN: 0
; COMPUTE_PGM_RSRC2:TIDIG_COMP_CNT: 0
	.section	.text._ZN5aiter24topk_softplus_kernel_optI12hip_bfloat16fLi256ELb1ELi0EEEvPKT_PKT0_PfPimiif,"axG",@progbits,_ZN5aiter24topk_softplus_kernel_optI12hip_bfloat16fLi256ELb1ELi0EEEvPKT_PKT0_PfPimiif,comdat
	.protected	_ZN5aiter24topk_softplus_kernel_optI12hip_bfloat16fLi256ELb1ELi0EEEvPKT_PKT0_PfPimiif ; -- Begin function _ZN5aiter24topk_softplus_kernel_optI12hip_bfloat16fLi256ELb1ELi0EEEvPKT_PKT0_PfPimiif
	.globl	_ZN5aiter24topk_softplus_kernel_optI12hip_bfloat16fLi256ELb1ELi0EEEvPKT_PKT0_PfPimiif
	.p2align	8
	.type	_ZN5aiter24topk_softplus_kernel_optI12hip_bfloat16fLi256ELb1ELi0EEEvPKT_PKT0_PfPimiif,@function
_ZN5aiter24topk_softplus_kernel_optI12hip_bfloat16fLi256ELb1ELi0EEEvPKT_PKT0_PfPimiif: ; @_ZN5aiter24topk_softplus_kernel_optI12hip_bfloat16fLi256ELb1ELi0EEEvPKT_PKT0_PfPimiif
; %bb.0:
	s_load_b128 s[4:7], s[0:1], 0x0
	s_lshl_b32 s2, s15, 8
	v_lshlrev_b32_e32 v1, 1, v0
	s_ashr_i32 s3, s2, 31
	v_lshlrev_b32_e32 v96, 2, v0
	s_lshl_b64 s[2:3], s[2:3], 1
	s_waitcnt lgkmcnt(0)
	s_add_u32 s4, s4, s2
	s_addc_u32 s5, s5, s3
	s_cmp_lg_u64 s[6:7], 0
	global_load_u16 v2, v1, s[4:5]
	s_cselect_b32 s3, -1, 0
	s_waitcnt vmcnt(0)
	v_lshlrev_b32_e32 v2, 16, v2
	s_delay_alu instid0(VALU_DEP_1) | instskip(NEXT) | instid1(VALU_DEP_1)
	v_mul_f32_e32 v3, 0x3fb8aa3b, v2
	v_cmp_gt_f32_e32 vcc_lo, 0xc2fc0000, v3
	v_cndmask_b32_e64 v3, 0, 0x42800000, vcc_lo
	v_cndmask_b32_e64 v4, 1.0, 0x1f800000, vcc_lo
	s_delay_alu instid0(VALU_DEP_2) | instskip(NEXT) | instid1(VALU_DEP_1)
	v_fmac_f32_e32 v3, 0x3fb8aa3b, v2
	v_exp_f32_e32 v3, v3
	s_waitcnt_depctr 0xfff
	v_fma_f32 v3, v3, v4, 1.0
	s_delay_alu instid0(VALU_DEP_1) | instskip(SKIP_1) | instid1(VALU_DEP_1)
	v_cmp_gt_f32_e32 vcc_lo, 0x800000, v3
	v_cndmask_b32_e64 v4, 1.0, 0x4f800000, vcc_lo
	v_mul_f32_e32 v3, v3, v4
	v_cndmask_b32_e64 v4, 0, 0x42000000, vcc_lo
	v_cmp_lt_f32_e32 vcc_lo, 0x41a00000, v2
	s_delay_alu instid0(VALU_DEP_3) | instskip(SKIP_2) | instid1(VALU_DEP_1)
	v_log_f32_e32 v3, v3
	s_waitcnt_depctr 0xfff
	v_sub_f32_e32 v3, v3, v4
	v_mul_f32_e32 v3, 0x3f317218, v3
	s_delay_alu instid0(VALU_DEP_1) | instskip(NEXT) | instid1(VALU_DEP_1)
	v_cndmask_b32_e32 v2, v3, v2, vcc_lo
	v_mul_f32_e32 v3, 0x4f800000, v2
	v_cmp_gt_f32_e32 vcc_lo, 0xf800000, v2
	s_delay_alu instid0(VALU_DEP_2) | instskip(NEXT) | instid1(VALU_DEP_1)
	v_cndmask_b32_e32 v2, v2, v3, vcc_lo
	v_sqrt_f32_e32 v3, v2
	s_waitcnt_depctr 0xfff
	v_add_nc_u32_e32 v4, -1, v3
	v_add_nc_u32_e32 v5, 1, v3
	s_delay_alu instid0(VALU_DEP_2) | instskip(NEXT) | instid1(VALU_DEP_2)
	v_fma_f32 v6, -v4, v3, v2
	v_fma_f32 v7, -v5, v3, v2
	s_delay_alu instid0(VALU_DEP_2) | instskip(NEXT) | instid1(VALU_DEP_1)
	v_cmp_ge_f32_e64 s2, 0, v6
	v_cndmask_b32_e64 v3, v3, v4, s2
	s_delay_alu instid0(VALU_DEP_3) | instskip(NEXT) | instid1(VALU_DEP_1)
	v_cmp_lt_f32_e64 s2, 0, v7
	v_cndmask_b32_e64 v3, v3, v5, s2
	v_add_co_u32 v1, s2, s4, v1
	s_delay_alu instid0(VALU_DEP_2) | instskip(NEXT) | instid1(VALU_DEP_1)
	v_mul_f32_e32 v4, 0x37800000, v3
	v_cndmask_b32_e32 v3, v3, v4, vcc_lo
	v_cmp_class_f32_e64 vcc_lo, v2, 0x260
	s_delay_alu instid0(VALU_DEP_2) | instskip(SKIP_2) | instid1(VALU_DEP_2)
	v_cndmask_b32_e32 v56, v3, v2, vcc_lo
	v_add_co_ci_u32_e64 v2, null, s5, 0, s2
	s_and_b32 vcc_lo, exec_lo, s3
	v_mov_b32_e32 v24, v56
	s_cbranch_vccz .LBB229_2
; %bb.1:
	global_load_b32 v3, v96, s[6:7]
	s_waitcnt vmcnt(0)
	v_add_f32_e32 v24, v56, v3
.LBB229_2:
	global_load_u16 v3, v[1:2], off offset:64
	s_waitcnt vmcnt(0)
	v_lshlrev_b32_e32 v3, 16, v3
	s_delay_alu instid0(VALU_DEP_1) | instskip(NEXT) | instid1(VALU_DEP_1)
	v_mul_f32_e32 v4, 0x3fb8aa3b, v3
	v_cmp_gt_f32_e32 vcc_lo, 0xc2fc0000, v4
	v_cndmask_b32_e64 v4, 0, 0x42800000, vcc_lo
	v_cndmask_b32_e64 v5, 1.0, 0x1f800000, vcc_lo
	s_delay_alu instid0(VALU_DEP_2) | instskip(NEXT) | instid1(VALU_DEP_1)
	v_fmac_f32_e32 v4, 0x3fb8aa3b, v3
	v_exp_f32_e32 v4, v4
	s_waitcnt_depctr 0xfff
	v_fma_f32 v4, v4, v5, 1.0
	s_delay_alu instid0(VALU_DEP_1) | instskip(SKIP_1) | instid1(VALU_DEP_1)
	v_cmp_gt_f32_e32 vcc_lo, 0x800000, v4
	v_cndmask_b32_e64 v5, 1.0, 0x4f800000, vcc_lo
	v_mul_f32_e32 v4, v4, v5
	v_cndmask_b32_e64 v5, 0, 0x42000000, vcc_lo
	v_cmp_lt_f32_e32 vcc_lo, 0x41a00000, v3
	s_delay_alu instid0(VALU_DEP_3) | instskip(SKIP_2) | instid1(VALU_DEP_1)
	v_log_f32_e32 v4, v4
	s_waitcnt_depctr 0xfff
	v_sub_f32_e32 v4, v4, v5
	v_mul_f32_e32 v4, 0x3f317218, v4
	s_delay_alu instid0(VALU_DEP_1) | instskip(NEXT) | instid1(VALU_DEP_1)
	v_cndmask_b32_e32 v3, v4, v3, vcc_lo
	v_mul_f32_e32 v4, 0x4f800000, v3
	v_cmp_gt_f32_e32 vcc_lo, 0xf800000, v3
	s_delay_alu instid0(VALU_DEP_2) | instskip(NEXT) | instid1(VALU_DEP_1)
	v_cndmask_b32_e32 v4, v3, v4, vcc_lo
	v_sqrt_f32_e32 v3, v4
	s_waitcnt_depctr 0xfff
	v_add_nc_u32_e32 v5, -1, v3
	v_add_nc_u32_e32 v6, 1, v3
	s_delay_alu instid0(VALU_DEP_2) | instskip(NEXT) | instid1(VALU_DEP_2)
	v_fma_f32 v7, -v5, v3, v4
	v_fma_f32 v8, -v6, v3, v4
	s_delay_alu instid0(VALU_DEP_2) | instskip(NEXT) | instid1(VALU_DEP_1)
	v_cmp_ge_f32_e64 s2, 0, v7
	v_cndmask_b32_e64 v3, v3, v5, s2
	s_delay_alu instid0(VALU_DEP_3) | instskip(NEXT) | instid1(VALU_DEP_1)
	v_cmp_lt_f32_e64 s2, 0, v8
	v_cndmask_b32_e64 v3, v3, v6, s2
	s_delay_alu instid0(VALU_DEP_1) | instskip(NEXT) | instid1(VALU_DEP_1)
	v_mul_f32_e32 v5, 0x37800000, v3
	v_cndmask_b32_e32 v5, v3, v5, vcc_lo
	v_cmp_class_f32_e64 vcc_lo, v4, 0x260
	v_cndmask_b32_e64 v3, 0, 1, s3
	s_delay_alu instid0(VALU_DEP_3) | instskip(SKIP_1) | instid1(VALU_DEP_1)
	v_cndmask_b32_e32 v9, v5, v4, vcc_lo
	s_and_not1_b32 vcc_lo, exec_lo, s3
	v_mov_b32_e32 v25, v9
	s_cbranch_vccnz .LBB229_4
; %bb.3:
	global_load_b32 v4, v96, s[6:7] offset:128
	s_waitcnt vmcnt(0)
	v_add_f32_e32 v25, v9, v4
.LBB229_4:
	global_load_u16 v4, v[1:2], off offset:128
	s_waitcnt vmcnt(0)
	v_lshlrev_b32_e32 v4, 16, v4
	s_delay_alu instid0(VALU_DEP_1) | instskip(NEXT) | instid1(VALU_DEP_1)
	v_mul_f32_e32 v5, 0x3fb8aa3b, v4
	v_cmp_gt_f32_e32 vcc_lo, 0xc2fc0000, v5
	v_cndmask_b32_e64 v5, 0, 0x42800000, vcc_lo
	v_cndmask_b32_e64 v6, 1.0, 0x1f800000, vcc_lo
	s_delay_alu instid0(VALU_DEP_2) | instskip(NEXT) | instid1(VALU_DEP_1)
	v_fmac_f32_e32 v5, 0x3fb8aa3b, v4
	v_exp_f32_e32 v5, v5
	s_waitcnt_depctr 0xfff
	v_fma_f32 v5, v5, v6, 1.0
	s_delay_alu instid0(VALU_DEP_1) | instskip(SKIP_1) | instid1(VALU_DEP_1)
	v_cmp_gt_f32_e32 vcc_lo, 0x800000, v5
	v_cndmask_b32_e64 v6, 1.0, 0x4f800000, vcc_lo
	v_mul_f32_e32 v5, v5, v6
	v_cndmask_b32_e64 v6, 0, 0x42000000, vcc_lo
	v_cmp_lt_f32_e32 vcc_lo, 0x41a00000, v4
	s_delay_alu instid0(VALU_DEP_3) | instskip(SKIP_2) | instid1(VALU_DEP_1)
	v_log_f32_e32 v5, v5
	s_waitcnt_depctr 0xfff
	v_sub_f32_e32 v5, v5, v6
	v_mul_f32_e32 v5, 0x3f317218, v5
	s_delay_alu instid0(VALU_DEP_1) | instskip(NEXT) | instid1(VALU_DEP_1)
	v_cndmask_b32_e32 v4, v5, v4, vcc_lo
	v_mul_f32_e32 v5, 0x4f800000, v4
	v_cmp_gt_f32_e32 vcc_lo, 0xf800000, v4
	s_delay_alu instid0(VALU_DEP_2) | instskip(NEXT) | instid1(VALU_DEP_1)
	v_cndmask_b32_e32 v4, v4, v5, vcc_lo
	v_sqrt_f32_e32 v5, v4
	s_waitcnt_depctr 0xfff
	v_add_nc_u32_e32 v6, -1, v5
	v_add_nc_u32_e32 v7, 1, v5
	s_delay_alu instid0(VALU_DEP_2) | instskip(NEXT) | instid1(VALU_DEP_2)
	v_fma_f32 v8, -v6, v5, v4
	v_fma_f32 v10, -v7, v5, v4
	s_delay_alu instid0(VALU_DEP_2) | instskip(NEXT) | instid1(VALU_DEP_1)
	v_cmp_ge_f32_e64 s2, 0, v8
	v_cndmask_b32_e64 v5, v5, v6, s2
	s_delay_alu instid0(VALU_DEP_3) | instskip(NEXT) | instid1(VALU_DEP_1)
	v_cmp_lt_f32_e64 s2, 0, v10
	v_cndmask_b32_e64 v5, v5, v7, s2
	s_delay_alu instid0(VALU_DEP_1) | instskip(NEXT) | instid1(VALU_DEP_1)
	v_mul_f32_e32 v6, 0x37800000, v5
	v_cndmask_b32_e32 v5, v5, v6, vcc_lo
	v_cmp_class_f32_e64 vcc_lo, v4, 0x260
	s_delay_alu instid0(VALU_DEP_2) | instskip(SKIP_1) | instid1(VALU_DEP_2)
	v_cndmask_b32_e32 v10, v5, v4, vcc_lo
	v_cmp_ne_u32_e32 vcc_lo, 1, v3
	v_mov_b32_e32 v26, v10
	s_cbranch_vccnz .LBB229_6
; %bb.5:
	global_load_b32 v4, v96, s[6:7] offset:256
	s_waitcnt vmcnt(0)
	v_add_f32_e32 v26, v10, v4
.LBB229_6:
	global_load_u16 v4, v[1:2], off offset:192
	s_waitcnt vmcnt(0)
	v_lshlrev_b32_e32 v4, 16, v4
	s_delay_alu instid0(VALU_DEP_1) | instskip(NEXT) | instid1(VALU_DEP_1)
	v_mul_f32_e32 v5, 0x3fb8aa3b, v4
	v_cmp_gt_f32_e32 vcc_lo, 0xc2fc0000, v5
	v_cndmask_b32_e64 v5, 0, 0x42800000, vcc_lo
	v_cndmask_b32_e64 v6, 1.0, 0x1f800000, vcc_lo
	s_delay_alu instid0(VALU_DEP_2) | instskip(NEXT) | instid1(VALU_DEP_1)
	v_fmac_f32_e32 v5, 0x3fb8aa3b, v4
	v_exp_f32_e32 v5, v5
	s_waitcnt_depctr 0xfff
	v_fma_f32 v5, v5, v6, 1.0
	s_delay_alu instid0(VALU_DEP_1) | instskip(SKIP_1) | instid1(VALU_DEP_1)
	v_cmp_gt_f32_e32 vcc_lo, 0x800000, v5
	v_cndmask_b32_e64 v6, 1.0, 0x4f800000, vcc_lo
	v_mul_f32_e32 v5, v5, v6
	v_cndmask_b32_e64 v6, 0, 0x42000000, vcc_lo
	v_cmp_lt_f32_e32 vcc_lo, 0x41a00000, v4
	s_delay_alu instid0(VALU_DEP_3) | instskip(SKIP_2) | instid1(VALU_DEP_1)
	v_log_f32_e32 v5, v5
	s_waitcnt_depctr 0xfff
	v_sub_f32_e32 v5, v5, v6
	v_mul_f32_e32 v5, 0x3f317218, v5
	s_delay_alu instid0(VALU_DEP_1) | instskip(NEXT) | instid1(VALU_DEP_1)
	v_cndmask_b32_e32 v4, v5, v4, vcc_lo
	v_mul_f32_e32 v5, 0x4f800000, v4
	v_cmp_gt_f32_e32 vcc_lo, 0xf800000, v4
	s_delay_alu instid0(VALU_DEP_2) | instskip(NEXT) | instid1(VALU_DEP_1)
	v_cndmask_b32_e32 v4, v4, v5, vcc_lo
	v_sqrt_f32_e32 v5, v4
	s_waitcnt_depctr 0xfff
	v_add_nc_u32_e32 v6, -1, v5
	v_add_nc_u32_e32 v7, 1, v5
	s_delay_alu instid0(VALU_DEP_2) | instskip(NEXT) | instid1(VALU_DEP_2)
	v_fma_f32 v8, -v6, v5, v4
	v_fma_f32 v11, -v7, v5, v4
	s_delay_alu instid0(VALU_DEP_2) | instskip(NEXT) | instid1(VALU_DEP_1)
	v_cmp_ge_f32_e64 s2, 0, v8
	v_cndmask_b32_e64 v5, v5, v6, s2
	s_delay_alu instid0(VALU_DEP_3) | instskip(NEXT) | instid1(VALU_DEP_1)
	v_cmp_lt_f32_e64 s2, 0, v11
	v_cndmask_b32_e64 v5, v5, v7, s2
	s_delay_alu instid0(VALU_DEP_1) | instskip(NEXT) | instid1(VALU_DEP_1)
	v_mul_f32_e32 v6, 0x37800000, v5
	v_cndmask_b32_e32 v5, v5, v6, vcc_lo
	v_cmp_class_f32_e64 vcc_lo, v4, 0x260
	s_delay_alu instid0(VALU_DEP_2) | instskip(SKIP_1) | instid1(VALU_DEP_2)
	v_cndmask_b32_e32 v11, v5, v4, vcc_lo
	v_cmp_ne_u32_e32 vcc_lo, 1, v3
	;; [unrolled: 57-line block ×5, first 2 shown]
	v_mov_b32_e32 v30, v14
	s_cbranch_vccnz .LBB229_14
; %bb.13:
	global_load_b32 v4, v96, s[6:7] offset:768
	s_waitcnt vmcnt(0)
	v_add_f32_e32 v30, v14, v4
.LBB229_14:
	global_load_u16 v1, v[1:2], off offset:448
	s_waitcnt vmcnt(0)
	v_lshlrev_b32_e32 v1, 16, v1
	s_delay_alu instid0(VALU_DEP_1) | instskip(NEXT) | instid1(VALU_DEP_1)
	v_mul_f32_e32 v2, 0x3fb8aa3b, v1
	v_cmp_gt_f32_e32 vcc_lo, 0xc2fc0000, v2
	v_cndmask_b32_e64 v2, 0, 0x42800000, vcc_lo
	v_cndmask_b32_e64 v4, 1.0, 0x1f800000, vcc_lo
	s_delay_alu instid0(VALU_DEP_2) | instskip(NEXT) | instid1(VALU_DEP_1)
	v_fmac_f32_e32 v2, 0x3fb8aa3b, v1
	v_exp_f32_e32 v2, v2
	s_waitcnt_depctr 0xfff
	v_fma_f32 v2, v2, v4, 1.0
	s_delay_alu instid0(VALU_DEP_1) | instskip(SKIP_1) | instid1(VALU_DEP_1)
	v_cmp_gt_f32_e32 vcc_lo, 0x800000, v2
	v_cndmask_b32_e64 v4, 1.0, 0x4f800000, vcc_lo
	v_mul_f32_e32 v2, v2, v4
	v_cndmask_b32_e64 v4, 0, 0x42000000, vcc_lo
	v_cmp_lt_f32_e32 vcc_lo, 0x41a00000, v1
	s_delay_alu instid0(VALU_DEP_3) | instskip(SKIP_2) | instid1(VALU_DEP_1)
	v_log_f32_e32 v2, v2
	s_waitcnt_depctr 0xfff
	v_sub_f32_e32 v2, v2, v4
	v_mul_f32_e32 v2, 0x3f317218, v2
	s_delay_alu instid0(VALU_DEP_1) | instskip(NEXT) | instid1(VALU_DEP_1)
	v_cndmask_b32_e32 v1, v2, v1, vcc_lo
	v_mul_f32_e32 v2, 0x4f800000, v1
	v_cmp_gt_f32_e32 vcc_lo, 0xf800000, v1
	s_delay_alu instid0(VALU_DEP_2) | instskip(NEXT) | instid1(VALU_DEP_1)
	v_cndmask_b32_e32 v1, v1, v2, vcc_lo
	v_sqrt_f32_e32 v2, v1
	s_waitcnt_depctr 0xfff
	v_add_nc_u32_e32 v4, -1, v2
	v_add_nc_u32_e32 v5, 1, v2
	s_delay_alu instid0(VALU_DEP_2) | instskip(NEXT) | instid1(VALU_DEP_2)
	v_fma_f32 v6, -v4, v2, v1
	v_fma_f32 v7, -v5, v2, v1
	s_delay_alu instid0(VALU_DEP_2) | instskip(NEXT) | instid1(VALU_DEP_1)
	v_cmp_ge_f32_e64 s2, 0, v6
	v_cndmask_b32_e64 v2, v2, v4, s2
	s_delay_alu instid0(VALU_DEP_3) | instskip(NEXT) | instid1(VALU_DEP_1)
	v_cmp_lt_f32_e64 s2, 0, v7
	v_cndmask_b32_e64 v2, v2, v5, s2
	s_delay_alu instid0(VALU_DEP_1) | instskip(NEXT) | instid1(VALU_DEP_1)
	v_mul_f32_e32 v4, 0x37800000, v2
	v_cndmask_b32_e32 v2, v2, v4, vcc_lo
	v_cmp_class_f32_e64 vcc_lo, v1, 0x260
	s_delay_alu instid0(VALU_DEP_2)
	v_cndmask_b32_e32 v15, v2, v1, vcc_lo
	v_cmp_ne_u32_e32 vcc_lo, 1, v3
	s_cbranch_vccnz .LBB229_16
; %bb.15:
	global_load_b32 v1, v96, s[6:7] offset:896
	s_waitcnt vmcnt(0)
	v_add_f32_e32 v31, v15, v1
	s_branch .LBB229_17
.LBB229_16:
	s_delay_alu instid0(VALU_DEP_2)
	v_mov_b32_e32 v31, v15
.LBB229_17:
	v_add_nc_u32_e32 v7, 0xe0, v0
	v_dual_mov_b32 v16, v24 :: v_dual_add_nc_u32 v1, 32, v0
	v_dual_mov_b32 v17, v25 :: v_dual_add_nc_u32 v2, 64, v0
	;; [unrolled: 1-line block ×6, first 2 shown]
	v_dual_mov_b32 v22, v30 :: v_dual_mov_b32 v39, v7
	s_delay_alu instid0(VALU_DEP_2)
	v_dual_mov_b32 v47, v7 :: v_dual_mov_b32 v46, v6
	v_dual_mov_b32 v71, v7 :: v_dual_mov_b32 v70, v6
	;; [unrolled: 1-line block ×16, first 2 shown]
	v_mov_b32_e32 v8, v56
	s_mov_b32 s2, exec_lo
	v_cmpx_lt_f32_e32 v24, v25
	s_xor_b32 s2, exec_lo, s2
	s_cbranch_execz .LBB229_19
; %bb.18:
	v_dual_mov_b32 v38, v6 :: v_dual_mov_b32 v39, v7
	v_dual_mov_b32 v32, v1 :: v_dual_mov_b32 v33, v0
	;; [unrolled: 1-line block ×4, first 2 shown]
	s_delay_alu instid0(VALU_DEP_4)
	v_dual_mov_b32 v47, v39 :: v_dual_mov_b32 v46, v38
	v_dual_mov_b32 v71, v39 :: v_dual_mov_b32 v70, v38
	;; [unrolled: 1-line block ×17, first 2 shown]
	v_mov_b32_e32 v9, v56
	v_mov_b32_e32 v1, v0
.LBB229_19:
	s_or_b32 exec_lo, exec_lo, s2
	v_dual_mov_b32 v63, v15 :: v_dual_mov_b32 v62, v14
	v_dual_mov_b32 v79, v15 :: v_dual_mov_b32 v78, v14
	;; [unrolled: 1-line block ×16, first 2 shown]
	v_mov_b32_e32 v24, v18
	s_mov_b32 s2, exec_lo
	v_cmpx_lt_f32_e32 v25, v18
	s_cbranch_execz .LBB229_21
; %bb.20:
	v_dual_mov_b32 v55, v39 :: v_dual_mov_b32 v54, v38
	v_dual_mov_b32 v51, v35 :: v_dual_mov_b32 v50, v34
	;; [unrolled: 1-line block ×16, first 2 shown]
	v_mov_b32_e32 v83, v11
	v_dual_mov_b32 v85, v93 :: v_dual_mov_b32 v86, v94
	v_dual_mov_b32 v87, v95 :: v_dual_mov_b32 v40, v64
	;; [unrolled: 1-line block ×3, first 2 shown]
	v_mov_b32_e32 v42, v66
	v_dual_mov_b32 v17, v18 :: v_dual_mov_b32 v72, v80
	v_dual_mov_b32 v41, v65 :: v_dual_mov_b32 v44, v68
	v_dual_mov_b32 v75, v83 :: v_dual_mov_b32 v76, v84
	v_dual_mov_b32 v43, v67 :: v_dual_mov_b32 v46, v70
	v_dual_mov_b32 v45, v69 :: v_dual_mov_b32 v44, v4
	v_dual_mov_b32 v47, v71 :: v_dual_mov_b32 v18, v25
	v_dual_mov_b32 v77, v85 :: v_dual_mov_b32 v78, v86
	v_dual_mov_b32 v79, v87 :: v_dual_mov_b32 v76, v12
	v_dual_mov_b32 v73, v81 :: v_dual_mov_b32 v74, v82
	v_dual_mov_b32 v32, v40 :: v_dual_mov_b32 v33, v41
	s_delay_alu instid0(VALU_DEP_2)
	v_dual_mov_b32 v56, v72 :: v_dual_mov_b32 v57, v73
	v_dual_mov_b32 v36, v44 :: v_dual_mov_b32 v37, v45
	;; [unrolled: 1-line block ×11, first 2 shown]
	v_mov_b32_e32 v2, v1
.LBB229_21:
	s_or_b32 exec_lo, exec_lo, s2
	v_mov_b32_e32 v1, v19
	s_mov_b32 s2, exec_lo
	v_cmpx_lt_f32_e32 v24, v19
	s_cbranch_execz .LBB229_23
; %bb.22:
	v_mov_b32_e32 v90, v11
	v_mov_b32_e32 v50, v3
	v_dual_mov_b32 v80, v88 :: v_dual_mov_b32 v81, v89
	v_dual_mov_b32 v71, v55 :: v_dual_mov_b32 v70, v54
	;; [unrolled: 1-line block ×3, first 2 shown]
	s_delay_alu instid0(VALU_DEP_4)
	v_dual_mov_b32 v83, v91 :: v_dual_mov_b32 v66, v50
	v_dual_mov_b32 v65, v49 :: v_dual_mov_b32 v68, v52
	;; [unrolled: 1-line block ×3, first 2 shown]
	v_mov_b32_e32 v67, v2
	v_dual_mov_b32 v82, v90 :: v_dual_mov_b32 v87, v95
	v_dual_mov_b32 v85, v93 :: v_dual_mov_b32 v86, v94
	;; [unrolled: 1-line block ×11, first 2 shown]
	v_mov_b32_e32 v44, v4
	v_dual_mov_b32 v56, v72 :: v_dual_mov_b32 v57, v73
	v_dual_mov_b32 v32, v40 :: v_dual_mov_b32 v35, v43
	;; [unrolled: 1-line block ×3, first 2 shown]
	s_delay_alu instid0(VALU_DEP_4)
	v_dual_mov_b32 v37, v45 :: v_dual_mov_b32 v36, v44
	v_dual_mov_b32 v39, v47 :: v_dual_mov_b32 v38, v46
	;; [unrolled: 1-line block ×3, first 2 shown]
	v_mov_b32_e32 v63, v79
	v_dual_mov_b32 v61, v77 :: v_dual_mov_b32 v62, v78
	v_mov_b32_e32 v39, v7
	v_dual_mov_b32 v18, v19 :: v_dual_mov_b32 v19, v24
	v_dual_mov_b32 v60, v76 :: v_dual_mov_b32 v37, v5
	;; [unrolled: 1-line block ×4, first 2 shown]
	v_mov_b32_e32 v1, v24
	v_mov_b32_e32 v11, v10
	;; [unrolled: 1-line block ×3, first 2 shown]
.LBB229_23:
	s_or_b32 exec_lo, exec_lo, s2
	v_mov_b32_e32 v2, v20
	s_mov_b32 s2, exec_lo
	v_cmpx_lt_f32_e32 v1, v20
	s_cbranch_execz .LBB229_25
; %bb.24:
	v_mov_b32_e32 v91, v12
	v_mov_b32_e32 v51, v4
	;; [unrolled: 1-line block ×4, first 2 shown]
	v_dual_mov_b32 v40, v48 :: v_dual_mov_b32 v41, v49
	v_dual_mov_b32 v42, v50 :: v_dual_mov_b32 v47, v55
	;; [unrolled: 1-line block ×4, first 2 shown]
	v_mov_b32_e32 v44, v3
	v_dual_mov_b32 v76, v11 :: v_dual_mov_b32 v19, v20
	v_dual_mov_b32 v45, v53 :: v_dual_mov_b32 v46, v54
	;; [unrolled: 1-line block ×4, first 2 shown]
	v_mov_b32_e32 v73, v89
	v_mov_b32_e32 v56, v72
	v_dual_mov_b32 v32, v40 :: v_dual_mov_b32 v33, v41
	v_dual_mov_b32 v60, v76 :: v_dual_mov_b32 v61, v77
	;; [unrolled: 1-line block ×9, first 2 shown]
	v_mov_b32_e32 v59, v75
	v_dual_mov_b32 v37, v5 :: v_dual_mov_b32 v38, v6
	v_dual_mov_b32 v39, v7 :: v_dual_mov_b32 v62, v14
	;; [unrolled: 1-line block ×10, first 2 shown]
	v_mov_b32_e32 v4, v3
.LBB229_25:
	s_or_b32 exec_lo, exec_lo, s2
	v_mov_b32_e32 v1, v21
	s_mov_b32 s2, exec_lo
	v_cmpx_lt_f32_e32 v2, v21
	s_cbranch_execz .LBB229_27
; %bb.26:
	v_mov_b32_e32 v68, v5
	v_dual_mov_b32 v20, v21 :: v_dual_mov_b32 v21, v2
	v_mov_b32_e32 v84, v13
	v_dual_mov_b32 v32, v64 :: v_dual_mov_b32 v33, v65
	v_dual_mov_b32 v39, v71 :: v_dual_mov_b32 v56, v80
	;; [unrolled: 1-line block ×7, first 2 shown]
	v_mov_b32_e32 v61, v12
	v_dual_mov_b32 v72, v80 :: v_dual_mov_b32 v73, v81
	v_dual_mov_b32 v40, v64 :: v_dual_mov_b32 v41, v65
	;; [unrolled: 1-line block ×9, first 2 shown]
	v_mov_b32_e32 v45, v69
	v_mov_b32_e32 v1, v2
	;; [unrolled: 1-line block ×3, first 2 shown]
	v_dual_mov_b32 v5, v4 :: v_dual_mov_b32 v78, v86
	v_dual_mov_b32 v79, v87 :: v_dual_mov_b32 v46, v70
	v_mov_b32_e32 v47, v71
.LBB229_27:
	s_or_b32 exec_lo, exec_lo, s2
	v_mov_b32_e32 v2, v22
	s_mov_b32 s2, exec_lo
	v_cmpx_lt_f32_e32 v1, v22
	s_cbranch_execz .LBB229_29
; %bb.28:
	v_dual_mov_b32 v77, v14 :: v_dual_mov_b32 v78, v13
	v_dual_mov_b32 v45, v6 :: v_dual_mov_b32 v46, v5
	v_mov_b32_e32 v79, v15
	v_dual_mov_b32 v21, v22 :: v_dual_mov_b32 v22, v1
	v_dual_mov_b32 v47, v7 :: v_dual_mov_b32 v56, v72
	;; [unrolled: 1-line block ×10, first 2 shown]
.LBB229_29:
	s_or_b32 exec_lo, exec_lo, s2
	s_delay_alu instid0(VALU_DEP_1)
	v_cmp_lt_f32_e32 vcc_lo, v2, v23
	v_mov_b32_e32 v43, v59
	v_cmp_lt_f32_e64 s2, v16, v17
	v_dual_mov_b32 v41, v57 :: v_dual_mov_b32 v42, v58
	v_dual_cndmask_b32 v9, v23, v2 :: v_dual_mov_b32 v44, v60
	v_dual_cndmask_b32 v22, v22, v23 :: v_dual_cndmask_b32 v47, v63, v62
	s_delay_alu instid0(VALU_DEP_2)
	v_dual_mov_b32 v40, v56 :: v_dual_mov_b32 v23, v9
	v_dual_cndmask_b32 v46, v62, v63 :: v_dual_mov_b32 v1, v16
	v_dual_mov_b32 v4, v19 :: v_dual_mov_b32 v45, v61
	v_dual_cndmask_b32 v54, v38, v39 :: v_dual_cndmask_b32 v55, v39, v38
	v_dual_mov_b32 v2, v17 :: v_dual_mov_b32 v3, v18
	v_dual_mov_b32 v6, v21 :: v_dual_mov_b32 v5, v20
	;; [unrolled: 1-line block ×6, first 2 shown]
	s_and_saveexec_b32 s3, s2
	s_delay_alu instid0(SALU_CYCLE_1)
	s_xor_b32 s2, exec_lo, s3
	s_cbranch_execz .LBB229_31
; %bb.30:
	v_dual_mov_b32 v2, v17 :: v_dual_mov_b32 v3, v16
	v_dual_mov_b32 v4, v18 :: v_dual_mov_b32 v5, v19
	v_dual_mov_b32 v6, v20 :: v_dual_mov_b32 v7, v21
	v_dual_mov_b32 v8, v22 :: v_dual_mov_b32 v17, v16
	s_delay_alu instid0(VALU_DEP_4)
	v_dual_mov_b32 v1, v2 :: v_dual_mov_b32 v40, v57
	v_dual_mov_b32 v2, v3 :: v_dual_mov_b32 v41, v56
	;; [unrolled: 1-line block ×10, first 2 shown]
.LBB229_31:
	s_or_b32 exec_lo, exec_lo, s2
	v_dual_mov_b32 v26, v40 :: v_dual_mov_b32 v27, v41
	v_dual_mov_b32 v79, v47 :: v_dual_mov_b32 v78, v46
	;; [unrolled: 1-line block ×22, first 2 shown]
	v_mov_b32_e32 v34, v3
	s_mov_b32 s2, exec_lo
	v_dual_mov_b32 v77, v45 :: v_dual_mov_b32 v76, v44
	v_dual_mov_b32 v69, v53 :: v_dual_mov_b32 v68, v52
	v_cmpx_lt_f32_e32 v17, v3
	s_cbranch_execz .LBB229_33
; %bb.32:
	v_dual_mov_b32 v9, v48 :: v_dual_mov_b32 v10, v49
	v_dual_mov_b32 v15, v54 :: v_dual_mov_b32 v16, v55
	v_mov_b32_e32 v10, v50
	v_dual_mov_b32 v11, v50 :: v_dual_mov_b32 v12, v51
	v_dual_mov_b32 v13, v52 :: v_dual_mov_b32 v14, v53
	;; [unrolled: 1-line block ×3, first 2 shown]
	v_mov_b32_e32 v11, v49
	v_dual_mov_b32 v59, v43 :: v_dual_mov_b32 v58, v42
	v_dual_mov_b32 v57, v41 :: v_dual_mov_b32 v56, v40
	;; [unrolled: 1-line block ×14, first 2 shown]
	v_mov_b32_e32 v23, v69
	v_dual_mov_b32 v23, v53 :: v_dual_mov_b32 v26, v72
	v_dual_mov_b32 v19, v65 :: v_dual_mov_b32 v22, v68
	;; [unrolled: 1-line block ×12, first 2 shown]
	v_mov_b32_e32 v42, v41
	v_mov_b32_e32 v50, v49
.LBB229_33:
	s_or_b32 exec_lo, exec_lo, s2
	v_mov_b32_e32 v17, v4
	s_mov_b32 s2, exec_lo
	v_cmpx_lt_f32_e32 v34, v4
	s_cbranch_execz .LBB229_35
; %bb.34:
	v_mov_b32_e32 v11, v51
	v_dual_mov_b32 v3, v4 :: v_dual_mov_b32 v4, v34
	v_dual_mov_b32 v58, v43 :: v_dual_mov_b32 v71, v16
	v_mov_b32_e32 v64, v9
	v_dual_mov_b32 v70, v15 :: v_dual_mov_b32 v69, v14
	v_dual_mov_b32 v79, v63 :: v_dual_mov_b32 v76, v60
	;; [unrolled: 1-line block ×5, first 2 shown]
	v_mov_b32_e32 v67, v50
	v_dual_mov_b32 v78, v62 :: v_dual_mov_b32 v77, v61
	v_dual_mov_b32 v74, v58 :: v_dual_mov_b32 v73, v57
	;; [unrolled: 1-line block ×14, first 2 shown]
	v_mov_b32_e32 v33, v47
	v_mov_b32_e32 v17, v34
	;; [unrolled: 1-line block ×4, first 2 shown]
.LBB229_35:
	s_or_b32 exec_lo, exec_lo, s2
	v_mov_b32_e32 v12, v5
	s_mov_b32 s2, exec_lo
	v_cmpx_lt_f32_e32 v17, v5
	s_cbranch_execz .LBB229_37
; %bb.36:
	v_mov_b32_e32 v12, v52
	v_dual_mov_b32 v4, v5 :: v_dual_mov_b32 v59, v44
	v_mov_b32_e32 v5, v17
	v_dual_mov_b32 v25, v16 :: v_dual_mov_b32 v24, v15
	v_dual_mov_b32 v26, v56 :: v_dual_mov_b32 v27, v57
	;; [unrolled: 1-line block ×19, first 2 shown]
	v_mov_b32_e32 v12, v17
	v_mov_b32_e32 v44, v43
	v_dual_mov_b32 v52, v51 :: v_dual_mov_b32 v77, v61
	v_mov_b32_e32 v76, v60
.LBB229_37:
	s_or_b32 exec_lo, exec_lo, s2
	v_mov_b32_e32 v9, v6
	s_mov_b32 s2, exec_lo
	v_cmpx_lt_f32_e32 v12, v6
	s_cbranch_execz .LBB229_39
; %bb.38:
	v_dual_mov_b32 v68, v53 :: v_dual_mov_b32 v69, v52
	v_dual_mov_b32 v70, v54 :: v_dual_mov_b32 v77, v44
	v_dual_mov_b32 v76, v45 :: v_dual_mov_b32 v79, v47
	v_dual_mov_b32 v78, v46 :: v_dual_mov_b32 v71, v55
	v_dual_mov_b32 v26, v72 :: v_dual_mov_b32 v27, v73
	v_dual_mov_b32 v18, v64 :: v_dual_mov_b32 v19, v65
	v_dual_mov_b32 v5, v6 :: v_dual_mov_b32 v6, v12
	v_dual_mov_b32 v28, v74 :: v_dual_mov_b32 v29, v75
	v_dual_mov_b32 v30, v76 :: v_dual_mov_b32 v31, v77
	v_dual_mov_b32 v32, v78 :: v_dual_mov_b32 v33, v79
	v_dual_mov_b32 v20, v66 :: v_dual_mov_b32 v21, v67
	v_dual_mov_b32 v22, v68 :: v_dual_mov_b32 v23, v69
	v_dual_mov_b32 v24, v70 :: v_dual_mov_b32 v25, v71
	v_mov_b32_e32 v9, v12
.LBB229_39:
	s_or_b32 exec_lo, exec_lo, s2
	s_delay_alu instid0(VALU_DEP_1)
	v_cmp_lt_f32_e32 vcc_lo, v9, v7
	v_mov_b32_e32 v11, v3
	v_mov_b32_e32 v13, v5
	s_mov_b32 s2, exec_lo
	v_dual_mov_b32 v10, v2 :: v_dual_cndmask_b32 v17, v32, v31
	v_dual_cndmask_b32 v31, v31, v32 :: v_dual_cndmask_b32 v66, v24, v23
	v_dual_cndmask_b32 v23, v23, v24 :: v_dual_cndmask_b32 v14, v6, v7
	v_dual_cndmask_b32 v15, v7, v9 :: v_dual_mov_b32 v12, v4
	v_dual_mov_b32 v9, v1 :: v_dual_mov_b32 v16, v8
	v_cmpx_lt_f32_e32 v1, v2
	s_cbranch_execz .LBB229_41
; %bb.40:
	s_delay_alu instid0(VALU_DEP_2) | instskip(NEXT) | instid1(VALU_DEP_3)
	v_dual_mov_b32 v2, v10 :: v_dual_mov_b32 v3, v9
	v_dual_mov_b32 v8, v15 :: v_dual_mov_b32 v9, v16
	;; [unrolled: 1-line block ×4, first 2 shown]
	s_delay_alu instid0(VALU_DEP_3) | instskip(NEXT) | instid1(VALU_DEP_4)
	v_mov_b32_e32 v16, v9
	v_dual_mov_b32 v24, v26 :: v_dual_mov_b32 v15, v8
	s_delay_alu instid0(VALU_DEP_4)
	v_dual_mov_b32 v32, v18 :: v_dual_mov_b32 v11, v4
	v_swap_b32 v26, v27
	v_swap_b32 v18, v19
	v_dual_mov_b32 v14, v7 :: v_dual_mov_b32 v13, v6
	v_mov_b32_e32 v12, v5
	v_dual_mov_b32 v10, v3 :: v_dual_mov_b32 v9, v2
	v_mov_b32_e32 v2, v1
.LBB229_41:
	s_or_b32 exec_lo, exec_lo, s2
	v_mov_b32_e32 v24, v66
	v_mov_b32_e32 v32, v17
	;; [unrolled: 1-line block ×4, first 2 shown]
	s_delay_alu instid0(VALU_DEP_4)
	v_dual_mov_b32 v41, v33 :: v_dual_mov_b32 v48, v24
	v_dual_mov_b32 v34, v26 :: v_dual_mov_b32 v65, v33
	;; [unrolled: 1-line block ×15, first 2 shown]
	v_mov_b32_e32 v50, v18
	s_mov_b32 s2, exec_lo
	v_cmpx_lt_f32_e32 v2, v11
	s_cbranch_execz .LBB229_43
; %bb.42:
	v_dual_mov_b32 v57, v25 :: v_dual_mov_b32 v56, v24
	v_dual_mov_b32 v53, v21 :: v_dual_mov_b32 v52, v20
	;; [unrolled: 1-line block ×7, first 2 shown]
	s_delay_alu instid0(VALU_DEP_4)
	v_dual_mov_b32 v42, v50 :: v_dual_mov_b32 v43, v51
	v_dual_mov_b32 v63, v31 :: v_dual_mov_b32 v62, v30
	;; [unrolled: 1-line block ×18, first 2 shown]
	v_mov_b32_e32 v1, v2
.LBB229_43:
	s_or_b32 exec_lo, exec_lo, s2
	v_mov_b32_e32 v2, v12
	s_mov_b32 s2, exec_lo
	s_delay_alu instid0(VALU_DEP_2)
	v_cmpx_lt_f32_e32 v1, v12
	s_cbranch_execz .LBB229_45
; %bb.44:
	v_dual_mov_b32 v52, v21 :: v_dual_mov_b32 v11, v12
	v_mov_b32_e32 v60, v29
	v_dual_mov_b32 v42, v50 :: v_dual_mov_b32 v45, v53
	v_dual_mov_b32 v47, v55 :: v_dual_mov_b32 v34, v58
	s_delay_alu instid0(VALU_DEP_4)
	v_dual_mov_b32 v37, v61 :: v_dual_mov_b32 v44, v52
	v_dual_mov_b32 v49, v57 :: v_dual_mov_b32 v46, v54
	v_mov_b32_e32 v45, v20
	v_dual_mov_b32 v48, v56 :: v_dual_mov_b32 v47, v23
	v_dual_mov_b32 v36, v60 :: v_dual_mov_b32 v39, v63
	;; [unrolled: 1-line block ×9, first 2 shown]
	v_mov_b32_e32 v41, v33
	v_dual_mov_b32 v2, v1 :: v_dual_mov_b32 v21, v20
.LBB229_45:
	s_or_b32 exec_lo, exec_lo, s2
	v_mov_b32_e32 v1, v13
	s_mov_b32 s2, exec_lo
	s_delay_alu instid0(VALU_DEP_2)
	v_cmpx_lt_f32_e32 v2, v13
	s_cbranch_execz .LBB229_47
; %bb.46:
	v_dual_mov_b32 v53, v22 :: v_dual_mov_b32 v54, v21
	v_dual_mov_b32 v55, v23 :: v_dual_mov_b32 v56, v66
	;; [unrolled: 1-line block ×4, first 2 shown]
	v_mov_b32_e32 v57, v25
	v_dual_mov_b32 v65, v33 :: v_dual_mov_b32 v42, v50
	v_mov_b32_e32 v34, v58
	v_dual_mov_b32 v12, v13 :: v_dual_mov_b32 v13, v2
	v_dual_mov_b32 v35, v59 :: v_dual_mov_b32 v36, v60
	;; [unrolled: 1-line block ×7, first 2 shown]
	v_mov_b32_e32 v47, v55
	v_mov_b32_e32 v49, v57
	;; [unrolled: 1-line block ×3, first 2 shown]
.LBB229_47:
	s_or_b32 exec_lo, exec_lo, s2
	s_delay_alu instid0(VALU_DEP_1)
	v_cmp_lt_f32_e32 vcc_lo, v1, v14
	v_dual_mov_b32 v20, v10 :: v_dual_mov_b32 v25, v15
	v_mov_b32_e32 v22, v12
	v_dual_mov_b32 v26, v16 :: v_dual_cndmask_b32 v27, v39, v38
	v_cndmask_b32_e32 v38, v38, v39, vcc_lo
	v_dual_cndmask_b32 v28, v47, v46 :: v_dual_mov_b32 v19, v9
	v_dual_cndmask_b32 v46, v46, v47 :: v_dual_cndmask_b32 v23, v13, v14
	v_dual_cndmask_b32 v24, v14, v1 :: v_dual_mov_b32 v21, v11
	s_mov_b32 s2, exec_lo
	v_cmpx_lt_f32_e32 v9, v10
	s_cbranch_execz .LBB229_49
; %bb.48:
	v_dual_mov_b32 v7, v25 :: v_dual_mov_b32 v8, v26
	v_dual_mov_b32 v1, v20 :: v_dual_mov_b32 v2, v19
	v_dual_mov_b32 v3, v21 :: v_dual_mov_b32 v4, v22
	v_dual_mov_b32 v5, v23 :: v_dual_mov_b32 v6, v24
	s_delay_alu instid0(VALU_DEP_4)
	v_dual_mov_b32 v11, v34 :: v_dual_mov_b32 v26, v8
	v_dual_mov_b32 v12, v42 :: v_dual_mov_b32 v25, v7
	v_swap_b32 v34, v35
	v_swap_b32 v42, v43
	v_dual_mov_b32 v24, v6 :: v_dual_mov_b32 v23, v5
	v_dual_mov_b32 v22, v4 :: v_dual_mov_b32 v21, v3
	;; [unrolled: 1-line block ×3, first 2 shown]
	v_mov_b32_e32 v10, v9
.LBB229_49:
	s_or_b32 exec_lo, exec_lo, s2
	v_mov_b32_e32 v47, v28
	v_mov_b32_e32 v39, v27
	v_dual_mov_b32 v1, v42 :: v_dual_mov_b32 v4, v45
	v_dual_mov_b32 v11, v34 :: v_dual_mov_b32 v14, v37
	;; [unrolled: 1-line block ×3, first 2 shown]
	s_delay_alu instid0(VALU_DEP_4)
	v_dual_mov_b32 v16, v39 :: v_dual_mov_b32 v15, v38
	v_dual_mov_b32 v18, v41 :: v_dual_mov_b32 v17, v40
	;; [unrolled: 1-line block ×5, first 2 shown]
	v_mov_b32_e32 v9, v21
	s_mov_b32 s2, exec_lo
	v_cmpx_lt_f32_e32 v10, v21
	s_cbranch_execz .LBB229_51
; %bb.50:
	v_dual_mov_b32 v1, v42 :: v_dual_mov_b32 v2, v43
	v_dual_mov_b32 v5, v46 :: v_dual_mov_b32 v6, v47
	;; [unrolled: 1-line block ×16, first 2 shown]
	v_mov_b32_e32 v18, v41
	v_mov_b32_e32 v36, v35
	v_mov_b32_e32 v44, v43
.LBB229_51:
	s_or_b32 exec_lo, exec_lo, s2
	v_mov_b32_e32 v29, v22
	s_mov_b32 s2, exec_lo
	v_cmpx_lt_f32_e32 v9, v22
; %bb.52:
	v_dual_mov_b32 v21, v22 :: v_dual_mov_b32 v22, v9
	v_dual_mov_b32 v3, v45 :: v_dual_mov_b32 v4, v44
	;; [unrolled: 1-line block ×7, first 2 shown]
	v_mov_b32_e32 v29, v9
; %bb.53:
	s_or_b32 exec_lo, exec_lo, s2
	s_delay_alu instid0(VALU_DEP_1)
	v_cmp_lt_f32_e32 vcc_lo, v29, v23
	v_dual_mov_b32 v28, v20 :: v_dual_mov_b32 v33, v25
	v_mov_b32_e32 v32, v24
	v_dual_mov_b32 v34, v26 :: v_dual_cndmask_b32 v9, v15, v14
	v_cndmask_b32_e32 v14, v14, v15, vcc_lo
	v_dual_cndmask_b32 v10, v5, v4 :: v_dual_cndmask_b32 v31, v23, v29
	v_dual_cndmask_b32 v4, v4, v5 :: v_dual_mov_b32 v27, v19
	v_dual_cndmask_b32 v30, v22, v23 :: v_dual_mov_b32 v29, v21
	s_mov_b32 s2, exec_lo
	v_cmpx_lt_f32_e32 v19, v20
	s_cbranch_execz .LBB229_55
; %bb.54:
	v_dual_mov_b32 v20, v28 :: v_dual_mov_b32 v21, v27
	v_dual_mov_b32 v26, v33 :: v_dual_mov_b32 v27, v34
	;; [unrolled: 1-line block ×4, first 2 shown]
	s_delay_alu instid0(VALU_DEP_3) | instskip(SKIP_2) | instid1(VALU_DEP_4)
	v_dual_mov_b32 v15, v1 :: v_dual_mov_b32 v34, v27
	v_mov_b32_e32 v5, v11
	v_swap_b32 v11, v12
	v_mov_b32_e32 v32, v25
	v_swap_b32 v1, v2
	v_dual_mov_b32 v33, v26 :: v_dual_mov_b32 v30, v23
	v_dual_mov_b32 v31, v24 :: v_dual_mov_b32 v28, v21
	v_mov_b32_e32 v29, v22
	v_dual_mov_b32 v27, v20 :: v_dual_mov_b32 v20, v19
.LBB229_55:
	s_or_b32 exec_lo, exec_lo, s2
	v_mov_b32_e32 v5, v10
	v_mov_b32_e32 v15, v9
	;; [unrolled: 1-line block ×3, first 2 shown]
	s_mov_b32 s2, exec_lo
	v_cmpx_lt_f32_e32 v20, v29
	s_cbranch_execz .LBB229_57
; %bb.56:
	v_dual_mov_b32 v50, v18 :: v_dual_mov_b32 v49, v17
	v_dual_mov_b32 v42, v8 :: v_dual_mov_b32 v41, v7
	;; [unrolled: 1-line block ×14, first 2 shown]
	v_mov_b32_e32 v50, v18
	v_dual_mov_b32 v28, v29 :: v_dual_mov_b32 v29, v20
	v_dual_mov_b32 v42, v8 :: v_dual_mov_b32 v11, v43
	;; [unrolled: 1-line block ×10, first 2 shown]
.LBB229_57:
	s_or_b32 exec_lo, exec_lo, s2
	s_delay_alu instid0(VALU_DEP_1) | instskip(NEXT) | instid1(VALU_DEP_3)
	v_cmp_lt_f32_e32 vcc_lo, v19, v30
	v_dual_mov_b32 v20, v5 :: v_dual_mov_b32 v21, v6
	s_delay_alu instid0(VALU_DEP_3)
	v_dual_mov_b32 v22, v7 :: v_dual_mov_b32 v23, v8
	v_dual_cndmask_b32 v9, v14, v13 :: v_dual_cndmask_b32 v10, v4, v3
	v_dual_cndmask_b32 v35, v13, v14 :: v_dual_cndmask_b32 v36, v3, v4
	;; [unrolled: 1-line block ×3, first 2 shown]
	v_dual_mov_b32 v4, v15 :: v_dual_mov_b32 v13, v16
	v_dual_mov_b32 v14, v17 :: v_dual_mov_b32 v19, v18
	;; [unrolled: 1-line block ×4, first 2 shown]
	v_mov_b32_e32 v29, v34
	s_mov_b32 s2, exec_lo
	v_cmpx_lt_f32_e32 v27, v28
	s_cbranch_execz .LBB229_59
; %bb.58:
	v_dual_mov_b32 v24, v28 :: v_dual_mov_b32 v19, v18
	v_dual_mov_b32 v4, v11 :: v_dual_mov_b32 v13, v16
	;; [unrolled: 1-line block ×3, first 2 shown]
	v_swap_b32 v11, v12
	v_swap_b32 v1, v2
	v_dual_mov_b32 v28, v27 :: v_dual_mov_b32 v21, v6
	v_dual_mov_b32 v4, v15 :: v_dual_mov_b32 v23, v8
	;; [unrolled: 1-line block ×5, first 2 shown]
	v_mov_b32_e32 v24, v31
	v_mov_b32_e32 v26, v33
.LBB229_59:
	s_or_b32 exec_lo, exec_lo, s2
	s_clause 0x1
	s_load_b32 s8, s[0:1], 0x28
	s_load_b128 s[4:7], s[0:1], 0x10
	v_mov_b32_e32 v6, 0
	s_waitcnt lgkmcnt(0)
	s_cmp_lt_i32 s8, 1
	s_cbranch_scc1 .LBB229_65
; %bb.60:
	v_cmp_lt_f32_e32 vcc_lo, v28, v30
	s_mov_b32 s9, 0x76543210
	s_mov_b32 s10, s8
	v_dual_mov_b32 v7, 0 :: v_dual_mov_b32 v6, 0
	v_cndmask_b32_e32 v18, v37, v30, vcc_lo
	v_dual_cndmask_b32 v5, v36, v2 :: v_dual_cndmask_b32 v2, v2, v36
	v_cndmask_b32_e32 v8, v30, v28, vcc_lo
	v_dual_cndmask_b32 v15, v35, v12 :: v_dual_cndmask_b32 v28, v12, v35
	s_delay_alu instid0(VALU_DEP_4) | instskip(NEXT) | instid1(VALU_DEP_1)
	v_cmp_lt_f32_e64 s2, v27, v18
	v_cndmask_b32_e64 v12, v2, v1, s2
	v_cndmask_b32_e64 v16, v1, v2, s2
	;; [unrolled: 1-line block ×6, first 2 shown]
	v_dual_mov_b32 v28, v0 :: v_dual_mov_b32 v1, 0
	v_mov_b32_e32 v2, 0
.LBB229_61:                             ; =>This Inner Loop Header: Depth=1
	v_cmp_eq_u32_e32 vcc_lo, 1, v7
	v_cmp_eq_u32_e64 s2, 2, v7
	v_dual_cndmask_b32 v30, v18, v17 :: v_dual_cndmask_b32 v31, v16, v12
	v_cndmask_b32_e32 v32, v11, v27, vcc_lo
	v_cmp_eq_u32_e32 vcc_lo, 3, v7
	s_delay_alu instid0(VALU_DEP_3) | instskip(NEXT) | instid1(VALU_DEP_4)
	v_cndmask_b32_e64 v30, v30, v8, s2
	v_cndmask_b32_e64 v31, v31, v5, s2
	s_delay_alu instid0(VALU_DEP_4) | instskip(SKIP_1) | instid1(VALU_DEP_3)
	v_cndmask_b32_e64 v32, v32, v15, s2
	v_cmp_eq_u32_e64 s2, 4, v7
	v_dual_cndmask_b32 v30, v30, v3 :: v_dual_cndmask_b32 v31, v31, v10
	s_delay_alu instid0(VALU_DEP_3) | instskip(SKIP_1) | instid1(VALU_DEP_3)
	v_cndmask_b32_e32 v32, v32, v9, vcc_lo
	v_cmp_eq_u32_e32 vcc_lo, 5, v7
	v_cndmask_b32_e64 v30, v30, v24, s2
	s_delay_alu instid0(VALU_DEP_4) | instskip(NEXT) | instid1(VALU_DEP_4)
	v_cndmask_b32_e64 v31, v31, v20, s2
	v_cndmask_b32_e64 v32, v32, v4, s2
	v_cmp_eq_u32_e64 s2, 6, v7
	s_delay_alu instid0(VALU_DEP_4) | instskip(NEXT) | instid1(VALU_DEP_4)
	v_cndmask_b32_e32 v30, v30, v25, vcc_lo
	v_cndmask_b32_e32 v31, v31, v21, vcc_lo
	s_delay_alu instid0(VALU_DEP_4) | instskip(SKIP_1) | instid1(VALU_DEP_4)
	v_cndmask_b32_e32 v32, v32, v13, vcc_lo
	v_cmp_eq_u32_e32 vcc_lo, 7, v7
	v_cndmask_b32_e64 v30, v30, v26, s2
	s_delay_alu instid0(VALU_DEP_4) | instskip(NEXT) | instid1(VALU_DEP_4)
	v_cndmask_b32_e64 v31, v31, v22, s2
	v_cndmask_b32_e64 v32, v32, v14, s2
	v_cmp_gt_u32_e64 s2, 8, v7
	s_delay_alu instid0(VALU_DEP_3) | instskip(NEXT) | instid1(VALU_DEP_1)
	v_dual_cndmask_b32 v30, v30, v29 :: v_dual_cndmask_b32 v31, v31, v23
	v_cndmask_b32_e64 v30, 0xff800000, v30, s2
	;;#ASMSTART
	v_max_f32 v34, v30, v30 quad_perm:[1,0,3,2] row_mask:0xf bank_mask:0xf bound_ctrl:1
	;;#ASMEND
	;;#ASMSTART
	v_max_f32 v35, v34, v34 quad_perm:[2,3,0,1] row_mask:0xf bank_mask:0xf bound_ctrl:1
	;;#ASMEND
	;;#ASMSTART
	v_max_f32 v34, v35, v35 row_half_mirror row_mask:0xf bank_mask:0xf bound_ctrl:1
	;;#ASMEND
	;;#ASMSTART
	v_max_f32 v35, v34, v34 row_mirror row_mask:0xf bank_mask:0xf bound_ctrl:1
	;;#ASMEND
	v_permlanex16_b32 v34, v35, s9, 0xfedcba98 op_sel:[1,1]
	v_max_f32_e32 v35, v35, v35
	v_cndmask_b32_e64 v33, 0, v31, s2
	s_delay_alu instid0(VALU_DEP_3) | instskip(NEXT) | instid1(VALU_DEP_1)
	v_max_f32_e32 v34, v34, v34
	v_max_f32_e32 v34, v35, v34
	s_delay_alu instid0(VALU_DEP_1) | instskip(SKIP_1) | instid1(VALU_DEP_2)
	v_cmp_eq_f32_e64 s3, v30, v34
	v_cndmask_b32_e32 v30, v32, v19, vcc_lo
	s_ctz_i32_b32 s11, s3
	s_cmp_lg_u32 s3, 0
	s_cselect_b32 s3, s11, 0
	s_add_i32 s10, s10, -1
	v_readlane_b32 s3, v33, s3
	s_delay_alu instid0(VALU_DEP_1)
	v_cmp_eq_u32_e32 vcc_lo, s3, v31
	s_and_b32 vcc_lo, s2, vcc_lo
	s_and_b32 s2, s3, 31
	v_cndmask_b32_e32 v30, 0, v30, vcc_lo
	v_add_co_ci_u32_e32 v7, vcc_lo, 0, v7, vcc_lo
	s_cmp_eq_u32 s10, 0
	s_delay_alu instid0(VALU_DEP_2) | instskip(SKIP_2) | instid1(VALU_DEP_3)
	v_readlane_b32 s11, v30, s2
	v_cmp_eq_u32_e64 s2, 0, v28
	v_add_nc_u32_e32 v28, -1, v28
	v_add_f32_e32 v6, s11, v6
	s_delay_alu instid0(VALU_DEP_3)
	v_cndmask_b32_e64 v2, v2, s11, s2
	v_cndmask_b32_e64 v1, v1, s3, s2
	s_cbranch_scc0 .LBB229_61
; %bb.62:
	s_mov_b32 s2, exec_lo
	v_cmpx_gt_i32_e64 s8, v0
	s_cbranch_execz .LBB229_64
.LBB229_63:
	s_load_b32 s2, s[0:1], 0x30
	v_max_f32_e32 v0, v6, v6
	s_load_b64 s[0:1], s[0:1], 0x20
	s_ashr_i32 s3, s15, 31
	s_delay_alu instid0(VALU_DEP_1) | instskip(SKIP_1) | instid1(VALU_DEP_1)
	v_max_f32_e32 v0, 0x1e3ce508, v0
	s_waitcnt lgkmcnt(0)
	v_div_scale_f32 v3, null, v0, v0, s2
	v_div_scale_f32 v6, vcc_lo, s2, v0, s2
	s_mul_i32 s1, s15, s1
	s_delay_alu instid0(VALU_DEP_2)
	v_rcp_f32_e32 v4, v3
	s_mul_hi_u32 s8, s15, s0
	s_mul_i32 s3, s3, s0
	s_add_i32 s1, s8, s1
	s_mul_i32 s0, s15, s0
	s_add_i32 s1, s1, s3
	s_delay_alu instid0(SALU_CYCLE_1) | instskip(SKIP_2) | instid1(VALU_DEP_1)
	s_lshl_b64 s[0:1], s[0:1], 2
	s_waitcnt_depctr 0xfff
	v_fma_f32 v5, -v3, v4, 1.0
	v_fmac_f32_e32 v4, v5, v4
	s_delay_alu instid0(VALU_DEP_1) | instskip(NEXT) | instid1(VALU_DEP_1)
	v_mul_f32_e32 v5, v6, v4
	v_fma_f32 v7, -v3, v5, v6
	s_delay_alu instid0(VALU_DEP_1) | instskip(NEXT) | instid1(VALU_DEP_1)
	v_fmac_f32_e32 v5, v7, v4
	v_fma_f32 v3, -v3, v5, v6
	s_delay_alu instid0(VALU_DEP_1) | instskip(NEXT) | instid1(VALU_DEP_1)
	v_div_fmas_f32 v3, v3, v4, v5
	v_div_fixup_f32 v0, v3, v0, s2
	s_add_u32 s2, s4, s0
	s_addc_u32 s3, s5, s1
	s_add_u32 s0, s6, s0
	s_addc_u32 s1, s7, s1
	v_mul_f32_e32 v0, v2, v0
	s_clause 0x1
	global_store_b32 v96, v0, s[2:3]
	global_store_b32 v96, v1, s[0:1]
.LBB229_64:
	s_nop 0
	s_sendmsg sendmsg(MSG_DEALLOC_VGPRS)
	s_endpgm
.LBB229_65:
	v_dual_mov_b32 v1, 0 :: v_dual_mov_b32 v2, 0
	s_mov_b32 s2, exec_lo
	v_cmpx_gt_i32_e64 s8, v0
	s_cbranch_execnz .LBB229_63
	s_branch .LBB229_64
	.section	.rodata,"a",@progbits
	.p2align	6, 0x0
	.amdhsa_kernel _ZN5aiter24topk_softplus_kernel_optI12hip_bfloat16fLi256ELb1ELi0EEEvPKT_PKT0_PfPimiif
		.amdhsa_group_segment_fixed_size 0
		.amdhsa_private_segment_fixed_size 0
		.amdhsa_kernarg_size 52
		.amdhsa_user_sgpr_count 15
		.amdhsa_user_sgpr_dispatch_ptr 0
		.amdhsa_user_sgpr_queue_ptr 0
		.amdhsa_user_sgpr_kernarg_segment_ptr 1
		.amdhsa_user_sgpr_dispatch_id 0
		.amdhsa_user_sgpr_private_segment_size 0
		.amdhsa_wavefront_size32 1
		.amdhsa_uses_dynamic_stack 0
		.amdhsa_enable_private_segment 0
		.amdhsa_system_sgpr_workgroup_id_x 1
		.amdhsa_system_sgpr_workgroup_id_y 0
		.amdhsa_system_sgpr_workgroup_id_z 0
		.amdhsa_system_sgpr_workgroup_info 0
		.amdhsa_system_vgpr_workitem_id 0
		.amdhsa_next_free_vgpr 97
		.amdhsa_next_free_sgpr 16
		.amdhsa_reserve_vcc 1
		.amdhsa_float_round_mode_32 0
		.amdhsa_float_round_mode_16_64 0
		.amdhsa_float_denorm_mode_32 3
		.amdhsa_float_denorm_mode_16_64 3
		.amdhsa_dx10_clamp 1
		.amdhsa_ieee_mode 1
		.amdhsa_fp16_overflow 0
		.amdhsa_workgroup_processor_mode 1
		.amdhsa_memory_ordered 1
		.amdhsa_forward_progress 0
		.amdhsa_shared_vgpr_count 0
		.amdhsa_exception_fp_ieee_invalid_op 0
		.amdhsa_exception_fp_denorm_src 0
		.amdhsa_exception_fp_ieee_div_zero 0
		.amdhsa_exception_fp_ieee_overflow 0
		.amdhsa_exception_fp_ieee_underflow 0
		.amdhsa_exception_fp_ieee_inexact 0
		.amdhsa_exception_int_div_zero 0
	.end_amdhsa_kernel
	.section	.text._ZN5aiter24topk_softplus_kernel_optI12hip_bfloat16fLi256ELb1ELi0EEEvPKT_PKT0_PfPimiif,"axG",@progbits,_ZN5aiter24topk_softplus_kernel_optI12hip_bfloat16fLi256ELb1ELi0EEEvPKT_PKT0_PfPimiif,comdat
.Lfunc_end229:
	.size	_ZN5aiter24topk_softplus_kernel_optI12hip_bfloat16fLi256ELb1ELi0EEEvPKT_PKT0_PfPimiif, .Lfunc_end229-_ZN5aiter24topk_softplus_kernel_optI12hip_bfloat16fLi256ELb1ELi0EEEvPKT_PKT0_PfPimiif
                                        ; -- End function
	.section	.AMDGPU.csdata,"",@progbits
; Kernel info:
; codeLenInByte = 8548
; NumSgprs: 18
; NumVgprs: 97
; ScratchSize: 0
; MemoryBound: 0
; FloatMode: 240
; IeeeMode: 1
; LDSByteSize: 0 bytes/workgroup (compile time only)
; SGPRBlocks: 2
; VGPRBlocks: 12
; NumSGPRsForWavesPerEU: 18
; NumVGPRsForWavesPerEU: 97
; Occupancy: 12
; WaveLimiterHint : 0
; COMPUTE_PGM_RSRC2:SCRATCH_EN: 0
; COMPUTE_PGM_RSRC2:USER_SGPR: 15
; COMPUTE_PGM_RSRC2:TRAP_HANDLER: 0
; COMPUTE_PGM_RSRC2:TGID_X_EN: 1
; COMPUTE_PGM_RSRC2:TGID_Y_EN: 0
; COMPUTE_PGM_RSRC2:TGID_Z_EN: 0
; COMPUTE_PGM_RSRC2:TIDIG_COMP_CNT: 0
	.section	.text._ZN5aiter24topk_softplus_kernel_optI12hip_bfloat16fLi256ELb0ELi0EEEvPKT_PKT0_PfPimiif,"axG",@progbits,_ZN5aiter24topk_softplus_kernel_optI12hip_bfloat16fLi256ELb0ELi0EEEvPKT_PKT0_PfPimiif,comdat
	.protected	_ZN5aiter24topk_softplus_kernel_optI12hip_bfloat16fLi256ELb0ELi0EEEvPKT_PKT0_PfPimiif ; -- Begin function _ZN5aiter24topk_softplus_kernel_optI12hip_bfloat16fLi256ELb0ELi0EEEvPKT_PKT0_PfPimiif
	.globl	_ZN5aiter24topk_softplus_kernel_optI12hip_bfloat16fLi256ELb0ELi0EEEvPKT_PKT0_PfPimiif
	.p2align	8
	.type	_ZN5aiter24topk_softplus_kernel_optI12hip_bfloat16fLi256ELb0ELi0EEEvPKT_PKT0_PfPimiif,@function
_ZN5aiter24topk_softplus_kernel_optI12hip_bfloat16fLi256ELb0ELi0EEEvPKT_PKT0_PfPimiif: ; @_ZN5aiter24topk_softplus_kernel_optI12hip_bfloat16fLi256ELb0ELi0EEEvPKT_PKT0_PfPimiif
; %bb.0:
	s_load_b128 s[4:7], s[0:1], 0x0
	s_lshl_b32 s2, s15, 8
	v_lshlrev_b32_e32 v1, 1, v0
	s_ashr_i32 s3, s2, 31
	v_lshlrev_b32_e32 v96, 2, v0
	s_lshl_b64 s[2:3], s[2:3], 1
	s_waitcnt lgkmcnt(0)
	s_add_u32 s4, s4, s2
	s_addc_u32 s5, s5, s3
	s_cmp_lg_u64 s[6:7], 0
	global_load_u16 v2, v1, s[4:5]
	s_cselect_b32 s3, -1, 0
	s_waitcnt vmcnt(0)
	v_lshlrev_b32_e32 v2, 16, v2
	s_delay_alu instid0(VALU_DEP_1) | instskip(NEXT) | instid1(VALU_DEP_1)
	v_mul_f32_e32 v3, 0x3fb8aa3b, v2
	v_cmp_gt_f32_e32 vcc_lo, 0xc2fc0000, v3
	v_cndmask_b32_e64 v3, 0, 0x42800000, vcc_lo
	v_cndmask_b32_e64 v4, 1.0, 0x1f800000, vcc_lo
	s_delay_alu instid0(VALU_DEP_2) | instskip(NEXT) | instid1(VALU_DEP_1)
	v_fmac_f32_e32 v3, 0x3fb8aa3b, v2
	v_exp_f32_e32 v3, v3
	s_waitcnt_depctr 0xfff
	v_fma_f32 v3, v3, v4, 1.0
	s_delay_alu instid0(VALU_DEP_1) | instskip(SKIP_1) | instid1(VALU_DEP_1)
	v_cmp_gt_f32_e32 vcc_lo, 0x800000, v3
	v_cndmask_b32_e64 v4, 1.0, 0x4f800000, vcc_lo
	v_mul_f32_e32 v3, v3, v4
	v_cndmask_b32_e64 v4, 0, 0x42000000, vcc_lo
	v_cmp_lt_f32_e32 vcc_lo, 0x41a00000, v2
	s_delay_alu instid0(VALU_DEP_3) | instskip(SKIP_2) | instid1(VALU_DEP_1)
	v_log_f32_e32 v3, v3
	s_waitcnt_depctr 0xfff
	v_sub_f32_e32 v3, v3, v4
	v_mul_f32_e32 v3, 0x3f317218, v3
	s_delay_alu instid0(VALU_DEP_1) | instskip(NEXT) | instid1(VALU_DEP_1)
	v_cndmask_b32_e32 v2, v3, v2, vcc_lo
	v_mul_f32_e32 v3, 0x4f800000, v2
	v_cmp_gt_f32_e32 vcc_lo, 0xf800000, v2
	s_delay_alu instid0(VALU_DEP_2) | instskip(NEXT) | instid1(VALU_DEP_1)
	v_cndmask_b32_e32 v2, v2, v3, vcc_lo
	v_sqrt_f32_e32 v3, v2
	s_waitcnt_depctr 0xfff
	v_add_nc_u32_e32 v4, -1, v3
	v_add_nc_u32_e32 v5, 1, v3
	s_delay_alu instid0(VALU_DEP_2) | instskip(NEXT) | instid1(VALU_DEP_2)
	v_fma_f32 v6, -v4, v3, v2
	v_fma_f32 v7, -v5, v3, v2
	s_delay_alu instid0(VALU_DEP_2) | instskip(NEXT) | instid1(VALU_DEP_1)
	v_cmp_ge_f32_e64 s2, 0, v6
	v_cndmask_b32_e64 v3, v3, v4, s2
	s_delay_alu instid0(VALU_DEP_3) | instskip(NEXT) | instid1(VALU_DEP_1)
	v_cmp_lt_f32_e64 s2, 0, v7
	v_cndmask_b32_e64 v3, v3, v5, s2
	v_add_co_u32 v1, s2, s4, v1
	s_delay_alu instid0(VALU_DEP_2) | instskip(NEXT) | instid1(VALU_DEP_1)
	v_mul_f32_e32 v4, 0x37800000, v3
	v_cndmask_b32_e32 v3, v3, v4, vcc_lo
	v_cmp_class_f32_e64 vcc_lo, v2, 0x260
	s_delay_alu instid0(VALU_DEP_2) | instskip(SKIP_2) | instid1(VALU_DEP_2)
	v_cndmask_b32_e32 v56, v3, v2, vcc_lo
	v_add_co_ci_u32_e64 v2, null, s5, 0, s2
	s_and_b32 vcc_lo, exec_lo, s3
	v_mov_b32_e32 v24, v56
	s_cbranch_vccz .LBB230_2
; %bb.1:
	global_load_b32 v3, v96, s[6:7]
	s_waitcnt vmcnt(0)
	v_add_f32_e32 v24, v56, v3
.LBB230_2:
	global_load_u16 v3, v[1:2], off offset:64
	s_waitcnt vmcnt(0)
	v_lshlrev_b32_e32 v3, 16, v3
	s_delay_alu instid0(VALU_DEP_1) | instskip(NEXT) | instid1(VALU_DEP_1)
	v_mul_f32_e32 v4, 0x3fb8aa3b, v3
	v_cmp_gt_f32_e32 vcc_lo, 0xc2fc0000, v4
	v_cndmask_b32_e64 v4, 0, 0x42800000, vcc_lo
	v_cndmask_b32_e64 v5, 1.0, 0x1f800000, vcc_lo
	s_delay_alu instid0(VALU_DEP_2) | instskip(NEXT) | instid1(VALU_DEP_1)
	v_fmac_f32_e32 v4, 0x3fb8aa3b, v3
	v_exp_f32_e32 v4, v4
	s_waitcnt_depctr 0xfff
	v_fma_f32 v4, v4, v5, 1.0
	s_delay_alu instid0(VALU_DEP_1) | instskip(SKIP_1) | instid1(VALU_DEP_1)
	v_cmp_gt_f32_e32 vcc_lo, 0x800000, v4
	v_cndmask_b32_e64 v5, 1.0, 0x4f800000, vcc_lo
	v_mul_f32_e32 v4, v4, v5
	v_cndmask_b32_e64 v5, 0, 0x42000000, vcc_lo
	v_cmp_lt_f32_e32 vcc_lo, 0x41a00000, v3
	s_delay_alu instid0(VALU_DEP_3) | instskip(SKIP_2) | instid1(VALU_DEP_1)
	v_log_f32_e32 v4, v4
	s_waitcnt_depctr 0xfff
	v_sub_f32_e32 v4, v4, v5
	v_mul_f32_e32 v4, 0x3f317218, v4
	s_delay_alu instid0(VALU_DEP_1) | instskip(NEXT) | instid1(VALU_DEP_1)
	v_cndmask_b32_e32 v3, v4, v3, vcc_lo
	v_mul_f32_e32 v4, 0x4f800000, v3
	v_cmp_gt_f32_e32 vcc_lo, 0xf800000, v3
	s_delay_alu instid0(VALU_DEP_2) | instskip(NEXT) | instid1(VALU_DEP_1)
	v_cndmask_b32_e32 v4, v3, v4, vcc_lo
	v_sqrt_f32_e32 v3, v4
	s_waitcnt_depctr 0xfff
	v_add_nc_u32_e32 v5, -1, v3
	v_add_nc_u32_e32 v6, 1, v3
	s_delay_alu instid0(VALU_DEP_2) | instskip(NEXT) | instid1(VALU_DEP_2)
	v_fma_f32 v7, -v5, v3, v4
	v_fma_f32 v8, -v6, v3, v4
	s_delay_alu instid0(VALU_DEP_2) | instskip(NEXT) | instid1(VALU_DEP_1)
	v_cmp_ge_f32_e64 s2, 0, v7
	v_cndmask_b32_e64 v3, v3, v5, s2
	s_delay_alu instid0(VALU_DEP_3) | instskip(NEXT) | instid1(VALU_DEP_1)
	v_cmp_lt_f32_e64 s2, 0, v8
	v_cndmask_b32_e64 v3, v3, v6, s2
	s_delay_alu instid0(VALU_DEP_1) | instskip(NEXT) | instid1(VALU_DEP_1)
	v_mul_f32_e32 v5, 0x37800000, v3
	v_cndmask_b32_e32 v5, v3, v5, vcc_lo
	v_cmp_class_f32_e64 vcc_lo, v4, 0x260
	v_cndmask_b32_e64 v3, 0, 1, s3
	s_delay_alu instid0(VALU_DEP_3) | instskip(SKIP_1) | instid1(VALU_DEP_1)
	v_cndmask_b32_e32 v9, v5, v4, vcc_lo
	s_and_not1_b32 vcc_lo, exec_lo, s3
	v_mov_b32_e32 v25, v9
	s_cbranch_vccnz .LBB230_4
; %bb.3:
	global_load_b32 v4, v96, s[6:7] offset:128
	s_waitcnt vmcnt(0)
	v_add_f32_e32 v25, v9, v4
.LBB230_4:
	global_load_u16 v4, v[1:2], off offset:128
	s_waitcnt vmcnt(0)
	v_lshlrev_b32_e32 v4, 16, v4
	s_delay_alu instid0(VALU_DEP_1) | instskip(NEXT) | instid1(VALU_DEP_1)
	v_mul_f32_e32 v5, 0x3fb8aa3b, v4
	v_cmp_gt_f32_e32 vcc_lo, 0xc2fc0000, v5
	v_cndmask_b32_e64 v5, 0, 0x42800000, vcc_lo
	v_cndmask_b32_e64 v6, 1.0, 0x1f800000, vcc_lo
	s_delay_alu instid0(VALU_DEP_2) | instskip(NEXT) | instid1(VALU_DEP_1)
	v_fmac_f32_e32 v5, 0x3fb8aa3b, v4
	v_exp_f32_e32 v5, v5
	s_waitcnt_depctr 0xfff
	v_fma_f32 v5, v5, v6, 1.0
	s_delay_alu instid0(VALU_DEP_1) | instskip(SKIP_1) | instid1(VALU_DEP_1)
	v_cmp_gt_f32_e32 vcc_lo, 0x800000, v5
	v_cndmask_b32_e64 v6, 1.0, 0x4f800000, vcc_lo
	v_mul_f32_e32 v5, v5, v6
	v_cndmask_b32_e64 v6, 0, 0x42000000, vcc_lo
	v_cmp_lt_f32_e32 vcc_lo, 0x41a00000, v4
	s_delay_alu instid0(VALU_DEP_3) | instskip(SKIP_2) | instid1(VALU_DEP_1)
	v_log_f32_e32 v5, v5
	s_waitcnt_depctr 0xfff
	v_sub_f32_e32 v5, v5, v6
	v_mul_f32_e32 v5, 0x3f317218, v5
	s_delay_alu instid0(VALU_DEP_1) | instskip(NEXT) | instid1(VALU_DEP_1)
	v_cndmask_b32_e32 v4, v5, v4, vcc_lo
	v_mul_f32_e32 v5, 0x4f800000, v4
	v_cmp_gt_f32_e32 vcc_lo, 0xf800000, v4
	s_delay_alu instid0(VALU_DEP_2) | instskip(NEXT) | instid1(VALU_DEP_1)
	v_cndmask_b32_e32 v4, v4, v5, vcc_lo
	v_sqrt_f32_e32 v5, v4
	s_waitcnt_depctr 0xfff
	v_add_nc_u32_e32 v6, -1, v5
	v_add_nc_u32_e32 v7, 1, v5
	s_delay_alu instid0(VALU_DEP_2) | instskip(NEXT) | instid1(VALU_DEP_2)
	v_fma_f32 v8, -v6, v5, v4
	v_fma_f32 v10, -v7, v5, v4
	s_delay_alu instid0(VALU_DEP_2) | instskip(NEXT) | instid1(VALU_DEP_1)
	v_cmp_ge_f32_e64 s2, 0, v8
	v_cndmask_b32_e64 v5, v5, v6, s2
	s_delay_alu instid0(VALU_DEP_3) | instskip(NEXT) | instid1(VALU_DEP_1)
	v_cmp_lt_f32_e64 s2, 0, v10
	v_cndmask_b32_e64 v5, v5, v7, s2
	s_delay_alu instid0(VALU_DEP_1) | instskip(NEXT) | instid1(VALU_DEP_1)
	v_mul_f32_e32 v6, 0x37800000, v5
	v_cndmask_b32_e32 v5, v5, v6, vcc_lo
	v_cmp_class_f32_e64 vcc_lo, v4, 0x260
	s_delay_alu instid0(VALU_DEP_2) | instskip(SKIP_1) | instid1(VALU_DEP_2)
	v_cndmask_b32_e32 v10, v5, v4, vcc_lo
	v_cmp_ne_u32_e32 vcc_lo, 1, v3
	v_mov_b32_e32 v26, v10
	s_cbranch_vccnz .LBB230_6
; %bb.5:
	global_load_b32 v4, v96, s[6:7] offset:256
	s_waitcnt vmcnt(0)
	v_add_f32_e32 v26, v10, v4
.LBB230_6:
	global_load_u16 v4, v[1:2], off offset:192
	s_waitcnt vmcnt(0)
	v_lshlrev_b32_e32 v4, 16, v4
	s_delay_alu instid0(VALU_DEP_1) | instskip(NEXT) | instid1(VALU_DEP_1)
	v_mul_f32_e32 v5, 0x3fb8aa3b, v4
	v_cmp_gt_f32_e32 vcc_lo, 0xc2fc0000, v5
	v_cndmask_b32_e64 v5, 0, 0x42800000, vcc_lo
	v_cndmask_b32_e64 v6, 1.0, 0x1f800000, vcc_lo
	s_delay_alu instid0(VALU_DEP_2) | instskip(NEXT) | instid1(VALU_DEP_1)
	v_fmac_f32_e32 v5, 0x3fb8aa3b, v4
	v_exp_f32_e32 v5, v5
	s_waitcnt_depctr 0xfff
	v_fma_f32 v5, v5, v6, 1.0
	s_delay_alu instid0(VALU_DEP_1) | instskip(SKIP_1) | instid1(VALU_DEP_1)
	v_cmp_gt_f32_e32 vcc_lo, 0x800000, v5
	v_cndmask_b32_e64 v6, 1.0, 0x4f800000, vcc_lo
	v_mul_f32_e32 v5, v5, v6
	v_cndmask_b32_e64 v6, 0, 0x42000000, vcc_lo
	v_cmp_lt_f32_e32 vcc_lo, 0x41a00000, v4
	s_delay_alu instid0(VALU_DEP_3) | instskip(SKIP_2) | instid1(VALU_DEP_1)
	v_log_f32_e32 v5, v5
	s_waitcnt_depctr 0xfff
	v_sub_f32_e32 v5, v5, v6
	v_mul_f32_e32 v5, 0x3f317218, v5
	s_delay_alu instid0(VALU_DEP_1) | instskip(NEXT) | instid1(VALU_DEP_1)
	v_cndmask_b32_e32 v4, v5, v4, vcc_lo
	v_mul_f32_e32 v5, 0x4f800000, v4
	v_cmp_gt_f32_e32 vcc_lo, 0xf800000, v4
	s_delay_alu instid0(VALU_DEP_2) | instskip(NEXT) | instid1(VALU_DEP_1)
	v_cndmask_b32_e32 v4, v4, v5, vcc_lo
	v_sqrt_f32_e32 v5, v4
	s_waitcnt_depctr 0xfff
	v_add_nc_u32_e32 v6, -1, v5
	v_add_nc_u32_e32 v7, 1, v5
	s_delay_alu instid0(VALU_DEP_2) | instskip(NEXT) | instid1(VALU_DEP_2)
	v_fma_f32 v8, -v6, v5, v4
	v_fma_f32 v11, -v7, v5, v4
	s_delay_alu instid0(VALU_DEP_2) | instskip(NEXT) | instid1(VALU_DEP_1)
	v_cmp_ge_f32_e64 s2, 0, v8
	v_cndmask_b32_e64 v5, v5, v6, s2
	s_delay_alu instid0(VALU_DEP_3) | instskip(NEXT) | instid1(VALU_DEP_1)
	v_cmp_lt_f32_e64 s2, 0, v11
	v_cndmask_b32_e64 v5, v5, v7, s2
	s_delay_alu instid0(VALU_DEP_1) | instskip(NEXT) | instid1(VALU_DEP_1)
	v_mul_f32_e32 v6, 0x37800000, v5
	v_cndmask_b32_e32 v5, v5, v6, vcc_lo
	v_cmp_class_f32_e64 vcc_lo, v4, 0x260
	s_delay_alu instid0(VALU_DEP_2) | instskip(SKIP_1) | instid1(VALU_DEP_2)
	v_cndmask_b32_e32 v11, v5, v4, vcc_lo
	v_cmp_ne_u32_e32 vcc_lo, 1, v3
	;; [unrolled: 57-line block ×5, first 2 shown]
	v_mov_b32_e32 v30, v14
	s_cbranch_vccnz .LBB230_14
; %bb.13:
	global_load_b32 v4, v96, s[6:7] offset:768
	s_waitcnt vmcnt(0)
	v_add_f32_e32 v30, v14, v4
.LBB230_14:
	global_load_u16 v1, v[1:2], off offset:448
	s_waitcnt vmcnt(0)
	v_lshlrev_b32_e32 v1, 16, v1
	s_delay_alu instid0(VALU_DEP_1) | instskip(NEXT) | instid1(VALU_DEP_1)
	v_mul_f32_e32 v2, 0x3fb8aa3b, v1
	v_cmp_gt_f32_e32 vcc_lo, 0xc2fc0000, v2
	v_cndmask_b32_e64 v2, 0, 0x42800000, vcc_lo
	v_cndmask_b32_e64 v4, 1.0, 0x1f800000, vcc_lo
	s_delay_alu instid0(VALU_DEP_2) | instskip(NEXT) | instid1(VALU_DEP_1)
	v_fmac_f32_e32 v2, 0x3fb8aa3b, v1
	v_exp_f32_e32 v2, v2
	s_waitcnt_depctr 0xfff
	v_fma_f32 v2, v2, v4, 1.0
	s_delay_alu instid0(VALU_DEP_1) | instskip(SKIP_1) | instid1(VALU_DEP_1)
	v_cmp_gt_f32_e32 vcc_lo, 0x800000, v2
	v_cndmask_b32_e64 v4, 1.0, 0x4f800000, vcc_lo
	v_mul_f32_e32 v2, v2, v4
	v_cndmask_b32_e64 v4, 0, 0x42000000, vcc_lo
	v_cmp_lt_f32_e32 vcc_lo, 0x41a00000, v1
	s_delay_alu instid0(VALU_DEP_3) | instskip(SKIP_2) | instid1(VALU_DEP_1)
	v_log_f32_e32 v2, v2
	s_waitcnt_depctr 0xfff
	v_sub_f32_e32 v2, v2, v4
	v_mul_f32_e32 v2, 0x3f317218, v2
	s_delay_alu instid0(VALU_DEP_1) | instskip(NEXT) | instid1(VALU_DEP_1)
	v_cndmask_b32_e32 v1, v2, v1, vcc_lo
	v_mul_f32_e32 v2, 0x4f800000, v1
	v_cmp_gt_f32_e32 vcc_lo, 0xf800000, v1
	s_delay_alu instid0(VALU_DEP_2) | instskip(NEXT) | instid1(VALU_DEP_1)
	v_cndmask_b32_e32 v1, v1, v2, vcc_lo
	v_sqrt_f32_e32 v2, v1
	s_waitcnt_depctr 0xfff
	v_add_nc_u32_e32 v4, -1, v2
	v_add_nc_u32_e32 v5, 1, v2
	s_delay_alu instid0(VALU_DEP_2) | instskip(NEXT) | instid1(VALU_DEP_2)
	v_fma_f32 v6, -v4, v2, v1
	v_fma_f32 v7, -v5, v2, v1
	s_delay_alu instid0(VALU_DEP_2) | instskip(NEXT) | instid1(VALU_DEP_1)
	v_cmp_ge_f32_e64 s2, 0, v6
	v_cndmask_b32_e64 v2, v2, v4, s2
	s_delay_alu instid0(VALU_DEP_3) | instskip(NEXT) | instid1(VALU_DEP_1)
	v_cmp_lt_f32_e64 s2, 0, v7
	v_cndmask_b32_e64 v2, v2, v5, s2
	s_delay_alu instid0(VALU_DEP_1) | instskip(NEXT) | instid1(VALU_DEP_1)
	v_mul_f32_e32 v4, 0x37800000, v2
	v_cndmask_b32_e32 v2, v2, v4, vcc_lo
	v_cmp_class_f32_e64 vcc_lo, v1, 0x260
	s_delay_alu instid0(VALU_DEP_2)
	v_cndmask_b32_e32 v15, v2, v1, vcc_lo
	v_cmp_ne_u32_e32 vcc_lo, 1, v3
	s_cbranch_vccnz .LBB230_16
; %bb.15:
	global_load_b32 v1, v96, s[6:7] offset:896
	s_waitcnt vmcnt(0)
	v_add_f32_e32 v31, v15, v1
	s_branch .LBB230_17
.LBB230_16:
	s_delay_alu instid0(VALU_DEP_2)
	v_mov_b32_e32 v31, v15
.LBB230_17:
	v_add_nc_u32_e32 v7, 0xe0, v0
	v_dual_mov_b32 v16, v24 :: v_dual_add_nc_u32 v1, 32, v0
	v_dual_mov_b32 v17, v25 :: v_dual_add_nc_u32 v2, 64, v0
	;; [unrolled: 1-line block ×6, first 2 shown]
	v_dual_mov_b32 v22, v30 :: v_dual_mov_b32 v39, v7
	s_delay_alu instid0(VALU_DEP_2)
	v_dual_mov_b32 v47, v7 :: v_dual_mov_b32 v46, v6
	v_dual_mov_b32 v71, v7 :: v_dual_mov_b32 v70, v6
	;; [unrolled: 1-line block ×16, first 2 shown]
	v_mov_b32_e32 v8, v56
	s_mov_b32 s2, exec_lo
	v_cmpx_lt_f32_e32 v24, v25
	s_xor_b32 s2, exec_lo, s2
	s_cbranch_execz .LBB230_19
; %bb.18:
	v_dual_mov_b32 v38, v6 :: v_dual_mov_b32 v39, v7
	v_dual_mov_b32 v32, v1 :: v_dual_mov_b32 v33, v0
	;; [unrolled: 1-line block ×4, first 2 shown]
	s_delay_alu instid0(VALU_DEP_4)
	v_dual_mov_b32 v47, v39 :: v_dual_mov_b32 v46, v38
	v_dual_mov_b32 v71, v39 :: v_dual_mov_b32 v70, v38
	;; [unrolled: 1-line block ×17, first 2 shown]
	v_mov_b32_e32 v9, v56
	v_mov_b32_e32 v1, v0
.LBB230_19:
	s_or_b32 exec_lo, exec_lo, s2
	v_dual_mov_b32 v63, v15 :: v_dual_mov_b32 v62, v14
	v_dual_mov_b32 v79, v15 :: v_dual_mov_b32 v78, v14
	v_dual_mov_b32 v87, v15 :: v_dual_mov_b32 v86, v14
	v_dual_mov_b32 v95, v15 :: v_dual_mov_b32 v94, v14
	v_dual_mov_b32 v61, v13 :: v_dual_mov_b32 v60, v12
	v_dual_mov_b32 v59, v11 :: v_dual_mov_b32 v58, v10
	v_dual_mov_b32 v57, v9 :: v_dual_mov_b32 v56, v8
	v_dual_mov_b32 v77, v13 :: v_dual_mov_b32 v76, v12
	v_dual_mov_b32 v75, v11 :: v_dual_mov_b32 v74, v10
	v_dual_mov_b32 v73, v9 :: v_dual_mov_b32 v72, v8
	v_dual_mov_b32 v85, v13 :: v_dual_mov_b32 v84, v12
	v_dual_mov_b32 v83, v11 :: v_dual_mov_b32 v82, v10
	v_dual_mov_b32 v81, v9 :: v_dual_mov_b32 v80, v8
	v_dual_mov_b32 v93, v13 :: v_dual_mov_b32 v92, v12
	v_dual_mov_b32 v91, v11 :: v_dual_mov_b32 v90, v10
	v_dual_mov_b32 v89, v9 :: v_dual_mov_b32 v88, v8
	v_mov_b32_e32 v24, v18
	s_mov_b32 s2, exec_lo
	v_cmpx_lt_f32_e32 v25, v18
	s_cbranch_execz .LBB230_21
; %bb.20:
	v_dual_mov_b32 v55, v39 :: v_dual_mov_b32 v54, v38
	v_dual_mov_b32 v51, v35 :: v_dual_mov_b32 v50, v34
	;; [unrolled: 1-line block ×16, first 2 shown]
	v_mov_b32_e32 v83, v11
	v_dual_mov_b32 v85, v93 :: v_dual_mov_b32 v86, v94
	v_dual_mov_b32 v87, v95 :: v_dual_mov_b32 v40, v64
	;; [unrolled: 1-line block ×3, first 2 shown]
	v_mov_b32_e32 v42, v66
	v_dual_mov_b32 v17, v18 :: v_dual_mov_b32 v72, v80
	v_dual_mov_b32 v41, v65 :: v_dual_mov_b32 v44, v68
	v_dual_mov_b32 v75, v83 :: v_dual_mov_b32 v76, v84
	v_dual_mov_b32 v43, v67 :: v_dual_mov_b32 v46, v70
	v_dual_mov_b32 v45, v69 :: v_dual_mov_b32 v44, v4
	v_dual_mov_b32 v47, v71 :: v_dual_mov_b32 v18, v25
	v_dual_mov_b32 v77, v85 :: v_dual_mov_b32 v78, v86
	v_dual_mov_b32 v79, v87 :: v_dual_mov_b32 v76, v12
	v_dual_mov_b32 v73, v81 :: v_dual_mov_b32 v74, v82
	v_dual_mov_b32 v32, v40 :: v_dual_mov_b32 v33, v41
	s_delay_alu instid0(VALU_DEP_2)
	v_dual_mov_b32 v56, v72 :: v_dual_mov_b32 v57, v73
	v_dual_mov_b32 v36, v44 :: v_dual_mov_b32 v37, v45
	;; [unrolled: 1-line block ×11, first 2 shown]
	v_mov_b32_e32 v2, v1
.LBB230_21:
	s_or_b32 exec_lo, exec_lo, s2
	v_mov_b32_e32 v1, v19
	s_mov_b32 s2, exec_lo
	v_cmpx_lt_f32_e32 v24, v19
	s_cbranch_execz .LBB230_23
; %bb.22:
	v_mov_b32_e32 v90, v11
	v_mov_b32_e32 v50, v3
	v_dual_mov_b32 v80, v88 :: v_dual_mov_b32 v81, v89
	v_dual_mov_b32 v71, v55 :: v_dual_mov_b32 v70, v54
	;; [unrolled: 1-line block ×3, first 2 shown]
	s_delay_alu instid0(VALU_DEP_4)
	v_dual_mov_b32 v83, v91 :: v_dual_mov_b32 v66, v50
	v_dual_mov_b32 v65, v49 :: v_dual_mov_b32 v68, v52
	;; [unrolled: 1-line block ×3, first 2 shown]
	v_mov_b32_e32 v67, v2
	v_dual_mov_b32 v82, v90 :: v_dual_mov_b32 v87, v95
	v_dual_mov_b32 v85, v93 :: v_dual_mov_b32 v86, v94
	;; [unrolled: 1-line block ×11, first 2 shown]
	v_mov_b32_e32 v44, v4
	v_dual_mov_b32 v56, v72 :: v_dual_mov_b32 v57, v73
	v_dual_mov_b32 v32, v40 :: v_dual_mov_b32 v35, v43
	;; [unrolled: 1-line block ×3, first 2 shown]
	s_delay_alu instid0(VALU_DEP_4)
	v_dual_mov_b32 v37, v45 :: v_dual_mov_b32 v36, v44
	v_dual_mov_b32 v39, v47 :: v_dual_mov_b32 v38, v46
	;; [unrolled: 1-line block ×3, first 2 shown]
	v_mov_b32_e32 v63, v79
	v_dual_mov_b32 v61, v77 :: v_dual_mov_b32 v62, v78
	v_mov_b32_e32 v39, v7
	v_dual_mov_b32 v18, v19 :: v_dual_mov_b32 v19, v24
	v_dual_mov_b32 v60, v76 :: v_dual_mov_b32 v37, v5
	;; [unrolled: 1-line block ×4, first 2 shown]
	v_mov_b32_e32 v1, v24
	v_mov_b32_e32 v11, v10
	;; [unrolled: 1-line block ×3, first 2 shown]
.LBB230_23:
	s_or_b32 exec_lo, exec_lo, s2
	v_mov_b32_e32 v2, v20
	s_mov_b32 s2, exec_lo
	v_cmpx_lt_f32_e32 v1, v20
	s_cbranch_execz .LBB230_25
; %bb.24:
	v_mov_b32_e32 v91, v12
	v_mov_b32_e32 v51, v4
	v_mov_b32_e32 v72, v88
	v_mov_b32_e32 v74, v90
	v_dual_mov_b32 v40, v48 :: v_dual_mov_b32 v41, v49
	v_dual_mov_b32 v42, v50 :: v_dual_mov_b32 v47, v55
	;; [unrolled: 1-line block ×4, first 2 shown]
	v_mov_b32_e32 v44, v3
	v_dual_mov_b32 v76, v11 :: v_dual_mov_b32 v19, v20
	v_dual_mov_b32 v45, v53 :: v_dual_mov_b32 v46, v54
	;; [unrolled: 1-line block ×4, first 2 shown]
	v_mov_b32_e32 v73, v89
	v_mov_b32_e32 v56, v72
	v_dual_mov_b32 v32, v40 :: v_dual_mov_b32 v33, v41
	v_dual_mov_b32 v60, v76 :: v_dual_mov_b32 v61, v77
	;; [unrolled: 1-line block ×9, first 2 shown]
	v_mov_b32_e32 v59, v75
	v_dual_mov_b32 v37, v5 :: v_dual_mov_b32 v38, v6
	v_dual_mov_b32 v39, v7 :: v_dual_mov_b32 v62, v14
	;; [unrolled: 1-line block ×10, first 2 shown]
	v_mov_b32_e32 v4, v3
.LBB230_25:
	s_or_b32 exec_lo, exec_lo, s2
	v_mov_b32_e32 v1, v21
	s_mov_b32 s2, exec_lo
	v_cmpx_lt_f32_e32 v2, v21
	s_cbranch_execz .LBB230_27
; %bb.26:
	v_mov_b32_e32 v68, v5
	v_dual_mov_b32 v20, v21 :: v_dual_mov_b32 v21, v2
	v_mov_b32_e32 v84, v13
	v_dual_mov_b32 v32, v64 :: v_dual_mov_b32 v33, v65
	v_dual_mov_b32 v39, v71 :: v_dual_mov_b32 v56, v80
	;; [unrolled: 1-line block ×7, first 2 shown]
	v_mov_b32_e32 v61, v12
	v_dual_mov_b32 v72, v80 :: v_dual_mov_b32 v73, v81
	v_dual_mov_b32 v40, v64 :: v_dual_mov_b32 v41, v65
	;; [unrolled: 1-line block ×9, first 2 shown]
	v_mov_b32_e32 v45, v69
	v_mov_b32_e32 v1, v2
	v_mov_b32_e32 v13, v12
	v_dual_mov_b32 v5, v4 :: v_dual_mov_b32 v78, v86
	v_dual_mov_b32 v79, v87 :: v_dual_mov_b32 v46, v70
	v_mov_b32_e32 v47, v71
.LBB230_27:
	s_or_b32 exec_lo, exec_lo, s2
	v_mov_b32_e32 v2, v22
	s_mov_b32 s2, exec_lo
	v_cmpx_lt_f32_e32 v1, v22
	s_cbranch_execz .LBB230_29
; %bb.28:
	v_dual_mov_b32 v77, v14 :: v_dual_mov_b32 v78, v13
	v_dual_mov_b32 v45, v6 :: v_dual_mov_b32 v46, v5
	v_mov_b32_e32 v79, v15
	v_dual_mov_b32 v21, v22 :: v_dual_mov_b32 v22, v1
	v_dual_mov_b32 v47, v7 :: v_dual_mov_b32 v56, v72
	;; [unrolled: 1-line block ×10, first 2 shown]
.LBB230_29:
	s_or_b32 exec_lo, exec_lo, s2
	s_delay_alu instid0(VALU_DEP_1)
	v_cmp_lt_f32_e32 vcc_lo, v2, v23
	v_mov_b32_e32 v43, v59
	v_cmp_lt_f32_e64 s2, v16, v17
	v_dual_mov_b32 v41, v57 :: v_dual_mov_b32 v42, v58
	v_dual_cndmask_b32 v9, v23, v2 :: v_dual_mov_b32 v44, v60
	v_dual_cndmask_b32 v22, v22, v23 :: v_dual_cndmask_b32 v47, v63, v62
	s_delay_alu instid0(VALU_DEP_2)
	v_dual_mov_b32 v40, v56 :: v_dual_mov_b32 v23, v9
	v_dual_cndmask_b32 v46, v62, v63 :: v_dual_mov_b32 v1, v16
	v_dual_mov_b32 v4, v19 :: v_dual_mov_b32 v45, v61
	v_dual_cndmask_b32 v54, v38, v39 :: v_dual_cndmask_b32 v55, v39, v38
	v_dual_mov_b32 v2, v17 :: v_dual_mov_b32 v3, v18
	v_dual_mov_b32 v6, v21 :: v_dual_mov_b32 v5, v20
	;; [unrolled: 1-line block ×6, first 2 shown]
	s_and_saveexec_b32 s3, s2
	s_delay_alu instid0(SALU_CYCLE_1)
	s_xor_b32 s2, exec_lo, s3
	s_cbranch_execz .LBB230_31
; %bb.30:
	v_dual_mov_b32 v2, v17 :: v_dual_mov_b32 v3, v16
	v_dual_mov_b32 v4, v18 :: v_dual_mov_b32 v5, v19
	;; [unrolled: 1-line block ×4, first 2 shown]
	s_delay_alu instid0(VALU_DEP_4)
	v_dual_mov_b32 v1, v2 :: v_dual_mov_b32 v40, v57
	v_dual_mov_b32 v2, v3 :: v_dual_mov_b32 v41, v56
	;; [unrolled: 1-line block ×10, first 2 shown]
.LBB230_31:
	s_or_b32 exec_lo, exec_lo, s2
	v_dual_mov_b32 v26, v40 :: v_dual_mov_b32 v27, v41
	v_dual_mov_b32 v79, v47 :: v_dual_mov_b32 v78, v46
	;; [unrolled: 1-line block ×22, first 2 shown]
	v_mov_b32_e32 v34, v3
	s_mov_b32 s2, exec_lo
	v_dual_mov_b32 v77, v45 :: v_dual_mov_b32 v76, v44
	v_dual_mov_b32 v69, v53 :: v_dual_mov_b32 v68, v52
	v_cmpx_lt_f32_e32 v17, v3
	s_cbranch_execz .LBB230_33
; %bb.32:
	v_dual_mov_b32 v9, v48 :: v_dual_mov_b32 v10, v49
	v_dual_mov_b32 v15, v54 :: v_dual_mov_b32 v16, v55
	v_mov_b32_e32 v10, v50
	v_dual_mov_b32 v11, v50 :: v_dual_mov_b32 v12, v51
	v_dual_mov_b32 v13, v52 :: v_dual_mov_b32 v14, v53
	;; [unrolled: 1-line block ×3, first 2 shown]
	v_mov_b32_e32 v11, v49
	v_dual_mov_b32 v59, v43 :: v_dual_mov_b32 v58, v42
	v_dual_mov_b32 v57, v41 :: v_dual_mov_b32 v56, v40
	;; [unrolled: 1-line block ×14, first 2 shown]
	v_mov_b32_e32 v23, v69
	v_dual_mov_b32 v23, v53 :: v_dual_mov_b32 v26, v72
	v_dual_mov_b32 v19, v65 :: v_dual_mov_b32 v22, v68
	;; [unrolled: 1-line block ×12, first 2 shown]
	v_mov_b32_e32 v42, v41
	v_mov_b32_e32 v50, v49
.LBB230_33:
	s_or_b32 exec_lo, exec_lo, s2
	v_mov_b32_e32 v17, v4
	s_mov_b32 s2, exec_lo
	v_cmpx_lt_f32_e32 v34, v4
	s_cbranch_execz .LBB230_35
; %bb.34:
	v_mov_b32_e32 v11, v51
	v_dual_mov_b32 v3, v4 :: v_dual_mov_b32 v4, v34
	v_dual_mov_b32 v58, v43 :: v_dual_mov_b32 v71, v16
	v_mov_b32_e32 v64, v9
	v_dual_mov_b32 v70, v15 :: v_dual_mov_b32 v69, v14
	v_dual_mov_b32 v79, v63 :: v_dual_mov_b32 v76, v60
	;; [unrolled: 1-line block ×5, first 2 shown]
	v_mov_b32_e32 v67, v50
	v_dual_mov_b32 v78, v62 :: v_dual_mov_b32 v77, v61
	v_dual_mov_b32 v74, v58 :: v_dual_mov_b32 v73, v57
	;; [unrolled: 1-line block ×14, first 2 shown]
	v_mov_b32_e32 v33, v47
	v_mov_b32_e32 v17, v34
	;; [unrolled: 1-line block ×4, first 2 shown]
.LBB230_35:
	s_or_b32 exec_lo, exec_lo, s2
	v_mov_b32_e32 v12, v5
	s_mov_b32 s2, exec_lo
	v_cmpx_lt_f32_e32 v17, v5
	s_cbranch_execz .LBB230_37
; %bb.36:
	v_mov_b32_e32 v12, v52
	v_dual_mov_b32 v4, v5 :: v_dual_mov_b32 v59, v44
	v_mov_b32_e32 v5, v17
	v_dual_mov_b32 v25, v16 :: v_dual_mov_b32 v24, v15
	v_dual_mov_b32 v26, v56 :: v_dual_mov_b32 v27, v57
	;; [unrolled: 1-line block ×19, first 2 shown]
	v_mov_b32_e32 v12, v17
	v_mov_b32_e32 v44, v43
	v_dual_mov_b32 v52, v51 :: v_dual_mov_b32 v77, v61
	v_mov_b32_e32 v76, v60
.LBB230_37:
	s_or_b32 exec_lo, exec_lo, s2
	v_mov_b32_e32 v9, v6
	s_mov_b32 s2, exec_lo
	v_cmpx_lt_f32_e32 v12, v6
	s_cbranch_execz .LBB230_39
; %bb.38:
	v_dual_mov_b32 v68, v53 :: v_dual_mov_b32 v69, v52
	v_dual_mov_b32 v70, v54 :: v_dual_mov_b32 v77, v44
	;; [unrolled: 1-line block ×13, first 2 shown]
	v_mov_b32_e32 v9, v12
.LBB230_39:
	s_or_b32 exec_lo, exec_lo, s2
	s_delay_alu instid0(VALU_DEP_1)
	v_cmp_lt_f32_e32 vcc_lo, v9, v7
	v_mov_b32_e32 v11, v3
	v_mov_b32_e32 v13, v5
	s_mov_b32 s2, exec_lo
	v_dual_mov_b32 v10, v2 :: v_dual_cndmask_b32 v17, v32, v31
	v_dual_cndmask_b32 v31, v31, v32 :: v_dual_cndmask_b32 v66, v24, v23
	v_dual_cndmask_b32 v23, v23, v24 :: v_dual_cndmask_b32 v14, v6, v7
	v_dual_cndmask_b32 v15, v7, v9 :: v_dual_mov_b32 v12, v4
	v_dual_mov_b32 v9, v1 :: v_dual_mov_b32 v16, v8
	v_cmpx_lt_f32_e32 v1, v2
	s_cbranch_execz .LBB230_41
; %bb.40:
	s_delay_alu instid0(VALU_DEP_2) | instskip(NEXT) | instid1(VALU_DEP_3)
	v_dual_mov_b32 v2, v10 :: v_dual_mov_b32 v3, v9
	v_dual_mov_b32 v8, v15 :: v_dual_mov_b32 v9, v16
	;; [unrolled: 1-line block ×4, first 2 shown]
	s_delay_alu instid0(VALU_DEP_3) | instskip(NEXT) | instid1(VALU_DEP_4)
	v_mov_b32_e32 v16, v9
	v_dual_mov_b32 v24, v26 :: v_dual_mov_b32 v15, v8
	s_delay_alu instid0(VALU_DEP_4)
	v_dual_mov_b32 v32, v18 :: v_dual_mov_b32 v11, v4
	v_swap_b32 v26, v27
	v_swap_b32 v18, v19
	v_dual_mov_b32 v14, v7 :: v_dual_mov_b32 v13, v6
	v_mov_b32_e32 v12, v5
	v_dual_mov_b32 v10, v3 :: v_dual_mov_b32 v9, v2
	v_mov_b32_e32 v2, v1
.LBB230_41:
	s_or_b32 exec_lo, exec_lo, s2
	v_mov_b32_e32 v24, v66
	v_mov_b32_e32 v32, v17
	;; [unrolled: 1-line block ×4, first 2 shown]
	s_delay_alu instid0(VALU_DEP_4)
	v_dual_mov_b32 v41, v33 :: v_dual_mov_b32 v48, v24
	v_dual_mov_b32 v34, v26 :: v_dual_mov_b32 v65, v33
	;; [unrolled: 1-line block ×15, first 2 shown]
	v_mov_b32_e32 v50, v18
	s_mov_b32 s2, exec_lo
	v_cmpx_lt_f32_e32 v2, v11
	s_cbranch_execz .LBB230_43
; %bb.42:
	v_dual_mov_b32 v57, v25 :: v_dual_mov_b32 v56, v24
	v_dual_mov_b32 v53, v21 :: v_dual_mov_b32 v52, v20
	;; [unrolled: 1-line block ×7, first 2 shown]
	s_delay_alu instid0(VALU_DEP_4)
	v_dual_mov_b32 v42, v50 :: v_dual_mov_b32 v43, v51
	v_dual_mov_b32 v63, v31 :: v_dual_mov_b32 v62, v30
	v_dual_mov_b32 v61, v29 :: v_dual_mov_b32 v60, v28
	v_dual_mov_b32 v44, v52 :: v_dual_mov_b32 v45, v53
	v_dual_mov_b32 v45, v21 :: v_dual_mov_b32 v60, v27
	v_dual_mov_b32 v59, v28 :: v_dual_mov_b32 v46, v54
	v_dual_mov_b32 v47, v55 :: v_dual_mov_b32 v48, v56
	v_dual_mov_b32 v49, v57 :: v_dual_mov_b32 v46, v22
	v_dual_mov_b32 v49, v25 :: v_dual_mov_b32 v34, v58
	v_dual_mov_b32 v37, v61 :: v_dual_mov_b32 v38, v62
	v_dual_mov_b32 v39, v63 :: v_dual_mov_b32 v40, v64
	v_dual_mov_b32 v41, v65 :: v_dual_mov_b32 v38, v30
	v_dual_mov_b32 v10, v11 :: v_dual_mov_b32 v11, v2
	v_dual_mov_b32 v47, v23 :: v_dual_mov_b32 v48, v66
	v_dual_mov_b32 v35, v59 :: v_dual_mov_b32 v36, v60
	v_dual_mov_b32 v37, v29 :: v_dual_mov_b32 v28, v27
	v_dual_mov_b32 v39, v31 :: v_dual_mov_b32 v40, v17
	v_dual_mov_b32 v41, v33 :: v_dual_mov_b32 v20, v19
	v_mov_b32_e32 v1, v2
.LBB230_43:
	s_or_b32 exec_lo, exec_lo, s2
	v_mov_b32_e32 v2, v12
	s_mov_b32 s2, exec_lo
	s_delay_alu instid0(VALU_DEP_2)
	v_cmpx_lt_f32_e32 v1, v12
	s_cbranch_execz .LBB230_45
; %bb.44:
	v_dual_mov_b32 v52, v21 :: v_dual_mov_b32 v11, v12
	v_mov_b32_e32 v60, v29
	v_dual_mov_b32 v42, v50 :: v_dual_mov_b32 v45, v53
	v_dual_mov_b32 v47, v55 :: v_dual_mov_b32 v34, v58
	s_delay_alu instid0(VALU_DEP_4)
	v_dual_mov_b32 v37, v61 :: v_dual_mov_b32 v44, v52
	v_dual_mov_b32 v49, v57 :: v_dual_mov_b32 v46, v54
	v_mov_b32_e32 v45, v20
	v_dual_mov_b32 v48, v56 :: v_dual_mov_b32 v47, v23
	v_dual_mov_b32 v36, v60 :: v_dual_mov_b32 v39, v63
	;; [unrolled: 1-line block ×9, first 2 shown]
	v_mov_b32_e32 v41, v33
	v_dual_mov_b32 v2, v1 :: v_dual_mov_b32 v21, v20
.LBB230_45:
	s_or_b32 exec_lo, exec_lo, s2
	v_mov_b32_e32 v1, v13
	s_mov_b32 s2, exec_lo
	s_delay_alu instid0(VALU_DEP_2)
	v_cmpx_lt_f32_e32 v2, v13
	s_cbranch_execz .LBB230_47
; %bb.46:
	v_dual_mov_b32 v53, v22 :: v_dual_mov_b32 v54, v21
	v_dual_mov_b32 v55, v23 :: v_dual_mov_b32 v56, v66
	;; [unrolled: 1-line block ×4, first 2 shown]
	v_mov_b32_e32 v57, v25
	v_dual_mov_b32 v65, v33 :: v_dual_mov_b32 v42, v50
	v_mov_b32_e32 v34, v58
	v_dual_mov_b32 v12, v13 :: v_dual_mov_b32 v13, v2
	v_dual_mov_b32 v35, v59 :: v_dual_mov_b32 v36, v60
	;; [unrolled: 1-line block ×7, first 2 shown]
	v_mov_b32_e32 v47, v55
	v_mov_b32_e32 v49, v57
	;; [unrolled: 1-line block ×3, first 2 shown]
.LBB230_47:
	s_or_b32 exec_lo, exec_lo, s2
	s_delay_alu instid0(VALU_DEP_1)
	v_cmp_lt_f32_e32 vcc_lo, v1, v14
	v_dual_mov_b32 v20, v10 :: v_dual_mov_b32 v25, v15
	v_mov_b32_e32 v22, v12
	v_dual_mov_b32 v26, v16 :: v_dual_cndmask_b32 v27, v39, v38
	v_cndmask_b32_e32 v38, v38, v39, vcc_lo
	v_dual_cndmask_b32 v28, v47, v46 :: v_dual_mov_b32 v19, v9
	v_dual_cndmask_b32 v46, v46, v47 :: v_dual_cndmask_b32 v23, v13, v14
	v_dual_cndmask_b32 v24, v14, v1 :: v_dual_mov_b32 v21, v11
	s_mov_b32 s2, exec_lo
	v_cmpx_lt_f32_e32 v9, v10
	s_cbranch_execz .LBB230_49
; %bb.48:
	v_dual_mov_b32 v7, v25 :: v_dual_mov_b32 v8, v26
	v_dual_mov_b32 v1, v20 :: v_dual_mov_b32 v2, v19
	;; [unrolled: 1-line block ×4, first 2 shown]
	s_delay_alu instid0(VALU_DEP_4)
	v_dual_mov_b32 v11, v34 :: v_dual_mov_b32 v26, v8
	v_dual_mov_b32 v12, v42 :: v_dual_mov_b32 v25, v7
	v_swap_b32 v34, v35
	v_swap_b32 v42, v43
	v_dual_mov_b32 v24, v6 :: v_dual_mov_b32 v23, v5
	v_dual_mov_b32 v22, v4 :: v_dual_mov_b32 v21, v3
	;; [unrolled: 1-line block ×3, first 2 shown]
	v_mov_b32_e32 v10, v9
.LBB230_49:
	s_or_b32 exec_lo, exec_lo, s2
	v_mov_b32_e32 v47, v28
	v_mov_b32_e32 v39, v27
	v_dual_mov_b32 v1, v42 :: v_dual_mov_b32 v4, v45
	v_dual_mov_b32 v11, v34 :: v_dual_mov_b32 v14, v37
	v_dual_mov_b32 v12, v35 :: v_dual_mov_b32 v13, v36
	s_delay_alu instid0(VALU_DEP_4)
	v_dual_mov_b32 v16, v39 :: v_dual_mov_b32 v15, v38
	v_dual_mov_b32 v18, v41 :: v_dual_mov_b32 v17, v40
	;; [unrolled: 1-line block ×5, first 2 shown]
	v_mov_b32_e32 v9, v21
	s_mov_b32 s2, exec_lo
	v_cmpx_lt_f32_e32 v10, v21
	s_cbranch_execz .LBB230_51
; %bb.50:
	v_dual_mov_b32 v1, v42 :: v_dual_mov_b32 v2, v43
	v_dual_mov_b32 v5, v46 :: v_dual_mov_b32 v6, v47
	;; [unrolled: 1-line block ×16, first 2 shown]
	v_mov_b32_e32 v18, v41
	v_mov_b32_e32 v36, v35
	;; [unrolled: 1-line block ×3, first 2 shown]
.LBB230_51:
	s_or_b32 exec_lo, exec_lo, s2
	v_mov_b32_e32 v29, v22
	s_mov_b32 s2, exec_lo
	v_cmpx_lt_f32_e32 v9, v22
; %bb.52:
	v_dual_mov_b32 v21, v22 :: v_dual_mov_b32 v22, v9
	v_dual_mov_b32 v3, v45 :: v_dual_mov_b32 v4, v44
	;; [unrolled: 1-line block ×7, first 2 shown]
	v_mov_b32_e32 v29, v9
; %bb.53:
	s_or_b32 exec_lo, exec_lo, s2
	s_delay_alu instid0(VALU_DEP_1)
	v_cmp_lt_f32_e32 vcc_lo, v29, v23
	v_dual_mov_b32 v28, v20 :: v_dual_mov_b32 v33, v25
	v_mov_b32_e32 v32, v24
	v_dual_mov_b32 v34, v26 :: v_dual_cndmask_b32 v9, v15, v14
	v_cndmask_b32_e32 v14, v14, v15, vcc_lo
	v_dual_cndmask_b32 v10, v5, v4 :: v_dual_cndmask_b32 v31, v23, v29
	v_dual_cndmask_b32 v4, v4, v5 :: v_dual_mov_b32 v27, v19
	v_dual_cndmask_b32 v30, v22, v23 :: v_dual_mov_b32 v29, v21
	s_mov_b32 s2, exec_lo
	v_cmpx_lt_f32_e32 v19, v20
	s_cbranch_execz .LBB230_55
; %bb.54:
	v_dual_mov_b32 v20, v28 :: v_dual_mov_b32 v21, v27
	v_dual_mov_b32 v26, v33 :: v_dual_mov_b32 v27, v34
	;; [unrolled: 1-line block ×4, first 2 shown]
	s_delay_alu instid0(VALU_DEP_3) | instskip(SKIP_2) | instid1(VALU_DEP_4)
	v_dual_mov_b32 v15, v1 :: v_dual_mov_b32 v34, v27
	v_mov_b32_e32 v5, v11
	v_swap_b32 v11, v12
	v_mov_b32_e32 v32, v25
	v_swap_b32 v1, v2
	v_dual_mov_b32 v33, v26 :: v_dual_mov_b32 v30, v23
	v_dual_mov_b32 v31, v24 :: v_dual_mov_b32 v28, v21
	v_mov_b32_e32 v29, v22
	v_dual_mov_b32 v27, v20 :: v_dual_mov_b32 v20, v19
.LBB230_55:
	s_or_b32 exec_lo, exec_lo, s2
	v_mov_b32_e32 v5, v10
	v_mov_b32_e32 v15, v9
	;; [unrolled: 1-line block ×3, first 2 shown]
	s_mov_b32 s2, exec_lo
	v_cmpx_lt_f32_e32 v20, v29
	s_cbranch_execz .LBB230_57
; %bb.56:
	v_dual_mov_b32 v50, v18 :: v_dual_mov_b32 v49, v17
	v_dual_mov_b32 v42, v8 :: v_dual_mov_b32 v41, v7
	;; [unrolled: 1-line block ×14, first 2 shown]
	v_mov_b32_e32 v50, v18
	v_dual_mov_b32 v28, v29 :: v_dual_mov_b32 v29, v20
	v_dual_mov_b32 v42, v8 :: v_dual_mov_b32 v11, v43
	;; [unrolled: 1-line block ×10, first 2 shown]
.LBB230_57:
	s_or_b32 exec_lo, exec_lo, s2
	s_delay_alu instid0(VALU_DEP_1) | instskip(NEXT) | instid1(VALU_DEP_3)
	v_cmp_lt_f32_e32 vcc_lo, v19, v30
	v_dual_mov_b32 v20, v5 :: v_dual_mov_b32 v21, v6
	s_delay_alu instid0(VALU_DEP_3)
	v_dual_mov_b32 v22, v7 :: v_dual_mov_b32 v23, v8
	v_dual_cndmask_b32 v9, v14, v13 :: v_dual_cndmask_b32 v10, v4, v3
	v_dual_cndmask_b32 v35, v13, v14 :: v_dual_cndmask_b32 v36, v3, v4
	v_dual_cndmask_b32 v3, v30, v19 :: v_dual_cndmask_b32 v30, v29, v30
	v_dual_mov_b32 v4, v15 :: v_dual_mov_b32 v13, v16
	v_dual_mov_b32 v14, v17 :: v_dual_mov_b32 v19, v18
	;; [unrolled: 1-line block ×4, first 2 shown]
	v_mov_b32_e32 v29, v34
	s_mov_b32 s2, exec_lo
	v_cmpx_lt_f32_e32 v27, v28
	s_cbranch_execz .LBB230_59
; %bb.58:
	v_dual_mov_b32 v24, v28 :: v_dual_mov_b32 v19, v18
	v_dual_mov_b32 v4, v11 :: v_dual_mov_b32 v13, v16
	;; [unrolled: 1-line block ×3, first 2 shown]
	v_swap_b32 v11, v12
	v_swap_b32 v1, v2
	v_dual_mov_b32 v28, v27 :: v_dual_mov_b32 v21, v6
	v_dual_mov_b32 v4, v15 :: v_dual_mov_b32 v23, v8
	;; [unrolled: 1-line block ×5, first 2 shown]
	v_mov_b32_e32 v24, v31
	v_mov_b32_e32 v26, v33
.LBB230_59:
	s_or_b32 exec_lo, exec_lo, s2
	s_clause 0x1
	s_load_b32 s8, s[0:1], 0x28
	s_load_b128 s[4:7], s[0:1], 0x10
	s_waitcnt lgkmcnt(0)
	s_cmp_lt_i32 s8, 1
	s_cbranch_scc1 .LBB230_65
; %bb.60:
	v_cmp_lt_f32_e32 vcc_lo, v28, v30
	v_mov_b32_e32 v7, 0
	s_mov_b32 s9, 0x76543210
	s_mov_b32 s10, s8
	v_mov_b32_e32 v6, 0
	v_dual_cndmask_b32 v8, v35, v12 :: v_dual_cndmask_b32 v17, v37, v30
	v_cndmask_b32_e32 v5, v36, v2, vcc_lo
	v_cndmask_b32_e32 v15, v2, v36, vcc_lo
	;; [unrolled: 1-line block ×4, first 2 shown]
	v_cmp_lt_f32_e64 s2, v27, v17
	s_delay_alu instid0(VALU_DEP_1)
	v_cndmask_b32_e64 v12, v15, v1, s2
	v_cndmask_b32_e64 v15, v1, v15, s2
	;; [unrolled: 1-line block ×6, first 2 shown]
	v_mov_b32_e32 v27, v0
	v_mov_b32_e32 v1, 0
.LBB230_61:                             ; =>This Inner Loop Header: Depth=1
	v_cmp_eq_u32_e32 vcc_lo, 1, v7
	v_cmp_eq_u32_e64 s2, 2, v7
	v_cmp_gt_u32_e64 s3, 8, v7
	v_dual_cndmask_b32 v28, v17, v16 :: v_dual_cndmask_b32 v31, v11, v18
	v_cndmask_b32_e32 v30, v15, v12, vcc_lo
	v_cmp_eq_u32_e32 vcc_lo, 3, v7
	s_delay_alu instid0(VALU_DEP_3) | instskip(NEXT) | instid1(VALU_DEP_4)
	v_cndmask_b32_e64 v28, v28, v2, s2
	v_cndmask_b32_e64 v31, v31, v8, s2
	s_delay_alu instid0(VALU_DEP_4) | instskip(SKIP_1) | instid1(VALU_DEP_3)
	v_cndmask_b32_e64 v30, v30, v5, s2
	v_cmp_eq_u32_e64 s2, 4, v7
	v_dual_cndmask_b32 v28, v28, v3 :: v_dual_cndmask_b32 v31, v31, v9
	s_delay_alu instid0(VALU_DEP_1) | instskip(NEXT) | instid1(VALU_DEP_2)
	v_cndmask_b32_e64 v28, v28, v24, s2
	v_cndmask_b32_e64 v31, v31, v4, s2
	v_cndmask_b32_e32 v30, v30, v10, vcc_lo
	v_cmp_eq_u32_e32 vcc_lo, 5, v7
	s_delay_alu instid0(VALU_DEP_3) | instskip(SKIP_1) | instid1(VALU_DEP_4)
	v_cndmask_b32_e32 v31, v31, v13, vcc_lo
	v_cndmask_b32_e32 v28, v28, v25, vcc_lo
	v_cndmask_b32_e64 v30, v30, v20, s2
	v_cmp_eq_u32_e64 s2, 6, v7
	s_delay_alu instid0(VALU_DEP_2) | instskip(NEXT) | instid1(VALU_DEP_2)
	v_cndmask_b32_e32 v30, v30, v21, vcc_lo
	v_cndmask_b32_e64 v28, v28, v26, s2
	v_cmp_eq_u32_e32 vcc_lo, 7, v7
	v_cndmask_b32_e64 v31, v31, v14, s2
	s_delay_alu instid0(VALU_DEP_4) | instskip(NEXT) | instid1(VALU_DEP_4)
	v_cndmask_b32_e64 v30, v30, v22, s2
	v_cndmask_b32_e32 v28, v28, v29, vcc_lo
	s_delay_alu instid0(VALU_DEP_2) | instskip(NEXT) | instid1(VALU_DEP_2)
	v_cndmask_b32_e32 v30, v30, v23, vcc_lo
	v_cndmask_b32_e64 v28, 0xff800000, v28, s3
	;;#ASMSTART
	v_max_f32 v32, v28, v28 quad_perm:[1,0,3,2] row_mask:0xf bank_mask:0xf bound_ctrl:1
	;;#ASMEND
	;;#ASMSTART
	v_max_f32 v33, v32, v32 quad_perm:[2,3,0,1] row_mask:0xf bank_mask:0xf bound_ctrl:1
	;;#ASMEND
	;;#ASMSTART
	v_max_f32 v32, v33, v33 row_half_mirror row_mask:0xf bank_mask:0xf bound_ctrl:1
	;;#ASMEND
	;;#ASMSTART
	v_max_f32 v33, v32, v32 row_mirror row_mask:0xf bank_mask:0xf bound_ctrl:1
	;;#ASMEND
	v_permlanex16_b32 v32, v33, s9, 0xfedcba98 op_sel:[1,1]
	s_delay_alu instid0(VALU_DEP_1) | instskip(NEXT) | instid1(VALU_DEP_1)
	v_dual_max_f32 v33, v33, v33 :: v_dual_max_f32 v32, v32, v32
	v_max_f32_e32 v32, v33, v32
	s_delay_alu instid0(VALU_DEP_1) | instskip(SKIP_1) | instid1(VALU_DEP_2)
	v_cmp_eq_f32_e64 s2, v28, v32
	v_cndmask_b32_e64 v28, 0, v30, s3
	s_ctz_i32_b32 s11, s2
	s_cmp_lg_u32 s2, 0
	s_cselect_b32 s2, s11, 0
	s_add_i32 s10, s10, -1
	v_readlane_b32 s11, v28, s2
	v_cndmask_b32_e32 v28, v31, v19, vcc_lo
	s_delay_alu instid0(VALU_DEP_2)
	v_cmp_eq_u32_e32 vcc_lo, s11, v30
	s_and_b32 s2, s11, 31
	s_and_b32 vcc_lo, s3, vcc_lo
	s_cmp_eq_u32 s10, 0
	v_cndmask_b32_e32 v28, 0, v28, vcc_lo
	v_add_co_ci_u32_e32 v7, vcc_lo, 0, v7, vcc_lo
	s_delay_alu instid0(VALU_DEP_2) | instskip(SKIP_2) | instid1(VALU_DEP_2)
	v_readlane_b32 s3, v28, s2
	v_cmp_eq_u32_e64 s2, 0, v27
	v_add_nc_u32_e32 v27, -1, v27
	v_cndmask_b32_e64 v6, v6, s3, s2
	v_cndmask_b32_e64 v1, v1, s11, s2
	s_cbranch_scc0 .LBB230_61
; %bb.62:
	s_mov_b32 s2, exec_lo
	v_cmpx_gt_i32_e64 s8, v0
	s_cbranch_execz .LBB230_64
.LBB230_63:
	s_clause 0x1
	s_load_b64 s[2:3], s[0:1], 0x20
	s_load_b32 s8, s[0:1], 0x30
	s_ashr_i32 s0, s15, 31
	s_waitcnt lgkmcnt(0)
	s_mul_i32 s1, s15, s3
	s_mul_hi_u32 s3, s15, s2
	s_mul_i32 s0, s0, s2
	s_add_i32 s1, s3, s1
	v_mul_f32_e32 v0, s8, v6
	s_add_i32 s1, s1, s0
	s_mul_i32 s0, s15, s2
	s_delay_alu instid0(SALU_CYCLE_1) | instskip(NEXT) | instid1(SALU_CYCLE_1)
	s_lshl_b64 s[0:1], s[0:1], 2
	s_add_u32 s2, s4, s0
	s_addc_u32 s3, s5, s1
	s_add_u32 s0, s6, s0
	s_addc_u32 s1, s7, s1
	s_clause 0x1
	global_store_b32 v96, v0, s[2:3]
	global_store_b32 v96, v1, s[0:1]
.LBB230_64:
	s_nop 0
	s_sendmsg sendmsg(MSG_DEALLOC_VGPRS)
	s_endpgm
.LBB230_65:
	v_dual_mov_b32 v1, 0 :: v_dual_mov_b32 v6, 0
	s_mov_b32 s2, exec_lo
	v_cmpx_gt_i32_e64 s8, v0
	s_cbranch_execnz .LBB230_63
	s_branch .LBB230_64
	.section	.rodata,"a",@progbits
	.p2align	6, 0x0
	.amdhsa_kernel _ZN5aiter24topk_softplus_kernel_optI12hip_bfloat16fLi256ELb0ELi0EEEvPKT_PKT0_PfPimiif
		.amdhsa_group_segment_fixed_size 0
		.amdhsa_private_segment_fixed_size 0
		.amdhsa_kernarg_size 52
		.amdhsa_user_sgpr_count 15
		.amdhsa_user_sgpr_dispatch_ptr 0
		.amdhsa_user_sgpr_queue_ptr 0
		.amdhsa_user_sgpr_kernarg_segment_ptr 1
		.amdhsa_user_sgpr_dispatch_id 0
		.amdhsa_user_sgpr_private_segment_size 0
		.amdhsa_wavefront_size32 1
		.amdhsa_uses_dynamic_stack 0
		.amdhsa_enable_private_segment 0
		.amdhsa_system_sgpr_workgroup_id_x 1
		.amdhsa_system_sgpr_workgroup_id_y 0
		.amdhsa_system_sgpr_workgroup_id_z 0
		.amdhsa_system_sgpr_workgroup_info 0
		.amdhsa_system_vgpr_workitem_id 0
		.amdhsa_next_free_vgpr 97
		.amdhsa_next_free_sgpr 16
		.amdhsa_reserve_vcc 1
		.amdhsa_float_round_mode_32 0
		.amdhsa_float_round_mode_16_64 0
		.amdhsa_float_denorm_mode_32 3
		.amdhsa_float_denorm_mode_16_64 3
		.amdhsa_dx10_clamp 1
		.amdhsa_ieee_mode 1
		.amdhsa_fp16_overflow 0
		.amdhsa_workgroup_processor_mode 1
		.amdhsa_memory_ordered 1
		.amdhsa_forward_progress 0
		.amdhsa_shared_vgpr_count 0
		.amdhsa_exception_fp_ieee_invalid_op 0
		.amdhsa_exception_fp_denorm_src 0
		.amdhsa_exception_fp_ieee_div_zero 0
		.amdhsa_exception_fp_ieee_overflow 0
		.amdhsa_exception_fp_ieee_underflow 0
		.amdhsa_exception_fp_ieee_inexact 0
		.amdhsa_exception_int_div_zero 0
	.end_amdhsa_kernel
	.section	.text._ZN5aiter24topk_softplus_kernel_optI12hip_bfloat16fLi256ELb0ELi0EEEvPKT_PKT0_PfPimiif,"axG",@progbits,_ZN5aiter24topk_softplus_kernel_optI12hip_bfloat16fLi256ELb0ELi0EEEvPKT_PKT0_PfPimiif,comdat
.Lfunc_end230:
	.size	_ZN5aiter24topk_softplus_kernel_optI12hip_bfloat16fLi256ELb0ELi0EEEvPKT_PKT0_PfPimiif, .Lfunc_end230-_ZN5aiter24topk_softplus_kernel_optI12hip_bfloat16fLi256ELb0ELi0EEEvPKT_PKT0_PfPimiif
                                        ; -- End function
	.section	.AMDGPU.csdata,"",@progbits
; Kernel info:
; codeLenInByte = 8424
; NumSgprs: 18
; NumVgprs: 97
; ScratchSize: 0
; MemoryBound: 0
; FloatMode: 240
; IeeeMode: 1
; LDSByteSize: 0 bytes/workgroup (compile time only)
; SGPRBlocks: 2
; VGPRBlocks: 12
; NumSGPRsForWavesPerEU: 18
; NumVGPRsForWavesPerEU: 97
; Occupancy: 12
; WaveLimiterHint : 0
; COMPUTE_PGM_RSRC2:SCRATCH_EN: 0
; COMPUTE_PGM_RSRC2:USER_SGPR: 15
; COMPUTE_PGM_RSRC2:TRAP_HANDLER: 0
; COMPUTE_PGM_RSRC2:TGID_X_EN: 1
; COMPUTE_PGM_RSRC2:TGID_Y_EN: 0
; COMPUTE_PGM_RSRC2:TGID_Z_EN: 0
; COMPUTE_PGM_RSRC2:TIDIG_COMP_CNT: 0
	.section	.text._ZN5aiter24topk_softplus_kernel_optI12hip_bfloat16fLi384ELb1ELi0EEEvPKT_PKT0_PfPimiif,"axG",@progbits,_ZN5aiter24topk_softplus_kernel_optI12hip_bfloat16fLi384ELb1ELi0EEEvPKT_PKT0_PfPimiif,comdat
	.protected	_ZN5aiter24topk_softplus_kernel_optI12hip_bfloat16fLi384ELb1ELi0EEEvPKT_PKT0_PfPimiif ; -- Begin function _ZN5aiter24topk_softplus_kernel_optI12hip_bfloat16fLi384ELb1ELi0EEEvPKT_PKT0_PfPimiif
	.globl	_ZN5aiter24topk_softplus_kernel_optI12hip_bfloat16fLi384ELb1ELi0EEEvPKT_PKT0_PfPimiif
	.p2align	8
	.type	_ZN5aiter24topk_softplus_kernel_optI12hip_bfloat16fLi384ELb1ELi0EEEvPKT_PKT0_PfPimiif,@function
_ZN5aiter24topk_softplus_kernel_optI12hip_bfloat16fLi384ELb1ELi0EEEvPKT_PKT0_PfPimiif: ; @_ZN5aiter24topk_softplus_kernel_optI12hip_bfloat16fLi384ELb1ELi0EEEvPKT_PKT0_PfPimiif
; %bb.0:
	s_load_b128 s[4:7], s[0:1], 0x0
	s_mul_i32 s2, s15, 0x180
	v_lshlrev_b32_e32 v1, 1, v0
	s_ashr_i32 s3, s2, 31
	v_lshlrev_b32_e32 v183, 2, v0
	s_lshl_b64 s[2:3], s[2:3], 1
	s_waitcnt lgkmcnt(0)
	s_add_u32 s4, s4, s2
	s_addc_u32 s5, s5, s3
	s_cmp_lg_u64 s[6:7], 0
	global_load_u16 v2, v1, s[4:5]
	s_cselect_b32 s3, -1, 0
	s_waitcnt vmcnt(0)
	v_lshlrev_b32_e32 v2, 16, v2
	s_delay_alu instid0(VALU_DEP_1) | instskip(NEXT) | instid1(VALU_DEP_1)
	v_mul_f32_e32 v3, 0x3fb8aa3b, v2
	v_cmp_gt_f32_e32 vcc_lo, 0xc2fc0000, v3
	v_cndmask_b32_e64 v3, 0, 0x42800000, vcc_lo
	v_cndmask_b32_e64 v4, 1.0, 0x1f800000, vcc_lo
	s_delay_alu instid0(VALU_DEP_2) | instskip(NEXT) | instid1(VALU_DEP_1)
	v_fmac_f32_e32 v3, 0x3fb8aa3b, v2
	v_exp_f32_e32 v3, v3
	s_waitcnt_depctr 0xfff
	v_fma_f32 v3, v3, v4, 1.0
	s_delay_alu instid0(VALU_DEP_1) | instskip(SKIP_1) | instid1(VALU_DEP_1)
	v_cmp_gt_f32_e32 vcc_lo, 0x800000, v3
	v_cndmask_b32_e64 v4, 1.0, 0x4f800000, vcc_lo
	v_mul_f32_e32 v3, v3, v4
	v_cndmask_b32_e64 v4, 0, 0x42000000, vcc_lo
	v_cmp_lt_f32_e32 vcc_lo, 0x41a00000, v2
	s_delay_alu instid0(VALU_DEP_3) | instskip(SKIP_2) | instid1(VALU_DEP_1)
	v_log_f32_e32 v3, v3
	s_waitcnt_depctr 0xfff
	v_sub_f32_e32 v3, v3, v4
	v_mul_f32_e32 v3, 0x3f317218, v3
	s_delay_alu instid0(VALU_DEP_1) | instskip(NEXT) | instid1(VALU_DEP_1)
	v_cndmask_b32_e32 v2, v3, v2, vcc_lo
	v_mul_f32_e32 v3, 0x4f800000, v2
	v_cmp_gt_f32_e32 vcc_lo, 0xf800000, v2
	s_delay_alu instid0(VALU_DEP_2) | instskip(NEXT) | instid1(VALU_DEP_1)
	v_cndmask_b32_e32 v2, v2, v3, vcc_lo
	v_sqrt_f32_e32 v3, v2
	s_waitcnt_depctr 0xfff
	v_add_nc_u32_e32 v4, -1, v3
	v_add_nc_u32_e32 v5, 1, v3
	s_delay_alu instid0(VALU_DEP_2) | instskip(NEXT) | instid1(VALU_DEP_2)
	v_fma_f32 v6, -v4, v3, v2
	v_fma_f32 v7, -v5, v3, v2
	s_delay_alu instid0(VALU_DEP_2) | instskip(NEXT) | instid1(VALU_DEP_1)
	v_cmp_ge_f32_e64 s2, 0, v6
	v_cndmask_b32_e64 v3, v3, v4, s2
	s_delay_alu instid0(VALU_DEP_3) | instskip(NEXT) | instid1(VALU_DEP_1)
	v_cmp_lt_f32_e64 s2, 0, v7
	v_cndmask_b32_e64 v3, v3, v5, s2
	v_add_co_u32 v12, s2, s4, v1
	s_delay_alu instid0(VALU_DEP_1) | instskip(NEXT) | instid1(VALU_DEP_3)
	v_add_co_ci_u32_e64 v13, null, s5, 0, s2
	v_mul_f32_e32 v4, 0x37800000, v3
	s_delay_alu instid0(VALU_DEP_1) | instskip(SKIP_1) | instid1(VALU_DEP_2)
	v_cndmask_b32_e32 v3, v3, v4, vcc_lo
	v_cmp_class_f32_e64 vcc_lo, v2, 0x260
	v_cndmask_b32_e32 v49, v3, v2, vcc_lo
	s_and_b32 vcc_lo, exec_lo, s3
	s_delay_alu instid0(VALU_DEP_1)
	v_mov_b32_e32 v37, v49
	s_cbranch_vccz .LBB231_2
; %bb.1:
	global_load_b32 v1, v183, s[6:7]
	s_waitcnt vmcnt(0)
	v_add_f32_e32 v37, v49, v1
.LBB231_2:
	global_load_u16 v1, v[12:13], off offset:64
	s_waitcnt vmcnt(0)
	v_lshlrev_b32_e32 v1, 16, v1
	s_delay_alu instid0(VALU_DEP_1) | instskip(NEXT) | instid1(VALU_DEP_1)
	v_mul_f32_e32 v2, 0x3fb8aa3b, v1
	v_cmp_gt_f32_e32 vcc_lo, 0xc2fc0000, v2
	v_cndmask_b32_e64 v2, 0, 0x42800000, vcc_lo
	v_cndmask_b32_e64 v3, 1.0, 0x1f800000, vcc_lo
	s_delay_alu instid0(VALU_DEP_2) | instskip(NEXT) | instid1(VALU_DEP_1)
	v_fmac_f32_e32 v2, 0x3fb8aa3b, v1
	v_exp_f32_e32 v2, v2
	s_waitcnt_depctr 0xfff
	v_fma_f32 v2, v2, v3, 1.0
	s_delay_alu instid0(VALU_DEP_1) | instskip(SKIP_1) | instid1(VALU_DEP_1)
	v_cmp_gt_f32_e32 vcc_lo, 0x800000, v2
	v_cndmask_b32_e64 v3, 1.0, 0x4f800000, vcc_lo
	v_mul_f32_e32 v2, v2, v3
	v_cndmask_b32_e64 v3, 0, 0x42000000, vcc_lo
	v_cmp_lt_f32_e32 vcc_lo, 0x41a00000, v1
	s_delay_alu instid0(VALU_DEP_3) | instskip(SKIP_2) | instid1(VALU_DEP_1)
	v_log_f32_e32 v2, v2
	s_waitcnt_depctr 0xfff
	v_sub_f32_e32 v2, v2, v3
	v_mul_f32_e32 v2, 0x3f317218, v2
	s_delay_alu instid0(VALU_DEP_1) | instskip(NEXT) | instid1(VALU_DEP_1)
	v_cndmask_b32_e32 v1, v2, v1, vcc_lo
	v_mul_f32_e32 v2, 0x4f800000, v1
	v_cmp_gt_f32_e32 vcc_lo, 0xf800000, v1
	s_delay_alu instid0(VALU_DEP_2) | instskip(NEXT) | instid1(VALU_DEP_1)
	v_cndmask_b32_e32 v2, v1, v2, vcc_lo
	v_sqrt_f32_e32 v1, v2
	s_waitcnt_depctr 0xfff
	v_add_nc_u32_e32 v3, -1, v1
	v_add_nc_u32_e32 v4, 1, v1
	s_delay_alu instid0(VALU_DEP_2) | instskip(NEXT) | instid1(VALU_DEP_2)
	v_fma_f32 v5, -v3, v1, v2
	v_fma_f32 v6, -v4, v1, v2
	s_delay_alu instid0(VALU_DEP_2) | instskip(NEXT) | instid1(VALU_DEP_1)
	v_cmp_ge_f32_e64 s2, 0, v5
	v_cndmask_b32_e64 v1, v1, v3, s2
	s_delay_alu instid0(VALU_DEP_3) | instskip(NEXT) | instid1(VALU_DEP_1)
	v_cmp_lt_f32_e64 s2, 0, v6
	v_cndmask_b32_e64 v1, v1, v4, s2
	s_delay_alu instid0(VALU_DEP_1) | instskip(NEXT) | instid1(VALU_DEP_1)
	v_mul_f32_e32 v3, 0x37800000, v1
	v_cndmask_b32_e32 v3, v1, v3, vcc_lo
	v_cmp_class_f32_e64 vcc_lo, v2, 0x260
	v_cndmask_b32_e64 v1, 0, 1, s3
	s_delay_alu instid0(VALU_DEP_3) | instskip(SKIP_1) | instid1(VALU_DEP_1)
	v_cndmask_b32_e32 v2, v3, v2, vcc_lo
	s_and_not1_b32 vcc_lo, exec_lo, s3
	v_mov_b32_e32 v38, v2
	s_cbranch_vccnz .LBB231_4
; %bb.3:
	global_load_b32 v3, v183, s[6:7] offset:128
	s_waitcnt vmcnt(0)
	v_add_f32_e32 v38, v2, v3
.LBB231_4:
	global_load_u16 v3, v[12:13], off offset:128
	s_waitcnt vmcnt(0)
	v_lshlrev_b32_e32 v3, 16, v3
	s_delay_alu instid0(VALU_DEP_1) | instskip(NEXT) | instid1(VALU_DEP_1)
	v_mul_f32_e32 v4, 0x3fb8aa3b, v3
	v_cmp_gt_f32_e32 vcc_lo, 0xc2fc0000, v4
	v_cndmask_b32_e64 v4, 0, 0x42800000, vcc_lo
	v_cndmask_b32_e64 v5, 1.0, 0x1f800000, vcc_lo
	s_delay_alu instid0(VALU_DEP_2) | instskip(NEXT) | instid1(VALU_DEP_1)
	v_fmac_f32_e32 v4, 0x3fb8aa3b, v3
	v_exp_f32_e32 v4, v4
	s_waitcnt_depctr 0xfff
	v_fma_f32 v4, v4, v5, 1.0
	s_delay_alu instid0(VALU_DEP_1) | instskip(SKIP_1) | instid1(VALU_DEP_1)
	v_cmp_gt_f32_e32 vcc_lo, 0x800000, v4
	v_cndmask_b32_e64 v5, 1.0, 0x4f800000, vcc_lo
	v_mul_f32_e32 v4, v4, v5
	v_cndmask_b32_e64 v5, 0, 0x42000000, vcc_lo
	v_cmp_lt_f32_e32 vcc_lo, 0x41a00000, v3
	s_delay_alu instid0(VALU_DEP_3) | instskip(SKIP_2) | instid1(VALU_DEP_1)
	v_log_f32_e32 v4, v4
	s_waitcnt_depctr 0xfff
	v_sub_f32_e32 v4, v4, v5
	v_mul_f32_e32 v4, 0x3f317218, v4
	s_delay_alu instid0(VALU_DEP_1) | instskip(NEXT) | instid1(VALU_DEP_1)
	v_cndmask_b32_e32 v3, v4, v3, vcc_lo
	v_mul_f32_e32 v4, 0x4f800000, v3
	v_cmp_gt_f32_e32 vcc_lo, 0xf800000, v3
	s_delay_alu instid0(VALU_DEP_2) | instskip(NEXT) | instid1(VALU_DEP_1)
	v_cndmask_b32_e32 v3, v3, v4, vcc_lo
	v_sqrt_f32_e32 v4, v3
	s_waitcnt_depctr 0xfff
	v_add_nc_u32_e32 v5, -1, v4
	v_add_nc_u32_e32 v6, 1, v4
	s_delay_alu instid0(VALU_DEP_2) | instskip(NEXT) | instid1(VALU_DEP_2)
	v_fma_f32 v7, -v5, v4, v3
	v_fma_f32 v8, -v6, v4, v3
	s_delay_alu instid0(VALU_DEP_2) | instskip(NEXT) | instid1(VALU_DEP_1)
	v_cmp_ge_f32_e64 s2, 0, v7
	v_cndmask_b32_e64 v4, v4, v5, s2
	s_delay_alu instid0(VALU_DEP_3) | instskip(NEXT) | instid1(VALU_DEP_1)
	v_cmp_lt_f32_e64 s2, 0, v8
	v_cndmask_b32_e64 v4, v4, v6, s2
	s_delay_alu instid0(VALU_DEP_1) | instskip(NEXT) | instid1(VALU_DEP_1)
	v_mul_f32_e32 v5, 0x37800000, v4
	v_cndmask_b32_e32 v4, v4, v5, vcc_lo
	v_cmp_class_f32_e64 vcc_lo, v3, 0x260
	s_delay_alu instid0(VALU_DEP_2) | instskip(SKIP_1) | instid1(VALU_DEP_2)
	v_cndmask_b32_e32 v3, v4, v3, vcc_lo
	v_cmp_ne_u32_e32 vcc_lo, 1, v1
	v_mov_b32_e32 v39, v3
	s_cbranch_vccnz .LBB231_6
; %bb.5:
	global_load_b32 v4, v183, s[6:7] offset:256
	s_waitcnt vmcnt(0)
	v_add_f32_e32 v39, v3, v4
.LBB231_6:
	global_load_u16 v4, v[12:13], off offset:192
	s_waitcnt vmcnt(0)
	v_lshlrev_b32_e32 v4, 16, v4
	s_delay_alu instid0(VALU_DEP_1) | instskip(NEXT) | instid1(VALU_DEP_1)
	v_mul_f32_e32 v5, 0x3fb8aa3b, v4
	v_cmp_gt_f32_e32 vcc_lo, 0xc2fc0000, v5
	v_cndmask_b32_e64 v5, 0, 0x42800000, vcc_lo
	v_cndmask_b32_e64 v6, 1.0, 0x1f800000, vcc_lo
	s_delay_alu instid0(VALU_DEP_2) | instskip(NEXT) | instid1(VALU_DEP_1)
	v_fmac_f32_e32 v5, 0x3fb8aa3b, v4
	v_exp_f32_e32 v5, v5
	s_waitcnt_depctr 0xfff
	v_fma_f32 v5, v5, v6, 1.0
	s_delay_alu instid0(VALU_DEP_1) | instskip(SKIP_1) | instid1(VALU_DEP_1)
	v_cmp_gt_f32_e32 vcc_lo, 0x800000, v5
	v_cndmask_b32_e64 v6, 1.0, 0x4f800000, vcc_lo
	v_mul_f32_e32 v5, v5, v6
	v_cndmask_b32_e64 v6, 0, 0x42000000, vcc_lo
	v_cmp_lt_f32_e32 vcc_lo, 0x41a00000, v4
	s_delay_alu instid0(VALU_DEP_3) | instskip(SKIP_2) | instid1(VALU_DEP_1)
	v_log_f32_e32 v5, v5
	s_waitcnt_depctr 0xfff
	v_sub_f32_e32 v5, v5, v6
	v_mul_f32_e32 v5, 0x3f317218, v5
	s_delay_alu instid0(VALU_DEP_1) | instskip(NEXT) | instid1(VALU_DEP_1)
	v_cndmask_b32_e32 v4, v5, v4, vcc_lo
	v_mul_f32_e32 v5, 0x4f800000, v4
	v_cmp_gt_f32_e32 vcc_lo, 0xf800000, v4
	s_delay_alu instid0(VALU_DEP_2) | instskip(NEXT) | instid1(VALU_DEP_1)
	v_cndmask_b32_e32 v4, v4, v5, vcc_lo
	v_sqrt_f32_e32 v5, v4
	s_waitcnt_depctr 0xfff
	v_add_nc_u32_e32 v6, -1, v5
	v_add_nc_u32_e32 v7, 1, v5
	s_delay_alu instid0(VALU_DEP_2) | instskip(NEXT) | instid1(VALU_DEP_2)
	v_fma_f32 v8, -v6, v5, v4
	v_fma_f32 v9, -v7, v5, v4
	s_delay_alu instid0(VALU_DEP_2) | instskip(NEXT) | instid1(VALU_DEP_1)
	v_cmp_ge_f32_e64 s2, 0, v8
	v_cndmask_b32_e64 v5, v5, v6, s2
	s_delay_alu instid0(VALU_DEP_3) | instskip(NEXT) | instid1(VALU_DEP_1)
	v_cmp_lt_f32_e64 s2, 0, v9
	v_cndmask_b32_e64 v5, v5, v7, s2
	s_delay_alu instid0(VALU_DEP_1) | instskip(NEXT) | instid1(VALU_DEP_1)
	v_mul_f32_e32 v6, 0x37800000, v5
	v_cndmask_b32_e32 v5, v5, v6, vcc_lo
	v_cmp_class_f32_e64 vcc_lo, v4, 0x260
	s_delay_alu instid0(VALU_DEP_2) | instskip(SKIP_1) | instid1(VALU_DEP_2)
	v_cndmask_b32_e32 v4, v5, v4, vcc_lo
	v_cmp_ne_u32_e32 vcc_lo, 1, v1
	;; [unrolled: 57-line block ×7, first 2 shown]
	v_mov_b32_e32 v45, v9
	s_cbranch_vccnz .LBB231_18
; %bb.17:
	global_load_b32 v10, v183, s[6:7] offset:1024
	s_waitcnt vmcnt(0)
	v_add_f32_e32 v45, v9, v10
.LBB231_18:
	global_load_u16 v10, v[12:13], off offset:576
	s_waitcnt vmcnt(0)
	v_lshlrev_b32_e32 v10, 16, v10
	s_delay_alu instid0(VALU_DEP_1) | instskip(NEXT) | instid1(VALU_DEP_1)
	v_mul_f32_e32 v11, 0x3fb8aa3b, v10
	v_cmp_gt_f32_e32 vcc_lo, 0xc2fc0000, v11
	v_cndmask_b32_e64 v11, 0, 0x42800000, vcc_lo
	v_cndmask_b32_e64 v14, 1.0, 0x1f800000, vcc_lo
	s_delay_alu instid0(VALU_DEP_2) | instskip(NEXT) | instid1(VALU_DEP_1)
	v_fmac_f32_e32 v11, 0x3fb8aa3b, v10
	v_exp_f32_e32 v11, v11
	s_waitcnt_depctr 0xfff
	v_fma_f32 v11, v11, v14, 1.0
	s_delay_alu instid0(VALU_DEP_1) | instskip(SKIP_1) | instid1(VALU_DEP_1)
	v_cmp_gt_f32_e32 vcc_lo, 0x800000, v11
	v_cndmask_b32_e64 v14, 1.0, 0x4f800000, vcc_lo
	v_mul_f32_e32 v11, v11, v14
	v_cndmask_b32_e64 v14, 0, 0x42000000, vcc_lo
	s_delay_alu instid0(VALU_DEP_2) | instskip(SKIP_2) | instid1(VALU_DEP_1)
	v_log_f32_e32 v11, v11
	s_waitcnt_depctr 0xfff
	v_sub_f32_e32 v11, v11, v14
	v_mul_f32_e32 v11, 0x3f317218, v11
	v_cmp_lt_f32_e32 vcc_lo, 0x41a00000, v10
	s_delay_alu instid0(VALU_DEP_2) | instskip(NEXT) | instid1(VALU_DEP_1)
	v_cndmask_b32_e32 v10, v11, v10, vcc_lo
	v_mul_f32_e32 v11, 0x4f800000, v10
	v_cmp_gt_f32_e32 vcc_lo, 0xf800000, v10
	s_delay_alu instid0(VALU_DEP_2) | instskip(NEXT) | instid1(VALU_DEP_1)
	v_cndmask_b32_e32 v10, v10, v11, vcc_lo
	v_sqrt_f32_e32 v11, v10
	s_waitcnt_depctr 0xfff
	v_add_nc_u32_e32 v14, -1, v11
	v_add_nc_u32_e32 v15, 1, v11
	s_delay_alu instid0(VALU_DEP_2) | instskip(NEXT) | instid1(VALU_DEP_2)
	v_fma_f32 v16, -v14, v11, v10
	v_fma_f32 v17, -v15, v11, v10
	s_delay_alu instid0(VALU_DEP_2) | instskip(NEXT) | instid1(VALU_DEP_1)
	v_cmp_ge_f32_e64 s2, 0, v16
	v_cndmask_b32_e64 v11, v11, v14, s2
	s_delay_alu instid0(VALU_DEP_3) | instskip(NEXT) | instid1(VALU_DEP_1)
	v_cmp_lt_f32_e64 s2, 0, v17
	v_cndmask_b32_e64 v11, v11, v15, s2
	s_delay_alu instid0(VALU_DEP_1) | instskip(NEXT) | instid1(VALU_DEP_1)
	v_mul_f32_e32 v14, 0x37800000, v11
	v_cndmask_b32_e32 v11, v11, v14, vcc_lo
	v_cmp_class_f32_e64 vcc_lo, v10, 0x260
	s_delay_alu instid0(VALU_DEP_2) | instskip(SKIP_1) | instid1(VALU_DEP_2)
	v_cndmask_b32_e32 v10, v11, v10, vcc_lo
	v_cmp_ne_u32_e32 vcc_lo, 1, v1
	v_mov_b32_e32 v46, v10
	s_cbranch_vccnz .LBB231_20
; %bb.19:
	global_load_b32 v11, v183, s[6:7] offset:1152
	s_waitcnt vmcnt(0)
	v_add_f32_e32 v46, v10, v11
.LBB231_20:
	global_load_u16 v11, v[12:13], off offset:640
	s_waitcnt vmcnt(0)
	v_lshlrev_b32_e32 v11, 16, v11
	s_delay_alu instid0(VALU_DEP_1) | instskip(NEXT) | instid1(VALU_DEP_1)
	v_mul_f32_e32 v14, 0x3fb8aa3b, v11
	v_cmp_gt_f32_e32 vcc_lo, 0xc2fc0000, v14
	v_cndmask_b32_e64 v14, 0, 0x42800000, vcc_lo
	v_cndmask_b32_e64 v15, 1.0, 0x1f800000, vcc_lo
	s_delay_alu instid0(VALU_DEP_2) | instskip(NEXT) | instid1(VALU_DEP_1)
	v_fmac_f32_e32 v14, 0x3fb8aa3b, v11
	v_exp_f32_e32 v14, v14
	s_waitcnt_depctr 0xfff
	v_fma_f32 v14, v14, v15, 1.0
	s_delay_alu instid0(VALU_DEP_1) | instskip(SKIP_1) | instid1(VALU_DEP_1)
	v_cmp_gt_f32_e32 vcc_lo, 0x800000, v14
	v_cndmask_b32_e64 v15, 1.0, 0x4f800000, vcc_lo
	v_mul_f32_e32 v14, v14, v15
	v_cndmask_b32_e64 v15, 0, 0x42000000, vcc_lo
	s_delay_alu instid0(VALU_DEP_2) | instskip(SKIP_2) | instid1(VALU_DEP_1)
	v_log_f32_e32 v14, v14
	s_waitcnt_depctr 0xfff
	v_sub_f32_e32 v14, v14, v15
	v_mul_f32_e32 v14, 0x3f317218, v14
	v_cmp_lt_f32_e32 vcc_lo, 0x41a00000, v11
	s_delay_alu instid0(VALU_DEP_2) | instskip(NEXT) | instid1(VALU_DEP_1)
	v_cndmask_b32_e32 v11, v14, v11, vcc_lo
	v_mul_f32_e32 v14, 0x4f800000, v11
	v_cmp_gt_f32_e32 vcc_lo, 0xf800000, v11
	s_delay_alu instid0(VALU_DEP_2) | instskip(NEXT) | instid1(VALU_DEP_1)
	v_cndmask_b32_e32 v11, v11, v14, vcc_lo
	v_sqrt_f32_e32 v14, v11
	s_waitcnt_depctr 0xfff
	v_add_nc_u32_e32 v15, -1, v14
	v_add_nc_u32_e32 v16, 1, v14
	s_delay_alu instid0(VALU_DEP_2) | instskip(NEXT) | instid1(VALU_DEP_2)
	v_fma_f32 v17, -v15, v14, v11
	v_fma_f32 v18, -v16, v14, v11
	s_delay_alu instid0(VALU_DEP_2) | instskip(NEXT) | instid1(VALU_DEP_1)
	v_cmp_ge_f32_e64 s2, 0, v17
	v_cndmask_b32_e64 v14, v14, v15, s2
	s_delay_alu instid0(VALU_DEP_3) | instskip(NEXT) | instid1(VALU_DEP_1)
	v_cmp_lt_f32_e64 s2, 0, v18
	v_cndmask_b32_e64 v14, v14, v16, s2
	s_delay_alu instid0(VALU_DEP_1) | instskip(NEXT) | instid1(VALU_DEP_1)
	v_mul_f32_e32 v15, 0x37800000, v14
	v_cndmask_b32_e32 v14, v14, v15, vcc_lo
	v_cmp_class_f32_e64 vcc_lo, v11, 0x260
	s_delay_alu instid0(VALU_DEP_2) | instskip(SKIP_1) | instid1(VALU_DEP_2)
	v_cndmask_b32_e32 v11, v14, v11, vcc_lo
	v_cmp_ne_u32_e32 vcc_lo, 1, v1
	v_mov_b32_e32 v47, v11
	s_cbranch_vccnz .LBB231_22
; %bb.21:
	global_load_b32 v14, v183, s[6:7] offset:1280
	s_waitcnt vmcnt(0)
	v_add_f32_e32 v47, v11, v14
.LBB231_22:
	global_load_u16 v12, v[12:13], off offset:704
	s_waitcnt vmcnt(0)
	v_lshlrev_b32_e32 v12, 16, v12
	s_delay_alu instid0(VALU_DEP_1) | instskip(NEXT) | instid1(VALU_DEP_1)
	v_mul_f32_e32 v13, 0x3fb8aa3b, v12
	v_cmp_gt_f32_e32 vcc_lo, 0xc2fc0000, v13
	v_cndmask_b32_e64 v13, 0, 0x42800000, vcc_lo
	v_cndmask_b32_e64 v14, 1.0, 0x1f800000, vcc_lo
	s_delay_alu instid0(VALU_DEP_2) | instskip(NEXT) | instid1(VALU_DEP_1)
	v_fmac_f32_e32 v13, 0x3fb8aa3b, v12
	v_exp_f32_e32 v13, v13
	s_waitcnt_depctr 0xfff
	v_fma_f32 v13, v13, v14, 1.0
	s_delay_alu instid0(VALU_DEP_1) | instskip(SKIP_1) | instid1(VALU_DEP_1)
	v_cmp_gt_f32_e32 vcc_lo, 0x800000, v13
	v_cndmask_b32_e64 v14, 1.0, 0x4f800000, vcc_lo
	v_mul_f32_e32 v13, v13, v14
	v_cndmask_b32_e64 v14, 0, 0x42000000, vcc_lo
	v_cmp_lt_f32_e32 vcc_lo, 0x41a00000, v12
	s_delay_alu instid0(VALU_DEP_3) | instskip(SKIP_2) | instid1(VALU_DEP_1)
	v_log_f32_e32 v13, v13
	s_waitcnt_depctr 0xfff
	v_sub_f32_e32 v13, v13, v14
	v_mul_f32_e32 v13, 0x3f317218, v13
	s_delay_alu instid0(VALU_DEP_1) | instskip(NEXT) | instid1(VALU_DEP_1)
	v_cndmask_b32_e32 v12, v13, v12, vcc_lo
	v_mul_f32_e32 v13, 0x4f800000, v12
	v_cmp_gt_f32_e32 vcc_lo, 0xf800000, v12
	s_delay_alu instid0(VALU_DEP_2) | instskip(NEXT) | instid1(VALU_DEP_1)
	v_cndmask_b32_e32 v12, v12, v13, vcc_lo
	v_sqrt_f32_e32 v13, v12
	s_waitcnt_depctr 0xfff
	v_add_nc_u32_e32 v14, -1, v13
	v_add_nc_u32_e32 v15, 1, v13
	s_delay_alu instid0(VALU_DEP_2) | instskip(NEXT) | instid1(VALU_DEP_2)
	v_fma_f32 v16, -v14, v13, v12
	v_fma_f32 v17, -v15, v13, v12
	s_delay_alu instid0(VALU_DEP_2) | instskip(NEXT) | instid1(VALU_DEP_1)
	v_cmp_ge_f32_e64 s2, 0, v16
	v_cndmask_b32_e64 v13, v13, v14, s2
	s_delay_alu instid0(VALU_DEP_3) | instskip(NEXT) | instid1(VALU_DEP_1)
	v_cmp_lt_f32_e64 s2, 0, v17
	v_cndmask_b32_e64 v13, v13, v15, s2
	s_delay_alu instid0(VALU_DEP_1) | instskip(NEXT) | instid1(VALU_DEP_1)
	v_mul_f32_e32 v14, 0x37800000, v13
	v_cndmask_b32_e32 v13, v13, v14, vcc_lo
	v_cmp_class_f32_e64 vcc_lo, v12, 0x260
	s_delay_alu instid0(VALU_DEP_2)
	v_cndmask_b32_e32 v12, v13, v12, vcc_lo
	v_cmp_ne_u32_e32 vcc_lo, 1, v1
	s_cbranch_vccnz .LBB231_24
; %bb.23:
	global_load_b32 v1, v183, s[6:7] offset:1408
	s_waitcnt vmcnt(0)
	v_add_f32_e32 v48, v12, v1
	s_branch .LBB231_25
.LBB231_24:
	s_delay_alu instid0(VALU_DEP_2)
	v_mov_b32_e32 v48, v12
.LBB231_25:
	v_dual_mov_b32 v13, v37 :: v_dual_add_nc_u32 v26, 32, v0
	v_dual_mov_b32 v14, v38 :: v_dual_add_nc_u32 v27, 64, v0
	;; [unrolled: 1-line block ×11, first 2 shown]
	v_dual_mov_b32 v24, v48 :: v_dual_mov_b32 v1, v49
	v_mov_b32_e32 v25, v0
	s_mov_b32 s2, exec_lo
	v_cmpx_lt_f32_e32 v37, v38
	s_xor_b32 s2, exec_lo, s2
; %bb.26:
	v_dual_mov_b32 v13, v38 :: v_dual_mov_b32 v14, v37
	v_dual_mov_b32 v15, v39 :: v_dual_mov_b32 v16, v40
	;; [unrolled: 1-line block ×8, first 2 shown]
	v_mov_b32_e32 v26, v0
; %bb.27:
	s_or_b32 exec_lo, exec_lo, s2
	v_dual_mov_b32 v37, v15 :: v_dual_mov_b32 v86, v12
	v_dual_mov_b32 v75, v1 :: v_dual_mov_b32 v146, v12
	;; [unrolled: 1-line block ×36, first 2 shown]
	s_clause 0x8
	scratch_store_b128 off, v[1:4], off
	scratch_store_b128 off, v[5:8], off offset:16
	scratch_store_b128 off, v[9:12], off offset:32
	;; [unrolled: 1-line block ×8, first 2 shown]
	v_dual_mov_b32 v73, v35 :: v_dual_mov_b32 v72, v34
	v_dual_mov_b32 v71, v33 :: v_dual_mov_b32 v70, v32
	;; [unrolled: 1-line block ×30, first 2 shown]
	v_mov_b32_e32 v159, v25
	s_clause 0x2
	scratch_store_b128 off, v[25:28], off offset:144
	scratch_store_b128 off, v[29:32], off offset:160
	;; [unrolled: 1-line block ×3, first 2 shown]
	s_mov_b32 s2, exec_lo
	v_dual_mov_b32 v182, v36 :: v_dual_mov_b32 v181, v35
	v_dual_mov_b32 v180, v34 :: v_dual_mov_b32 v179, v33
	;; [unrolled: 1-line block ×6, first 2 shown]
	v_cmpx_lt_f32_e32 v38, v15
	s_cbranch_execz .LBB231_29
; %bb.28:
	v_dual_mov_b32 v37, v38 :: v_dual_mov_b32 v182, v36
	v_dual_mov_b32 v173, v27 :: v_dual_mov_b32 v172, v26
	;; [unrolled: 1-line block ×14, first 2 shown]
	v_mov_b32_e32 v125, v2
	v_dual_mov_b32 v159, v171 :: v_dual_mov_b32 v162, v174
	v_dual_mov_b32 v161, v173 :: v_dual_mov_b32 v164, v176
	;; [unrolled: 1-line block ×6, first 2 shown]
	v_mov_b32_e32 v162, v28
	s_clause 0x2
	scratch_store_b128 off, v[123:126], off offset:96
	scratch_store_b128 off, v[127:130], off offset:112
	scratch_store_b128 off, v[131:134], off offset:128
	v_dual_mov_b32 v14, v15 :: v_dual_mov_b32 v15, v38
	v_dual_mov_b32 v43, v164 :: v_dual_mov_b32 v44, v165
	v_dual_mov_b32 v38, v159 :: v_dual_mov_b32 v39, v160
	v_dual_mov_b32 v126, v4 :: v_dual_mov_b32 v45, v166
	v_dual_mov_b32 v46, v167 :: v_dual_mov_b32 v47, v168
	v_dual_mov_b32 v48, v169 :: v_dual_mov_b32 v49, v170
	v_dual_mov_b32 v40, v161 :: v_dual_mov_b32 v41, v162
	s_clause 0x2
	scratch_store_b128 off, v[38:41], off offset:144
	scratch_store_b128 off, v[42:45], off offset:160
	;; [unrolled: 1-line block ×3, first 2 shown]
	v_mov_b32_e32 v163, v29
	v_mov_b32_e32 v27, v26
	v_dual_mov_b32 v43, v128 :: v_dual_mov_b32 v44, v129
	v_dual_mov_b32 v47, v132 :: v_dual_mov_b32 v38, v123
	;; [unrolled: 1-line block ×5, first 2 shown]
	v_mov_b32_e32 v41, v126
	v_dual_mov_b32 v147, v159 :: v_dual_mov_b32 v154, v166
	v_mov_b32_e32 v148, v160
	v_mov_b32_e32 v150, v162
	s_clause 0x2
	scratch_store_b128 off, v[38:41], off offset:48
	scratch_store_b128 off, v[42:45], off offset:64
	;; [unrolled: 1-line block ×3, first 2 shown]
	v_dual_mov_b32 v127, v5 :: v_dual_mov_b32 v152, v164
	v_dual_mov_b32 v153, v165 :: v_dual_mov_b32 v152, v30
	;; [unrolled: 1-line block ×7, first 2 shown]
	v_mov_b32_e32 v41, v126
	v_dual_mov_b32 v128, v6 :: v_dual_mov_b32 v99, v147
	v_dual_mov_b32 v105, v153 :: v_dual_mov_b32 v106, v154
	;; [unrolled: 1-line block ×3, first 2 shown]
	v_mov_b32_e32 v105, v31
	v_dual_mov_b32 v103, v151 :: v_dual_mov_b32 v104, v152
	v_dual_mov_b32 v107, v155 :: v_dual_mov_b32 v108, v156
	;; [unrolled: 1-line block ×6, first 2 shown]
	v_mov_b32_e32 v60, v132
	v_dual_mov_b32 v52, v124 :: v_dual_mov_b32 v55, v127
	v_dual_mov_b32 v58, v130 :: v_dual_mov_b32 v61, v133
	v_mov_b32_e32 v57, v7
	v_dual_mov_b32 v53, v125 :: v_dual_mov_b32 v56, v128
	s_clause 0x2
	scratch_store_b128 off, v[38:41], off
	scratch_store_b128 off, v[42:45], off offset:16
	scratch_store_b128 off, v[46:49], off offset:32
	v_dual_mov_b32 v39, v99 :: v_dual_mov_b32 v44, v104
	v_dual_mov_b32 v45, v105 :: v_dual_mov_b32 v50, v110
	;; [unrolled: 1-line block ×6, first 2 shown]
	v_mov_b32_e32 v122, v62
	v_dual_mov_b32 v46, v32 :: v_dual_mov_b32 v111, v51
	v_dual_mov_b32 v121, v61 :: v_dual_mov_b32 v120, v60
	;; [unrolled: 1-line block ×6, first 2 shown]
	v_mov_b32_e32 v118, v8
	v_dual_mov_b32 v98, v50 :: v_dual_mov_b32 v97, v49
	v_dual_mov_b32 v96, v48 :: v_dual_mov_b32 v95, v47
	;; [unrolled: 1-line block ×7, first 2 shown]
	v_mov_b32_e32 v135, v111
	v_dual_mov_b32 v3, v2 :: v_dual_mov_b32 v144, v120
	v_dual_mov_b32 v145, v121 :: v_dual_mov_b32 v142, v118
	v_dual_mov_b32 v143, v119 :: v_dual_mov_b32 v140, v116
	v_dual_mov_b32 v141, v117 :: v_dual_mov_b32 v138, v114
	v_dual_mov_b32 v139, v115 :: v_dual_mov_b32 v136, v112
	v_mov_b32_e32 v137, v113
	v_mov_b32_e32 v143, v9
	v_dual_mov_b32 v63, v87 :: v_dual_mov_b32 v70, v94
	v_mov_b32_e32 v64, v88
	v_mov_b32_e32 v66, v90
	v_dual_mov_b32 v68, v92 :: v_dual_mov_b32 v75, v135
	v_dual_mov_b32 v80, v140 :: v_dual_mov_b32 v65, v89
	;; [unrolled: 1-line block ×13, first 2 shown]
.LBB231_29:
	s_or_b32 exec_lo, exec_lo, s2
	v_mov_b32_e32 v1, v16
	s_mov_b32 s2, exec_lo
	v_cmpx_lt_f32_e32 v37, v16
	s_cbranch_execz .LBB231_31
; %bb.30:
	s_clause 0x2
	scratch_load_b128 v[38:41], off, off offset:96
	scratch_load_b128 v[42:45], off, off offset:112
	;; [unrolled: 1-line block ×3, first 2 shown]
	v_mov_b32_e32 v173, v28
	v_dual_mov_b32 v15, v16 :: v_dual_mov_b32 v16, v37
	v_dual_mov_b32 v1, v37 :: v_dual_mov_b32 v28, v27
	s_waitcnt vmcnt(2)
	v_dual_mov_b32 v124, v39 :: v_dual_mov_b32 v123, v38
	s_waitcnt vmcnt(0)
	v_dual_mov_b32 v134, v49 :: v_dual_mov_b32 v125, v4
	v_dual_mov_b32 v159, v171 :: v_dual_mov_b32 v160, v172
	v_mov_b32_e32 v162, v174
	v_dual_mov_b32 v38, v123 :: v_dual_mov_b32 v39, v124
	v_dual_mov_b32 v161, v173 :: v_dual_mov_b32 v164, v176
	;; [unrolled: 1-line block ×10, first 2 shown]
	v_mov_b32_e32 v126, v41
	s_clause 0x2
	scratch_store_b128 off, v[38:41], off offset:96
	scratch_store_b128 off, v[42:45], off offset:112
	;; [unrolled: 1-line block ×3, first 2 shown]
	v_dual_mov_b32 v43, v164 :: v_dual_mov_b32 v38, v159
	v_dual_mov_b32 v41, v162 :: v_dual_mov_b32 v126, v3
	;; [unrolled: 1-line block ×7, first 2 shown]
	s_clause 0x2
	scratch_store_b128 off, v[38:41], off offset:144
	scratch_store_b128 off, v[42:45], off offset:160
	;; [unrolled: 1-line block ×3, first 2 shown]
	v_dual_mov_b32 v43, v128 :: v_dual_mov_b32 v46, v131
	v_dual_mov_b32 v49, v134 :: v_dual_mov_b32 v38, v123
	;; [unrolled: 1-line block ×5, first 2 shown]
	v_mov_b32_e32 v41, v126
	v_dual_mov_b32 v147, v159 :: v_dual_mov_b32 v152, v164
	v_dual_mov_b32 v148, v160 :: v_dual_mov_b32 v127, v5
	;; [unrolled: 1-line block ×7, first 2 shown]
	s_clause 0x2
	scratch_store_b128 off, v[38:41], off offset:48
	scratch_store_b128 off, v[42:45], off offset:64
	;; [unrolled: 1-line block ×3, first 2 shown]
	v_dual_mov_b32 v38, v123 :: v_dual_mov_b32 v39, v124
	v_dual_mov_b32 v40, v125 :: v_dual_mov_b32 v41, v126
	v_mov_b32_e32 v42, v127
	v_dual_mov_b32 v128, v6 :: v_dual_mov_b32 v99, v147
	v_dual_mov_b32 v106, v154 :: v_dual_mov_b32 v107, v155
	;; [unrolled: 1-line block ×3, first 2 shown]
	v_mov_b32_e32 v52, v124
	v_dual_mov_b32 v100, v148 :: v_dual_mov_b32 v101, v149
	v_dual_mov_b32 v102, v150 :: v_dual_mov_b32 v103, v151
	;; [unrolled: 1-line block ×6, first 2 shown]
	v_mov_b32_e32 v105, v31
	v_dual_mov_b32 v57, v129 :: v_dual_mov_b32 v58, v130
	v_dual_mov_b32 v53, v125 :: v_dual_mov_b32 v54, v126
	;; [unrolled: 1-line block ×3, first 2 shown]
	v_mov_b32_e32 v57, v7
	s_clause 0x2
	scratch_store_b128 off, v[38:41], off
	scratch_store_b128 off, v[42:45], off offset:16
	scratch_store_b128 off, v[46:49], off offset:32
	v_dual_mov_b32 v39, v99 :: v_dual_mov_b32 v42, v102
	v_dual_mov_b32 v47, v107 :: v_dual_mov_b32 v50, v110
	;; [unrolled: 1-line block ×9, first 2 shown]
	v_mov_b32_e32 v46, v32
	v_dual_mov_b32 v118, v58 :: v_dual_mov_b32 v117, v57
	v_dual_mov_b32 v116, v56 :: v_dual_mov_b32 v115, v55
	;; [unrolled: 1-line block ×3, first 2 shown]
	v_mov_b32_e32 v118, v8
	v_dual_mov_b32 v98, v50 :: v_dual_mov_b32 v95, v47
	v_dual_mov_b32 v97, v49 :: v_dual_mov_b32 v90, v42
	;; [unrolled: 1-line block ×9, first 2 shown]
	v_mov_b32_e32 v89, v41
	v_dual_mov_b32 v143, v9 :: v_dual_mov_b32 v142, v118
	v_dual_mov_b32 v141, v117 :: v_dual_mov_b32 v140, v116
	;; [unrolled: 1-line block ×3, first 2 shown]
	v_mov_b32_e32 v137, v113
	v_dual_mov_b32 v63, v87 :: v_dual_mov_b32 v66, v90
	v_dual_mov_b32 v64, v88 :: v_dual_mov_b32 v75, v135
	;; [unrolled: 1-line block ×13, first 2 shown]
	v_mov_b32_e32 v82, v142
	v_dual_mov_b32 v84, v10 :: v_dual_mov_b32 v85, v11
	v_mov_b32_e32 v86, v12
.LBB231_31:
	s_or_b32 exec_lo, exec_lo, s2
	v_mov_b32_e32 v2, v17
	s_mov_b32 s2, exec_lo
	v_cmpx_lt_f32_e32 v1, v17
	s_cbranch_execz .LBB231_33
; %bb.32:
	s_clause 0x2
	scratch_load_b128 v[37:40], off, off offset:96
	scratch_load_b128 v[41:44], off, off offset:112
	;; [unrolled: 1-line block ×3, first 2 shown]
	v_mov_b32_e32 v174, v29
	v_dual_mov_b32 v2, v1 :: v_dual_mov_b32 v29, v28
	v_mov_b32_e32 v16, v17
	s_waitcnt vmcnt(0)
	v_dual_mov_b32 v74, v48 :: v_dual_mov_b32 v71, v45
	v_dual_mov_b32 v68, v42 :: v_dual_mov_b32 v65, v39
	;; [unrolled: 1-line block ×18, first 2 shown]
	v_mov_b32_e32 v125, v65
	v_mov_b32_e32 v127, v4
	v_dual_mov_b32 v147, v159 :: v_dual_mov_b32 v148, v160
	v_dual_mov_b32 v153, v165 :: v_dual_mov_b32 v156, v168
	v_dual_mov_b32 v155, v167 :: v_dual_mov_b32 v158, v170
	v_mov_b32_e32 v157, v169
	v_dual_mov_b32 v151, v163 :: v_dual_mov_b32 v154, v166
	v_dual_mov_b32 v149, v161 :: v_dual_mov_b32 v152, v164
	;; [unrolled: 1-line block ×4, first 2 shown]
	v_mov_b32_e32 v38, v124
	v_dual_mov_b32 v152, v30 :: v_dual_mov_b32 v45, v131
	v_dual_mov_b32 v46, v132 :: v_dual_mov_b32 v47, v133
	;; [unrolled: 1-line block ×13, first 2 shown]
	s_clause 0x2
	scratch_store_b128 off, v[37:40], off
	scratch_store_b128 off, v[41:44], off offset:16
	scratch_store_b128 off, v[45:48], off offset:32
	v_dual_mov_b32 v57, v129 :: v_dual_mov_b32 v60, v132
	v_dual_mov_b32 v55, v127 :: v_dual_mov_b32 v58, v130
	v_mov_b32_e32 v61, v133
	v_mov_b32_e32 v57, v7
	v_dual_mov_b32 v39, v99 :: v_dual_mov_b32 v44, v104
	v_dual_mov_b32 v17, v1 :: v_dual_mov_b32 v52, v124
	;; [unrolled: 1-line block ×8, first 2 shown]
	v_mov_b32_e32 v122, v62
	v_dual_mov_b32 v46, v32 :: v_dual_mov_b32 v119, v59
	v_dual_mov_b32 v118, v58 :: v_dual_mov_b32 v111, v51
	v_dual_mov_b32 v118, v8 :: v_dual_mov_b32 v121, v61
	v_dual_mov_b32 v120, v60 :: v_dual_mov_b32 v117, v57
	v_dual_mov_b32 v116, v56 :: v_dual_mov_b32 v115, v55
	v_dual_mov_b32 v114, v54 :: v_dual_mov_b32 v113, v53
	v_mov_b32_e32 v112, v52
	v_dual_mov_b32 v98, v50 :: v_dual_mov_b32 v97, v49
	v_dual_mov_b32 v96, v48 :: v_dual_mov_b32 v95, v47
	;; [unrolled: 1-line block ×8, first 2 shown]
	v_mov_b32_e32 v135, v111
	v_dual_mov_b32 v145, v121 :: v_dual_mov_b32 v144, v120
	v_dual_mov_b32 v141, v117 :: v_dual_mov_b32 v140, v116
	v_mov_b32_e32 v143, v9
	v_dual_mov_b32 v139, v115 :: v_dual_mov_b32 v138, v114
	v_dual_mov_b32 v137, v113 :: v_dual_mov_b32 v136, v112
	s_clause 0x5
	scratch_store_b128 off, v[63:66], off offset:48
	scratch_store_b128 off, v[67:70], off offset:64
	;; [unrolled: 1-line block ×6, first 2 shown]
	v_dual_mov_b32 v63, v87 :: v_dual_mov_b32 v68, v92
	v_mov_b32_e32 v64, v88
	v_dual_mov_b32 v66, v90 :: v_dual_mov_b32 v75, v135
	v_dual_mov_b32 v78, v138 :: v_dual_mov_b32 v67, v91
	;; [unrolled: 1-line block ×14, first 2 shown]
.LBB231_33:
	s_or_b32 exec_lo, exec_lo, s2
	v_mov_b32_e32 v1, v18
	s_mov_b32 s2, exec_lo
	v_cmpx_lt_f32_e32 v2, v18
	s_cbranch_execz .LBB231_35
; %bb.34:
	s_clause 0x2
	scratch_load_b128 v[37:40], off, off offset:144
	scratch_load_b128 v[41:44], off, off offset:160
	;; [unrolled: 1-line block ×3, first 2 shown]
	s_waitcnt vmcnt(0)
	v_dual_mov_b32 v17, v18 :: v_dual_mov_b32 v170, v48
	v_dual_mov_b32 v169, v47 :: v_dual_mov_b32 v162, v40
	;; [unrolled: 1-line block ×6, first 2 shown]
	s_clause 0x2
	scratch_load_b128 v[37:40], off, off offset:48
	scratch_load_b128 v[41:44], off, off offset:64
	;; [unrolled: 1-line block ×3, first 2 shown]
	v_dual_mov_b32 v163, v30 :: v_dual_mov_b32 v30, v29
	s_waitcnt vmcnt(0)
	v_mov_b32_e32 v74, v48
	v_dual_mov_b32 v66, v40 :: v_dual_mov_b32 v63, v37
	v_dual_mov_b32 v73, v47 :: v_dual_mov_b32 v64, v38
	;; [unrolled: 1-line block ×5, first 2 shown]
	v_mov_b32_e32 v69, v43
	v_dual_mov_b32 v67, v6 :: v_dual_mov_b32 v148, v160
	v_dual_mov_b32 v134, v74 :: v_dual_mov_b32 v133, v73
	;; [unrolled: 1-line block ×12, first 2 shown]
	v_mov_b32_e32 v128, v5
	v_dual_mov_b32 v152, v29 :: v_dual_mov_b32 v51, v123
	v_dual_mov_b32 v99, v147 :: v_dual_mov_b32 v108, v156
	;; [unrolled: 1-line block ×13, first 2 shown]
	v_mov_b32_e32 v57, v7
	v_dual_mov_b32 v39, v99 :: v_dual_mov_b32 v40, v100
	v_dual_mov_b32 v49, v109 :: v_dual_mov_b32 v50, v110
	s_delay_alu instid0(VALU_DEP_4)
	v_dual_mov_b32 v122, v62 :: v_dual_mov_b32 v121, v61
	v_dual_mov_b32 v43, v103 :: v_dual_mov_b32 v44, v104
	;; [unrolled: 1-line block ×10, first 2 shown]
	v_mov_b32_e32 v46, v32
	v_mov_b32_e32 v118, v8
	v_dual_mov_b32 v98, v50 :: v_dual_mov_b32 v93, v45
	v_dual_mov_b32 v97, v49 :: v_dual_mov_b32 v146, v122
	;; [unrolled: 1-line block ×13, first 2 shown]
	v_mov_b32_e32 v137, v113
	s_clause 0x2
	scratch_store_b128 off, v[63:66], off
	scratch_store_b128 off, v[67:70], off offset:16
	scratch_store_b128 off, v[71:74], off offset:32
	v_dual_mov_b32 v63, v87 :: v_dual_mov_b32 v66, v90
	v_dual_mov_b32 v75, v135 :: v_dual_mov_b32 v78, v138
	;; [unrolled: 1-line block ×15, first 2 shown]
	v_mov_b32_e32 v86, v12
	v_mov_b32_e32 v6, v5
.LBB231_35:
	s_or_b32 exec_lo, exec_lo, s2
	v_mov_b32_e32 v2, v19
	s_mov_b32 s2, exec_lo
	v_cmpx_lt_f32_e32 v1, v19
	s_cbranch_execz .LBB231_37
; %bb.36:
	s_clause 0x2
	scratch_load_b128 v[37:40], off, off
	scratch_load_b128 v[41:44], off, off offset:16
	scratch_load_b128 v[45:48], off, off offset:32
	v_mov_b32_e32 v164, v31
	v_dual_mov_b32 v2, v1 :: v_dual_mov_b32 v31, v30
	v_mov_b32_e32 v18, v19
	s_waitcnt vmcnt(0)
	v_dual_mov_b32 v134, v48 :: v_dual_mov_b32 v133, v47
	v_dual_mov_b32 v130, v44 :: v_dual_mov_b32 v127, v41
	;; [unrolled: 1-line block ×17, first 2 shown]
	v_mov_b32_e32 v61, v133
	v_mov_b32_e32 v57, v6
	;; [unrolled: 1-line block ×3, first 2 shown]
	v_dual_mov_b32 v62, v134 :: v_dual_mov_b32 v39, v99
	v_dual_mov_b32 v147, v159 :: v_dual_mov_b32 v148, v160
	s_delay_alu instid0(VALU_DEP_2)
	v_dual_mov_b32 v149, v161 :: v_dual_mov_b32 v122, v62
	v_dual_mov_b32 v120, v60 :: v_dual_mov_b32 v49, v109
	v_mov_b32_e32 v50, v110
	v_dual_mov_b32 v40, v100 :: v_dual_mov_b32 v119, v59
	v_dual_mov_b32 v118, v58 :: v_dual_mov_b32 v115, v55
	;; [unrolled: 1-line block ×6, first 2 shown]
	v_mov_b32_e32 v121, v61
	v_dual_mov_b32 v117, v57 :: v_dual_mov_b32 v116, v56
	v_dual_mov_b32 v113, v53 :: v_dual_mov_b32 v112, v52
	;; [unrolled: 1-line block ×3, first 2 shown]
	v_mov_b32_e32 v46, v32
	v_mov_b32_e32 v118, v8
	v_dual_mov_b32 v98, v50 :: v_dual_mov_b32 v95, v47
	v_dual_mov_b32 v97, v49 :: v_dual_mov_b32 v146, v122
	;; [unrolled: 1-line block ×4, first 2 shown]
	v_mov_b32_e32 v87, v39
	v_dual_mov_b32 v143, v9 :: v_dual_mov_b32 v96, v48
	v_dual_mov_b32 v93, v45 :: v_dual_mov_b32 v88, v40
	;; [unrolled: 1-line block ×8, first 2 shown]
	v_mov_b32_e32 v137, v113
	v_dual_mov_b32 v75, v135 :: v_dual_mov_b32 v78, v138
	v_dual_mov_b32 v63, v87 :: v_dual_mov_b32 v66, v90
	;; [unrolled: 1-line block ×14, first 2 shown]
	v_mov_b32_e32 v74, v36
	v_dual_mov_b32 v84, v10 :: v_dual_mov_b32 v85, v11
	v_dual_mov_b32 v150, v162 :: v_dual_mov_b32 v151, v163
	;; [unrolled: 1-line block ×5, first 2 shown]
	v_mov_b32_e32 v158, v170
	v_mov_b32_e32 v7, v6
.LBB231_37:
	s_or_b32 exec_lo, exec_lo, s2
	v_mov_b32_e32 v1, v20
	s_mov_b32 s2, exec_lo
	v_cmpx_lt_f32_e32 v2, v20
	s_cbranch_execz .LBB231_39
; %bb.38:
	v_mov_b32_e32 v129, v8
	v_mov_b32_e32 v153, v32
	v_dual_mov_b32 v111, v123 :: v_dual_mov_b32 v114, v126
	v_dual_mov_b32 v39, v147 :: v_dual_mov_b32 v40, v148
	;; [unrolled: 1-line block ×10, first 2 shown]
	v_mov_b32_e32 v120, v132
	v_dual_mov_b32 v116, v128 :: v_dual_mov_b32 v121, v133
	v_mov_b32_e32 v46, v31
	v_dual_mov_b32 v119, v131 :: v_dual_mov_b32 v98, v50
	v_dual_mov_b32 v118, v7 :: v_dual_mov_b32 v97, v49
	;; [unrolled: 1-line block ×13, first 2 shown]
	v_mov_b32_e32 v95, v33
	v_dual_mov_b32 v19, v20 :: v_dual_mov_b32 v20, v2
	v_mov_b32_e32 v143, v9
	v_dual_mov_b32 v63, v87 :: v_dual_mov_b32 v68, v92
	v_dual_mov_b32 v64, v88 :: v_dual_mov_b32 v75, v135
	;; [unrolled: 1-line block ×11, first 2 shown]
	v_mov_b32_e32 v70, v94
	v_dual_mov_b32 v66, v90 :: v_dual_mov_b32 v71, v95
	v_dual_mov_b32 v76, v136 :: v_dual_mov_b32 v77, v137
	;; [unrolled: 1-line block ×15, first 2 shown]
	v_mov_b32_e32 v110, v158
	v_dual_mov_b32 v1, v2 :: v_dual_mov_b32 v8, v7
	v_mov_b32_e32 v32, v31
.LBB231_39:
	s_or_b32 exec_lo, exec_lo, s2
	v_mov_b32_e32 v2, v21
	s_mov_b32 s2, exec_lo
	v_cmpx_lt_f32_e32 v1, v21
	s_cbranch_execz .LBB231_41
; %bb.40:
	v_mov_b32_e32 v58, v9
	v_mov_b32_e32 v106, v33
	v_dual_mov_b32 v146, v62 :: v_dual_mov_b32 v143, v59
	v_mov_b32_e32 v87, v99
	s_delay_alu instid0(VALU_DEP_3)
	v_dual_mov_b32 v141, v57 :: v_dual_mov_b32 v94, v106
	v_dual_mov_b32 v95, v107 :: v_dual_mov_b32 v140, v56
	;; [unrolled: 1-line block ×6, first 2 shown]
	v_mov_b32_e32 v95, v32
	v_dual_mov_b32 v143, v8 :: v_dual_mov_b32 v20, v21
	v_dual_mov_b32 v88, v100 :: v_dual_mov_b32 v89, v101
	;; [unrolled: 1-line block ×7, first 2 shown]
	s_delay_alu instid0(VALU_DEP_2)
	v_dual_mov_b32 v75, v135 :: v_dual_mov_b32 v76, v136
	v_dual_mov_b32 v122, v62 :: v_dual_mov_b32 v117, v57
	;; [unrolled: 1-line block ×25, first 2 shown]
	v_mov_b32_e32 v48, v108
	v_dual_mov_b32 v50, v110 :: v_dual_mov_b32 v9, v8
	v_dual_mov_b32 v2, v1 :: v_dual_mov_b32 v33, v32
.LBB231_41:
	s_or_b32 exec_lo, exec_lo, s2
	v_mov_b32_e32 v3, v22
	s_mov_b32 s2, exec_lo
	s_delay_alu instid0(VALU_DEP_2)
	v_cmpx_lt_f32_e32 v2, v22
	s_cbranch_execz .LBB231_43
; %bb.42:
	v_mov_b32_e32 v47, v34
	v_mov_b32_e32 v74, v50
	v_dual_mov_b32 v21, v22 :: v_dual_mov_b32 v72, v48
	v_dual_mov_b32 v72, v33 :: v_dual_mov_b32 v119, v10
	;; [unrolled: 1-line block ×3, first 2 shown]
	v_mov_b32_e32 v78, v114
	v_dual_mov_b32 v22, v2 :: v_dual_mov_b32 v73, v49
	v_dual_mov_b32 v81, v117 :: v_dual_mov_b32 v84, v120
	;; [unrolled: 1-line block ×7, first 2 shown]
	v_mov_b32_e32 v69, v45
	v_dual_mov_b32 v67, v43 :: v_dual_mov_b32 v66, v42
	v_dual_mov_b32 v65, v41 :: v_dual_mov_b32 v64, v40
	v_dual_mov_b32 v63, v39 :: v_dual_mov_b32 v74, v36
	v_dual_mov_b32 v73, v35 :: v_dual_mov_b32 v76, v112
	v_dual_mov_b32 v77, v113 :: v_dual_mov_b32 v80, v116
	v_dual_mov_b32 v79, v115 :: v_dual_mov_b32 v82, v118
	v_dual_mov_b32 v84, v9 :: v_dual_mov_b32 v85, v11
	v_dual_mov_b32 v144, v120 :: v_dual_mov_b32 v143, v119
	v_dual_mov_b32 v142, v118 :: v_dual_mov_b32 v141, v117
	v_dual_mov_b32 v140, v116 :: v_dual_mov_b32 v139, v115
	v_dual_mov_b32 v138, v114 :: v_dual_mov_b32 v137, v113
	v_dual_mov_b32 v136, v112 :: v_dual_mov_b32 v135, v111
	v_dual_mov_b32 v96, v48 :: v_dual_mov_b32 v95, v47
	v_dual_mov_b32 v94, v46 :: v_dual_mov_b32 v93, v45
	v_dual_mov_b32 v92, v44 :: v_dual_mov_b32 v91, v43
	v_dual_mov_b32 v90, v42 :: v_dual_mov_b32 v89, v41
	v_dual_mov_b32 v88, v40 :: v_dual_mov_b32 v87, v39
	v_dual_mov_b32 v3, v2 :: v_dual_mov_b32 v10, v9
	v_mov_b32_e32 v34, v33
.LBB231_43:
	s_or_b32 exec_lo, exec_lo, s2
	v_mov_b32_e32 v1, v23
	s_mov_b32 s2, exec_lo
	v_cmpx_lt_f32_e32 v3, v23
	s_cbranch_execz .LBB231_45
; %bb.44:
	v_dual_mov_b32 v144, v11 :: v_dual_mov_b32 v145, v10
	v_dual_mov_b32 v96, v35 :: v_dual_mov_b32 v97, v34
	v_mov_b32_e32 v146, v12
	v_mov_b32_e32 v22, v23
	v_dual_mov_b32 v23, v3 :: v_dual_mov_b32 v98, v36
	v_dual_mov_b32 v75, v135 :: v_dual_mov_b32 v84, v144
	;; [unrolled: 1-line block ×3, first 2 shown]
	v_mov_b32_e32 v79, v139
	v_dual_mov_b32 v77, v137 :: v_dual_mov_b32 v78, v138
	v_dual_mov_b32 v81, v141 :: v_dual_mov_b32 v80, v140
	;; [unrolled: 1-line block ×10, first 2 shown]
.LBB231_45:
	s_or_b32 exec_lo, exec_lo, s2
	s_delay_alu instid0(VALU_DEP_1)
	v_cmp_lt_f32_e32 vcc_lo, v1, v24
	v_mov_b32_e32 v42, v78
	v_cmp_lt_f32_e64 s2, v13, v14
	v_dual_mov_b32 v40, v76 :: v_dual_mov_b32 v41, v77
	v_dual_cndmask_b32 v12, v24, v1 :: v_dual_mov_b32 v43, v79
	v_dual_cndmask_b32 v23, v23, v24 :: v_dual_cndmask_b32 v50, v86, v85
	s_delay_alu instid0(VALU_DEP_2) | instskip(SKIP_2) | instid1(VALU_DEP_3)
	v_dual_mov_b32 v39, v75 :: v_dual_mov_b32 v24, v12
	v_dual_cndmask_b32 v49, v85, v86 :: v_dual_mov_b32 v44, v80
	v_dual_cndmask_b32 v61, v73, v74 :: v_dual_cndmask_b32 v62, v74, v73
	v_dual_mov_b32 v38, v24 :: v_dual_mov_b32 v35, v21
	v_dual_mov_b32 v37, v23 :: v_dual_mov_b32 v36, v22
	v_dual_mov_b32 v33, v19 :: v_dual_mov_b32 v34, v20
	v_dual_mov_b32 v31, v17 :: v_dual_mov_b32 v32, v18
	v_dual_mov_b32 v29, v15 :: v_dual_mov_b32 v30, v16
	v_dual_mov_b32 v27, v13 :: v_dual_mov_b32 v28, v14
	v_dual_mov_b32 v45, v81 :: v_dual_mov_b32 v46, v82
	v_dual_mov_b32 v47, v83 :: v_dual_mov_b32 v48, v84
	v_dual_mov_b32 v51, v63 :: v_dual_mov_b32 v52, v64
	v_dual_mov_b32 v53, v65 :: v_dual_mov_b32 v54, v66
	v_dual_mov_b32 v55, v67 :: v_dual_mov_b32 v56, v68
	v_dual_mov_b32 v57, v69 :: v_dual_mov_b32 v58, v70
	v_dual_mov_b32 v59, v71 :: v_dual_mov_b32 v60, v72
	s_and_saveexec_b32 s3, s2
	s_delay_alu instid0(SALU_CYCLE_1)
	s_xor_b32 s2, exec_lo, s3
	s_cbranch_execz .LBB231_47
; %bb.46:
	v_dual_mov_b32 v1, v14 :: v_dual_mov_b32 v2, v13
	v_dual_mov_b32 v3, v15 :: v_dual_mov_b32 v4, v16
	;; [unrolled: 1-line block ×6, first 2 shown]
	s_delay_alu instid0(VALU_DEP_2) | instskip(NEXT) | instid1(VALU_DEP_2)
	v_dual_mov_b32 v38, v12 :: v_dual_mov_b32 v35, v9
	v_dual_mov_b32 v36, v10 :: v_dual_mov_b32 v37, v11
	;; [unrolled: 1-line block ×16, first 2 shown]
.LBB231_47:
	s_or_b32 exec_lo, exec_lo, s2
	v_dual_mov_b32 v13, v29 :: v_dual_mov_b32 v122, v50
	v_dual_mov_b32 v15, v39 :: v_dual_mov_b32 v16, v40
	;; [unrolled: 1-line block ×30, first 2 shown]
	v_mov_b32_e32 v135, v39
	s_clause 0x2
	scratch_store_b128 off, v[39:42], off offset:48
	scratch_store_b128 off, v[43:46], off offset:64
	;; [unrolled: 1-line block ×3, first 2 shown]
	v_dual_mov_b32 v1, v51 :: v_dual_mov_b32 v4, v54
	v_dual_mov_b32 v11, v61 :: v_dual_mov_b32 v74, v62
	;; [unrolled: 1-line block ×34, first 2 shown]
	v_mov_b32_e32 v159, v51
	s_mov_b32 s2, exec_lo
	v_dual_mov_b32 v73, v61 :: v_dual_mov_b32 v72, v60
	v_mov_b32_e32 v2, v52
	s_clause 0x2
	scratch_store_b128 off, v[51:54], off
	scratch_store_b128 off, v[55:58], off offset:16
	scratch_store_b128 off, v[59:62], off offset:32
	v_dual_mov_b32 v182, v50 :: v_dual_mov_b32 v181, v49
	v_dual_mov_b32 v180, v48 :: v_dual_mov_b32 v179, v47
	;; [unrolled: 1-line block ×6, first 2 shown]
	v_cmpx_lt_f32_e32 v14, v29
	s_cbranch_execz .LBB231_49
; %bb.48:
	v_dual_mov_b32 v170, v62 :: v_dual_mov_b32 v169, v61
	v_dual_mov_b32 v162, v54 :: v_dual_mov_b32 v161, v53
	;; [unrolled: 1-line block ×7, first 2 shown]
	s_clause 0x2
	scratch_store_b128 off, v[159:162], off
	scratch_store_b128 off, v[163:166], off offset:16
	scratch_store_b128 off, v[167:170], off offset:32
	v_dual_mov_b32 v182, v50 :: v_dual_mov_b32 v181, v49
	v_dual_mov_b32 v172, v40 :: v_dual_mov_b32 v171, v39
	;; [unrolled: 1-line block ×8, first 2 shown]
	s_delay_alu instid0(VALU_DEP_3)
	v_dual_mov_b32 v140, v176 :: v_dual_mov_b32 v141, v177
	v_dual_mov_b32 v138, v174 :: v_dual_mov_b32 v139, v175
	;; [unrolled: 1-line block ×3, first 2 shown]
	v_mov_b32_e32 v146, v182
	v_dual_mov_b32 v136, v172 :: v_dual_mov_b32 v137, v173
	v_mov_b32_e32 v138, v42
	v_dual_mov_b32 v142, v178 :: v_dual_mov_b32 v143, v179
	v_mov_b32_e32 v53, v52
	v_mov_b32_e32 v139, v43
	;; [unrolled: 1-line block ×3, first 2 shown]
	v_dual_mov_b32 v147, v159 :: v_dual_mov_b32 v148, v160
	v_mov_b32_e32 v151, v163
	v_dual_mov_b32 v149, v161 :: v_dual_mov_b32 v150, v162
	v_dual_mov_b32 v153, v165 :: v_dual_mov_b32 v152, v164
	;; [unrolled: 1-line block ×16, first 2 shown]
	v_mov_b32_e32 v122, v146
	v_dual_mov_b32 v114, v138 :: v_dual_mov_b32 v117, v141
	v_dual_mov_b32 v116, v140 :: v_dual_mov_b32 v119, v143
	;; [unrolled: 1-line block ×14, first 2 shown]
	v_mov_b32_e32 v82, v118
	v_dual_mov_b32 v76, v112 :: v_dual_mov_b32 v81, v117
	v_dual_mov_b32 v80, v116 :: v_dual_mov_b32 v85, v121
	;; [unrolled: 1-line block ×6, first 2 shown]
	v_mov_b32_e32 v81, v45
	v_dual_mov_b32 v65, v89 :: v_dual_mov_b32 v72, v96
	v_mov_b32_e32 v29, v14
	s_delay_alu instid0(VALU_DEP_3)
	v_dual_mov_b32 v110, v86 :: v_dual_mov_b32 v105, v81
	v_dual_mov_b32 v70, v94 :: v_dual_mov_b32 v73, v97
	;; [unrolled: 1-line block ×11, first 2 shown]
	v_mov_b32_e32 v106, v46
	s_clause 0x2
	scratch_store_b128 off, v[1:4], off offset:48
	scratch_store_b128 off, v[5:8], off offset:64
	scratch_store_b128 off, v[9:12], off offset:80
	v_dual_mov_b32 v100, v76 :: v_dual_mov_b32 v1, v63
	v_dual_mov_b32 v10, v72 :: v_dual_mov_b32 v3, v65
	;; [unrolled: 1-line block ×16, first 2 shown]
	v_mov_b32_e32 v26, v50
.LBB231_49:
	s_or_b32 exec_lo, exec_lo, s2
	v_mov_b32_e32 v14, v30
	s_mov_b32 s2, exec_lo
	v_cmpx_lt_f32_e32 v13, v30
	s_cbranch_execz .LBB231_51
; %bb.50:
	s_clause 0x2
	scratch_load_b128 v[1:4], off, off
	scratch_load_b128 v[5:8], off, off offset:16
	scratch_load_b128 v[9:12], off, off offset:32
	v_mov_b32_e32 v161, v54
	v_dual_mov_b32 v29, v30 :: v_dual_mov_b32 v30, v13
	v_mov_b32_e32 v54, v53
	s_waitcnt vmcnt(0)
	v_dual_mov_b32 v170, v12 :: v_dual_mov_b32 v169, v11
	v_mov_b32_e32 v162, v4
	v_dual_mov_b32 v162, v53 :: v_dual_mov_b32 v173, v42
	v_dual_mov_b32 v160, v2 :: v_dual_mov_b32 v135, v171
	;; [unrolled: 1-line block ×4, first 2 shown]
	v_mov_b32_e32 v165, v7
	s_delay_alu instid0(VALU_DEP_3)
	v_dual_mov_b32 v1, v159 :: v_dual_mov_b32 v2, v160
	v_dual_mov_b32 v136, v172 :: v_dual_mov_b32 v3, v161
	v_mov_b32_e32 v138, v174
	v_dual_mov_b32 v164, v6 :: v_dual_mov_b32 v163, v5
	s_clause 0x2
	scratch_store_b128 off, v[1:4], off
	scratch_store_b128 off, v[5:8], off offset:16
	scratch_store_b128 off, v[9:12], off offset:32
	v_dual_mov_b32 v137, v173 :: v_dual_mov_b32 v140, v176
	v_dual_mov_b32 v138, v41 :: v_dual_mov_b32 v147, v159
	;; [unrolled: 1-line block ×12, first 2 shown]
	v_mov_b32_e32 v139, v43
	v_dual_mov_b32 v123, v147 :: v_dual_mov_b32 v126, v150
	v_dual_mov_b32 v124, v148 :: v_dual_mov_b32 v111, v135
	;; [unrolled: 1-line block ×3, first 2 shown]
	s_delay_alu instid0(VALU_DEP_4)
	v_dual_mov_b32 v128, v152 :: v_dual_mov_b32 v115, v139
	v_dual_mov_b32 v116, v140 :: v_dual_mov_b32 v121, v145
	;; [unrolled: 1-line block ×6, first 2 shown]
	v_mov_b32_e32 v128, v56
	v_dual_mov_b32 v116, v44 :: v_dual_mov_b32 v87, v123
	v_dual_mov_b32 v113, v137 :: v_dual_mov_b32 v114, v138
	;; [unrolled: 1-line block ×17, first 2 shown]
	v_mov_b32_e32 v81, v45
	v_dual_mov_b32 v7, v141 :: v_dual_mov_b32 v8, v142
	v_dual_mov_b32 v9, v143 :: v_dual_mov_b32 v10, v144
	;; [unrolled: 1-line block ×5, first 2 shown]
	v_mov_b32_e32 v64, v88
	v_dual_mov_b32 v110, v86 :: v_dual_mov_b32 v109, v85
	v_dual_mov_b32 v65, v89 :: v_dual_mov_b32 v68, v92
	;; [unrolled: 1-line block ×10, first 2 shown]
	v_mov_b32_e32 v102, v78
	v_dual_mov_b32 v42, v41 :: v_dual_mov_b32 v103, v79
	v_mov_b32_e32 v100, v76
	v_mov_b32_e32 v106, v46
	s_clause 0x2
	scratch_store_b128 off, v[1:4], off offset:48
	scratch_store_b128 off, v[5:8], off offset:64
	scratch_store_b128 off, v[9:12], off offset:80
	v_mov_b32_e32 v1, v63
	v_mov_b32_e32 v5, v67
	v_dual_mov_b32 v3, v65 :: v_dual_mov_b32 v12, v74
	v_dual_mov_b32 v15, v99 :: v_dual_mov_b32 v4, v66
	;; [unrolled: 1-line block ×14, first 2 shown]
	v_mov_b32_e32 v24, v48
	v_mov_b32_e32 v26, v50
.LBB231_51:
	s_or_b32 exec_lo, exec_lo, s2
	v_mov_b32_e32 v13, v31
	s_mov_b32 s2, exec_lo
	v_cmpx_lt_f32_e32 v14, v31
	s_cbranch_execz .LBB231_53
; %bb.52:
	s_clause 0x2
	scratch_load_b128 v[1:4], off, off
	scratch_load_b128 v[5:8], off, off offset:16
	scratch_load_b128 v[9:12], off, off offset:32
	v_dual_mov_b32 v30, v31 :: v_dual_mov_b32 v31, v14
	v_dual_mov_b32 v13, v14 :: v_dual_mov_b32 v162, v55
	v_mov_b32_e32 v55, v54
	s_waitcnt vmcnt(2)
	v_dual_mov_b32 v161, v3 :: v_dual_mov_b32 v160, v2
	s_waitcnt vmcnt(0)
	v_dual_mov_b32 v159, v1 :: v_dual_mov_b32 v170, v12
	v_dual_mov_b32 v169, v11 :: v_dual_mov_b32 v168, v10
	;; [unrolled: 1-line block ×8, first 2 shown]
	s_delay_alu instid0(VALU_DEP_4)
	v_dual_mov_b32 v151, v163 :: v_dual_mov_b32 v156, v168
	v_dual_mov_b32 v157, v169 :: v_dual_mov_b32 v136, v172
	;; [unrolled: 1-line block ×8, first 2 shown]
	v_mov_b32_e32 v145, v181
	v_mov_b32_e32 v139, v42
	;; [unrolled: 1-line block ×3, first 2 shown]
	v_dual_mov_b32 v146, v182 :: v_dual_mov_b32 v123, v147
	v_dual_mov_b32 v111, v135 :: v_dual_mov_b32 v112, v136
	;; [unrolled: 1-line block ×3, first 2 shown]
	s_delay_alu instid0(VALU_DEP_4)
	v_dual_mov_b32 v124, v148 :: v_dual_mov_b32 v127, v151
	v_dual_mov_b32 v128, v152 :: v_dual_mov_b32 v131, v155
	;; [unrolled: 1-line block ×9, first 2 shown]
	v_mov_b32_e32 v120, v144
	v_dual_mov_b32 v116, v44 :: v_dual_mov_b32 v87, v123
	v_mov_b32_e32 v114, v138
	v_dual_mov_b32 v98, v134 :: v_dual_mov_b32 v75, v111
	v_dual_mov_b32 v88, v124 :: v_dual_mov_b32 v89, v125
	;; [unrolled: 1-line block ×3, first 2 shown]
	v_mov_b32_e32 v86, v122
	v_dual_mov_b32 v90, v126 :: v_dual_mov_b32 v91, v127
	v_dual_mov_b32 v92, v128 :: v_dual_mov_b32 v93, v129
	;; [unrolled: 1-line block ×8, first 2 shown]
	v_mov_b32_e32 v79, v115
	v_mov_b32_e32 v81, v45
	v_dual_mov_b32 v63, v87 :: v_dual_mov_b32 v66, v90
	v_dual_mov_b32 v64, v88 :: v_dual_mov_b32 v73, v97
	;; [unrolled: 1-line block ×9, first 2 shown]
	v_mov_b32_e32 v108, v84
	v_dual_mov_b32 v106, v46 :: v_dual_mov_b32 v1, v63
	v_dual_mov_b32 v105, v81 :: v_dual_mov_b32 v104, v80
	;; [unrolled: 1-line block ×19, first 2 shown]
	v_mov_b32_e32 v26, v50
	v_mov_b32_e32 v43, v42
	s_clause 0x2
	scratch_store_b128 off, v[171:174], off offset:48
	scratch_store_b128 off, v[175:178], off offset:64
	scratch_store_b128 off, v[179:182], off offset:80
.LBB231_53:
	s_or_b32 exec_lo, exec_lo, s2
	v_mov_b32_e32 v14, v32
	s_mov_b32 s2, exec_lo
	v_cmpx_lt_f32_e32 v13, v32
	s_cbranch_execz .LBB231_55
; %bb.54:
	s_clause 0x2
	scratch_load_b128 v[1:4], off, off offset:48
	scratch_load_b128 v[5:8], off, off offset:64
	;; [unrolled: 1-line block ×3, first 2 shown]
	v_dual_mov_b32 v163, v56 :: v_dual_mov_b32 v14, v13
	v_dual_mov_b32 v56, v55 :: v_dual_mov_b32 v31, v32
	s_waitcnt vmcnt(2)
	v_dual_mov_b32 v138, v4 :: v_dual_mov_b32 v137, v3
	s_waitcnt vmcnt(0)
	v_dual_mov_b32 v146, v12 :: v_dual_mov_b32 v145, v11
	v_dual_mov_b32 v136, v2 :: v_dual_mov_b32 v135, v1
	;; [unrolled: 1-line block ×17, first 2 shown]
	v_mov_b32_e32 v120, v144
	v_mov_b32_e32 v116, v43
	v_dual_mov_b32 v87, v123 :: v_dual_mov_b32 v88, v124
	v_dual_mov_b32 v89, v125 :: v_dual_mov_b32 v98, v134
	;; [unrolled: 1-line block ×12, first 2 shown]
	v_mov_b32_e32 v79, v115
	v_mov_b32_e32 v81, v45
	v_dual_mov_b32 v63, v87 :: v_dual_mov_b32 v66, v90
	v_dual_mov_b32 v64, v88 :: v_dual_mov_b32 v73, v97
	;; [unrolled: 1-line block ×8, first 2 shown]
	v_mov_b32_e32 v70, v58
	v_dual_mov_b32 v106, v46 :: v_dual_mov_b32 v65, v89
	v_dual_mov_b32 v68, v92 :: v_dual_mov_b32 v105, v81
	;; [unrolled: 1-line block ×4, first 2 shown]
	v_mov_b32_e32 v100, v76
	v_dual_mov_b32 v32, v13 :: v_dual_mov_b32 v1, v63
	v_dual_mov_b32 v12, v74 :: v_dual_mov_b32 v15, v99
	v_mov_b32_e32 v26, v110
	v_dual_mov_b32 v8, v70 :: v_dual_mov_b32 v9, v71
	v_dual_mov_b32 v10, v72 :: v_dual_mov_b32 v11, v73
	;; [unrolled: 1-line block ×20, first 2 shown]
	v_mov_b32_e32 v44, v43
.LBB231_55:
	s_or_b32 exec_lo, exec_lo, s2
	v_mov_b32_e32 v13, v33
	s_mov_b32 s2, exec_lo
	v_cmpx_lt_f32_e32 v14, v33
	s_cbranch_execz .LBB231_57
; %bb.56:
	v_mov_b32_e32 v140, v45
	v_dual_mov_b32 v152, v57 :: v_dual_mov_b32 v75, v135
	v_dual_mov_b32 v87, v147 :: v_dual_mov_b32 v90, v150
	;; [unrolled: 1-line block ×3, first 2 shown]
	s_delay_alu instid0(VALU_DEP_3)
	v_dual_mov_b32 v92, v152 :: v_dual_mov_b32 v93, v153
	v_dual_mov_b32 v76, v136 :: v_dual_mov_b32 v79, v139
	;; [unrolled: 1-line block ×6, first 2 shown]
	v_mov_b32_e32 v93, v56
	v_dual_mov_b32 v84, v144 :: v_dual_mov_b32 v63, v87
	v_dual_mov_b32 v78, v138 :: v_dual_mov_b32 v81, v141
	v_dual_mov_b32 v82, v142 :: v_dual_mov_b32 v85, v145
	v_dual_mov_b32 v80, v140 :: v_dual_mov_b32 v83, v143
	v_dual_mov_b32 v81, v44 :: v_dual_mov_b32 v66, v90
	s_delay_alu instid0(VALU_DEP_3) | instskip(SKIP_1) | instid1(VALU_DEP_4)
	v_dual_mov_b32 v110, v86 :: v_dual_mov_b32 v109, v85
	v_dual_mov_b32 v100, v76 :: v_dual_mov_b32 v99, v75
	;; [unrolled: 1-line block ×11, first 2 shown]
	v_mov_b32_e32 v106, v46
	v_dual_mov_b32 v70, v58 :: v_dual_mov_b32 v15, v99
	v_dual_mov_b32 v1, v63 :: v_dual_mov_b32 v24, v108
	;; [unrolled: 1-line block ×3, first 2 shown]
	s_delay_alu instid0(VALU_DEP_3)
	v_dual_mov_b32 v8, v70 :: v_dual_mov_b32 v9, v71
	v_dual_mov_b32 v10, v72 :: v_dual_mov_b32 v11, v73
	v_dual_mov_b32 v12, v74 :: v_dual_mov_b32 v17, v101
	v_dual_mov_b32 v20, v104 :: v_dual_mov_b32 v23, v107
	v_dual_mov_b32 v22, v106 :: v_dual_mov_b32 v25, v109
	v_dual_mov_b32 v26, v110 :: v_dual_mov_b32 v11, v61
	v_dual_mov_b32 v120, v144 :: v_dual_mov_b32 v123, v147
	v_dual_mov_b32 v32, v33 :: v_dual_mov_b32 v33, v14
	v_dual_mov_b32 v2, v64 :: v_dual_mov_b32 v3, v65
	v_dual_mov_b32 v4, v66 :: v_dual_mov_b32 v5, v67
	v_dual_mov_b32 v6, v68 :: v_dual_mov_b32 v7, v69
	v_dual_mov_b32 v16, v100 :: v_dual_mov_b32 v19, v103
	v_dual_mov_b32 v18, v102 :: v_dual_mov_b32 v21, v105
	v_dual_mov_b32 v9, v59 :: v_dual_mov_b32 v10, v60
	v_dual_mov_b32 v23, v47 :: v_dual_mov_b32 v12, v62
	v_dual_mov_b32 v25, v49 :: v_dual_mov_b32 v26, v50
	v_dual_mov_b32 v113, v137 :: v_dual_mov_b32 v112, v136
	v_dual_mov_b32 v115, v139 :: v_dual_mov_b32 v114, v138
	v_dual_mov_b32 v117, v141 :: v_dual_mov_b32 v116, v140
	v_dual_mov_b32 v119, v143 :: v_dual_mov_b32 v118, v142
	v_dual_mov_b32 v121, v145 :: v_dual_mov_b32 v122, v146
	v_dual_mov_b32 v125, v149 :: v_dual_mov_b32 v124, v148
	v_dual_mov_b32 v127, v151 :: v_dual_mov_b32 v126, v150
	v_dual_mov_b32 v129, v153 :: v_dual_mov_b32 v128, v152
	v_dual_mov_b32 v131, v155 :: v_dual_mov_b32 v130, v154
	v_dual_mov_b32 v133, v157 :: v_dual_mov_b32 v132, v156
	v_mov_b32_e32 v13, v14
	v_dual_mov_b32 v134, v158 :: v_dual_mov_b32 v45, v44
	v_mov_b32_e32 v57, v56
.LBB231_57:
	s_or_b32 exec_lo, exec_lo, s2
	v_mov_b32_e32 v14, v34
	s_mov_b32 s2, exec_lo
	v_cmpx_lt_f32_e32 v13, v34
	s_cbranch_execz .LBB231_59
; %bb.58:
	v_mov_b32_e32 v129, v58
	v_dual_mov_b32 v63, v123 :: v_dual_mov_b32 v70, v130
	v_dual_mov_b32 v70, v57 :: v_dual_mov_b32 v71, v131
	;; [unrolled: 1-line block ×22, first 2 shown]
	v_mov_b32_e32 v34, v13
	v_dual_mov_b32 v3, v65 :: v_dual_mov_b32 v4, v66
	v_dual_mov_b32 v5, v67 :: v_dual_mov_b32 v6, v68
	v_dual_mov_b32 v7, v69 :: v_dual_mov_b32 v8, v70
	v_dual_mov_b32 v9, v59 :: v_dual_mov_b32 v10, v60
	v_dual_mov_b32 v11, v61 :: v_dual_mov_b32 v12, v62
	v_dual_mov_b32 v17, v101 :: v_dual_mov_b32 v18, v102
	v_dual_mov_b32 v19, v103 :: v_dual_mov_b32 v20, v104
	v_dual_mov_b32 v21, v105 :: v_dual_mov_b32 v22, v106
	v_dual_mov_b32 v23, v47 :: v_dual_mov_b32 v24, v48
	v_dual_mov_b32 v25, v49 :: v_dual_mov_b32 v26, v50
	v_dual_mov_b32 v77, v113 :: v_dual_mov_b32 v78, v114
	v_dual_mov_b32 v79, v115 :: v_dual_mov_b32 v80, v116
	v_dual_mov_b32 v81, v117 :: v_dual_mov_b32 v82, v118
	v_dual_mov_b32 v83, v119 :: v_dual_mov_b32 v84, v120
	v_dual_mov_b32 v85, v121 :: v_dual_mov_b32 v86, v122
	v_dual_mov_b32 v89, v125 :: v_dual_mov_b32 v90, v126
	v_dual_mov_b32 v91, v127 :: v_dual_mov_b32 v92, v128
	v_dual_mov_b32 v93, v129 :: v_dual_mov_b32 v94, v130
	v_dual_mov_b32 v95, v131 :: v_dual_mov_b32 v96, v132
	v_dual_mov_b32 v97, v133 :: v_dual_mov_b32 v98, v134
	v_mov_b32_e32 v14, v13
	v_mov_b32_e32 v46, v45
	;; [unrolled: 1-line block ×3, first 2 shown]
.LBB231_59:
	s_or_b32 exec_lo, exec_lo, s2
	v_mov_b32_e32 v13, v35
	s_mov_b32 s2, exec_lo
	v_cmpx_lt_f32_e32 v14, v35
	s_cbranch_execz .LBB231_61
; %bb.60:
	v_mov_b32_e32 v94, v59
	v_dual_mov_b32 v34, v35 :: v_dual_mov_b32 v35, v14
	v_mov_b32_e32 v82, v47
	v_dual_mov_b32 v1, v87 :: v_dual_mov_b32 v2, v88
	v_dual_mov_b32 v10, v96 :: v_dual_mov_b32 v7, v93
	;; [unrolled: 1-line block ×13, first 2 shown]
	v_mov_b32_e32 v5, v91
	v_mov_b32_e32 v9, v58
	v_dual_mov_b32 v12, v62 :: v_dual_mov_b32 v17, v77
	v_dual_mov_b32 v16, v76 :: v_dual_mov_b32 v19, v79
	;; [unrolled: 1-line block ×14, first 2 shown]
	v_mov_b32_e32 v47, v46
	v_mov_b32_e32 v59, v58
	;; [unrolled: 1-line block ×3, first 2 shown]
.LBB231_61:
	s_or_b32 exec_lo, exec_lo, s2
	v_mov_b32_e32 v39, v36
	s_mov_b32 s2, exec_lo
	v_cmpx_lt_f32_e32 v13, v36
	s_cbranch_execz .LBB231_63
; %bb.62:
	v_dual_mov_b32 v71, v60 :: v_dual_mov_b32 v72, v59
	v_dual_mov_b32 v73, v61 :: v_dual_mov_b32 v108, v47
	v_dual_mov_b32 v107, v48 :: v_dual_mov_b32 v110, v50
	v_dual_mov_b32 v109, v49 :: v_dual_mov_b32 v74, v62
	v_dual_mov_b32 v15, v99 :: v_dual_mov_b32 v16, v100
	v_dual_mov_b32 v1, v63 :: v_dual_mov_b32 v2, v64
	v_dual_mov_b32 v35, v36 :: v_dual_mov_b32 v36, v13
	v_dual_mov_b32 v17, v101 :: v_dual_mov_b32 v18, v102
	v_dual_mov_b32 v19, v103 :: v_dual_mov_b32 v20, v104
	v_dual_mov_b32 v21, v105 :: v_dual_mov_b32 v22, v106
	v_dual_mov_b32 v23, v107 :: v_dual_mov_b32 v24, v108
	v_dual_mov_b32 v25, v109 :: v_dual_mov_b32 v26, v110
	v_dual_mov_b32 v3, v65 :: v_dual_mov_b32 v4, v66
	v_dual_mov_b32 v5, v67 :: v_dual_mov_b32 v6, v68
	v_dual_mov_b32 v7, v69 :: v_dual_mov_b32 v8, v70
	v_dual_mov_b32 v9, v71 :: v_dual_mov_b32 v10, v72
	v_dual_mov_b32 v11, v73 :: v_dual_mov_b32 v12, v74
	v_mov_b32_e32 v39, v13
.LBB231_63:
	s_or_b32 exec_lo, exec_lo, s2
	s_delay_alu instid0(VALU_DEP_1)
	v_cmp_lt_f32_e32 vcc_lo, v39, v37
	v_dual_mov_b32 v40, v28 :: v_dual_mov_b32 v43, v31
	v_dual_mov_b32 v42, v30 :: v_dual_mov_b32 v45, v33
	v_dual_cndmask_b32 v13, v25, v24 :: v_dual_cndmask_b32 v24, v24, v25
	v_dual_cndmask_b32 v14, v11, v10 :: v_dual_cndmask_b32 v49, v37, v39
	v_dual_cndmask_b32 v10, v10, v11 :: v_dual_mov_b32 v39, v27
	v_dual_cndmask_b32 v48, v36, v37 :: v_dual_mov_b32 v41, v29
	v_dual_mov_b32 v44, v32 :: v_dual_mov_b32 v47, v35
	v_mov_b32_e32 v46, v34
	v_mov_b32_e32 v50, v38
	s_mov_b32 s2, exec_lo
	v_cmpx_lt_f32_e32 v27, v28
	s_cbranch_execz .LBB231_65
; %bb.64:
	v_dual_mov_b32 v28, v40 :: v_dual_mov_b32 v29, v39
	v_dual_mov_b32 v38, v49 :: v_dual_mov_b32 v39, v50
	;; [unrolled: 1-line block ×7, first 2 shown]
	v_mov_b32_e32 v11, v15
	v_swap_b32 v15, v16
	s_delay_alu instid0(VALU_DEP_4)
	v_mov_b32_e32 v48, v37
	v_swap_b32 v1, v2
	v_dual_mov_b32 v49, v38 :: v_dual_mov_b32 v46, v35
	v_dual_mov_b32 v47, v36 :: v_dual_mov_b32 v44, v33
	;; [unrolled: 1-line block ×4, first 2 shown]
	v_mov_b32_e32 v41, v30
	v_dual_mov_b32 v39, v28 :: v_dual_mov_b32 v28, v27
.LBB231_65:
	s_or_b32 exec_lo, exec_lo, s2
	v_mov_b32_e32 v11, v14
	v_dual_mov_b32 v25, v13 :: v_dual_mov_b32 v62, v12
	v_dual_mov_b32 v74, v26 :: v_dual_mov_b32 v63, v15
	v_mov_b32_e32 v86, v26
	v_dual_mov_b32 v72, v24 :: v_dual_mov_b32 v75, v15
	v_dual_mov_b32 v110, v26 :: v_dual_mov_b32 v53, v3
	;; [unrolled: 1-line block ×61, first 2 shown]
	v_mov_b32_e32 v149, v3
	v_mov_b32_e32 v147, v1
	;; [unrolled: 1-line block ×3, first 2 shown]
	s_mov_b32 s2, exec_lo
	v_dual_mov_b32 v85, v25 :: v_dual_mov_b32 v84, v24
	v_dual_mov_b32 v83, v23 :: v_dual_mov_b32 v82, v22
	s_clause 0x2
	scratch_store_b128 off, v[1:4], off
	scratch_store_b128 off, v[5:8], off offset:16
	scratch_store_b128 off, v[9:12], off offset:32
	v_cmpx_lt_f32_e32 v28, v41
	s_cbranch_execz .LBB231_67
; %bb.66:
	v_dual_mov_b32 v158, v12 :: v_dual_mov_b32 v157, v11
	v_dual_mov_b32 v150, v4 :: v_dual_mov_b32 v149, v3
	;; [unrolled: 1-line block ×7, first 2 shown]
	s_clause 0x2
	scratch_store_b128 off, v[147:150], off
	scratch_store_b128 off, v[151:154], off offset:16
	scratch_store_b128 off, v[155:158], off offset:32
	v_dual_mov_b32 v182, v26 :: v_dual_mov_b32 v181, v25
	v_dual_mov_b32 v172, v16 :: v_dual_mov_b32 v171, v15
	;; [unrolled: 1-line block ×8, first 2 shown]
	s_delay_alu instid0(VALU_DEP_4) | instskip(SKIP_1) | instid1(VALU_DEP_4)
	v_dual_mov_b32 v160, v172 :: v_dual_mov_b32 v161, v173
	v_dual_mov_b32 v162, v174 :: v_dual_mov_b32 v163, v175
	;; [unrolled: 1-line block ×4, first 2 shown]
	v_mov_b32_e32 v170, v182
	v_dual_mov_b32 v166, v178 :: v_dual_mov_b32 v167, v179
	v_mov_b32_e32 v162, v18
	v_dual_mov_b32 v40, v41 :: v_dual_mov_b32 v41, v28
	v_mov_b32_e32 v3, v2
	v_mov_b32_e32 v17, v16
	;; [unrolled: 1-line block ×3, first 2 shown]
	v_dual_mov_b32 v137, v149 :: v_dual_mov_b32 v144, v156
	v_dual_mov_b32 v123, v159 :: v_dual_mov_b32 v136, v148
	;; [unrolled: 1-line block ×12, first 2 shown]
	v_mov_b32_e32 v133, v169
	v_dual_mov_b32 v111, v135 :: v_dual_mov_b32 v112, v136
	v_dual_mov_b32 v99, v123 :: v_dual_mov_b32 v100, v124
	;; [unrolled: 1-line block ×12, first 2 shown]
	v_mov_b32_e32 v104, v20
	v_dual_mov_b32 v116, v6 :: v_dual_mov_b32 v75, v99
	v_mov_b32_e32 v87, v111
	v_dual_mov_b32 v93, v117 :: v_dual_mov_b32 v78, v102
	s_delay_alu instid0(VALU_DEP_3)
	v_dual_mov_b32 v81, v105 :: v_dual_mov_b32 v92, v116
	v_dual_mov_b32 v90, v114 :: v_dual_mov_b32 v91, v115
	;; [unrolled: 1-line block ×11, first 2 shown]
	v_mov_b32_e32 v51, v87
	v_dual_mov_b32 v63, v75 :: v_dual_mov_b32 v66, v78
	v_dual_mov_b32 v55, v91 :: v_dual_mov_b32 v58, v94
	v_dual_mov_b32 v57, v93 :: v_dual_mov_b32 v60, v96
	v_dual_mov_b32 v59, v95 :: v_dual_mov_b32 v62, v98
	v_dual_mov_b32 v61, v97 :: v_dual_mov_b32 v64, v76
	v_dual_mov_b32 v67, v79 :: v_dual_mov_b32 v70, v82
	v_dual_mov_b32 v69, v81 :: v_dual_mov_b32 v72, v84
	v_dual_mov_b32 v71, v83 :: v_dual_mov_b32 v74, v86
	v_dual_mov_b32 v73, v85 :: v_dual_mov_b32 v58, v8
	v_dual_mov_b32 v11, v28 :: v_dual_mov_b32 v54, v90
	v_dual_mov_b32 v52, v88 :: v_dual_mov_b32 v53, v89
	v_dual_mov_b32 v56, v92 :: v_dual_mov_b32 v65, v77
	v_dual_mov_b32 v68, v80 :: v_dual_mov_b32 v59, v9
	v_mov_b32_e32 v60, v10
	v_dual_mov_b32 v61, v14 :: v_dual_mov_b32 v62, v12
	v_dual_mov_b32 v70, v22 :: v_dual_mov_b32 v71, v23
	;; [unrolled: 1-line block ×3, first 2 shown]
	v_mov_b32_e32 v74, v26
.LBB231_67:
	s_or_b32 exec_lo, exec_lo, s2
	v_mov_b32_e32 v1, v42
	v_cmp_lt_f32_e32 vcc_lo, v11, v42
	s_mov_b32 s2, exec_lo
	s_clause 0x2
	scratch_load_b128 v[27:30], off, off
	scratch_load_b128 v[31:34], off, off offset:16
	scratch_load_b128 v[35:38], off, off offset:32
	s_and_b32 s3, s2, vcc_lo
	s_delay_alu instid0(SALU_CYCLE_1)
	s_mov_b32 exec_lo, s3
	s_cbranch_execz .LBB231_69
; %bb.68:
	v_mov_b32_e32 v173, v18
	s_waitcnt vmcnt(2)
	v_mov_b32_e32 v29, v4
	v_dual_mov_b32 v159, v171 :: v_dual_mov_b32 v162, v174
	s_waitcnt vmcnt(0)
	v_dual_mov_b32 v158, v38 :: v_dual_mov_b32 v157, v37
	v_dual_mov_b32 v156, v36 :: v_dual_mov_b32 v147, v27
	;; [unrolled: 1-line block ×6, first 2 shown]
	v_mov_b32_e32 v168, v180
	v_dual_mov_b32 v164, v176 :: v_dual_mov_b32 v165, v177
	v_dual_mov_b32 v170, v182 :: v_dual_mov_b32 v155, v35
	;; [unrolled: 1-line block ×4, first 2 shown]
	v_mov_b32_e32 v162, v17
	v_dual_mov_b32 v169, v181 :: v_dual_mov_b32 v150, v3
	v_dual_mov_b32 v123, v159 :: v_dual_mov_b32 v124, v160
	v_dual_mov_b32 v135, v147 :: v_dual_mov_b32 v136, v148
	s_delay_alu instid0(VALU_DEP_3)
	v_dual_mov_b32 v137, v149 :: v_dual_mov_b32 v138, v150
	v_dual_mov_b32 v139, v151 :: v_dual_mov_b32 v140, v152
	;; [unrolled: 1-line block ×10, first 2 shown]
	v_mov_b32_e32 v127, v19
	v_mov_b32_e32 v139, v5
	v_dual_mov_b32 v99, v123 :: v_dual_mov_b32 v100, v124
	v_dual_mov_b32 v111, v135 :: v_dual_mov_b32 v114, v138
	;; [unrolled: 1-line block ×4, first 2 shown]
	v_mov_b32_e32 v120, v144
	v_dual_mov_b32 v104, v128 :: v_dual_mov_b32 v105, v129
	v_dual_mov_b32 v110, v134 :: v_dual_mov_b32 v115, v139
	v_dual_mov_b32 v118, v142 :: v_dual_mov_b32 v119, v143
	v_dual_mov_b32 v122, v146 :: v_dual_mov_b32 v121, v145
	v_dual_mov_b32 v102, v126 :: v_dual_mov_b32 v101, v125
	v_dual_mov_b32 v106, v130 :: v_dual_mov_b32 v103, v127
	v_dual_mov_b32 v108, v132 :: v_dual_mov_b32 v107, v131
	v_dual_mov_b32 v116, v6 :: v_dual_mov_b32 v109, v133
	v_dual_mov_b32 v104, v20 :: v_dual_mov_b32 v87, v111
	v_dual_mov_b32 v88, v112 :: v_dual_mov_b32 v75, v99
	v_dual_mov_b32 v76, v100 :: v_dual_mov_b32 v93, v117
	v_dual_mov_b32 v94, v118 :: v_dual_mov_b32 v81, v105
	v_dual_mov_b32 v82, v106 :: v_dual_mov_b32 v89, v113
	v_dual_mov_b32 v90, v114 :: v_dual_mov_b32 v91, v115
	v_dual_mov_b32 v92, v116 :: v_dual_mov_b32 v95, v119
	v_dual_mov_b32 v96, v120 :: v_dual_mov_b32 v97, v121
	v_dual_mov_b32 v98, v122 :: v_dual_mov_b32 v77, v101
	v_dual_mov_b32 v78, v102 :: v_dual_mov_b32 v79, v103
	v_dual_mov_b32 v80, v104 :: v_dual_mov_b32 v83, v107
	v_dual_mov_b32 v84, v108 :: v_dual_mov_b32 v85, v109
	v_dual_mov_b32 v86, v110 :: v_dual_mov_b32 v81, v21
	v_dual_mov_b32 v41, v42 :: v_dual_mov_b32 v42, v11
	v_mov_b32_e32 v93, v7
	v_dual_mov_b32 v63, v75 :: v_dual_mov_b32 v68, v80
	v_dual_mov_b32 v64, v76 :: v_dual_mov_b32 v51, v87
	;; [unrolled: 1-line block ×3, first 2 shown]
	s_delay_alu instid0(VALU_DEP_4)
	v_dual_mov_b32 v58, v94 :: v_dual_mov_b32 v57, v93
	v_dual_mov_b32 v60, v96 :: v_dual_mov_b32 v59, v95
	;; [unrolled: 1-line block ×8, first 2 shown]
	v_mov_b32_e32 v60, v10
	v_dual_mov_b32 v52, v88 :: v_dual_mov_b32 v53, v89
	v_dual_mov_b32 v56, v92 :: v_dual_mov_b32 v59, v9
	;; [unrolled: 1-line block ×3, first 2 shown]
	v_mov_b32_e32 v72, v24
	v_dual_mov_b32 v70, v22 :: v_dual_mov_b32 v71, v23
	v_dual_mov_b32 v73, v13 :: v_dual_mov_b32 v74, v26
	v_dual_mov_b32 v1, v11 :: v_dual_mov_b32 v18, v17
	v_mov_b32_e32 v4, v3
.LBB231_69:
	s_or_b32 exec_lo, exec_lo, s2
	v_mov_b32_e32 v2, v43
	s_mov_b32 s2, exec_lo
	v_cmpx_lt_f32_e32 v1, v43
	s_cbranch_execz .LBB231_71
; %bb.70:
	v_mov_b32_e32 v174, v19
	s_waitcnt vmcnt(2)
	v_dual_mov_b32 v30, v5 :: v_dual_mov_b32 v123, v171
	s_waitcnt vmcnt(0)
	v_dual_mov_b32 v146, v38 :: v_dual_mov_b32 v143, v35
	v_dual_mov_b32 v145, v37 :: v_dual_mov_b32 v142, v34
	s_delay_alu instid0(VALU_DEP_3)
	v_dual_mov_b32 v139, v31 :: v_dual_mov_b32 v138, v30
	v_dual_mov_b32 v135, v27 :: v_dual_mov_b32 v124, v172
	;; [unrolled: 1-line block ×5, first 2 shown]
	v_mov_b32_e32 v127, v18
	v_dual_mov_b32 v134, v182 :: v_dual_mov_b32 v139, v4
	v_dual_mov_b32 v144, v36 :: v_dual_mov_b32 v141, v33
	;; [unrolled: 1-line block ×5, first 2 shown]
	s_delay_alu instid0(VALU_DEP_3)
	v_dual_mov_b32 v111, v135 :: v_dual_mov_b32 v112, v136
	v_dual_mov_b32 v99, v123 :: v_dual_mov_b32 v100, v124
	;; [unrolled: 1-line block ×12, first 2 shown]
	v_mov_b32_e32 v104, v20
	v_dual_mov_b32 v116, v6 :: v_dual_mov_b32 v75, v99
	v_mov_b32_e32 v87, v111
	v_dual_mov_b32 v93, v117 :: v_dual_mov_b32 v78, v102
	s_delay_alu instid0(VALU_DEP_3)
	v_dual_mov_b32 v81, v105 :: v_dual_mov_b32 v92, v116
	v_dual_mov_b32 v80, v104 :: v_dual_mov_b32 v83, v107
	;; [unrolled: 1-line block ×11, first 2 shown]
	v_mov_b32_e32 v63, v75
	s_delay_alu instid0(VALU_DEP_4)
	v_dual_mov_b32 v51, v87 :: v_dual_mov_b32 v52, v88
	v_dual_mov_b32 v71, v83 :: v_dual_mov_b32 v72, v84
	;; [unrolled: 1-line block ×14, first 2 shown]
	v_mov_b32_e32 v68, v80
	v_dual_mov_b32 v58, v8 :: v_dual_mov_b32 v59, v9
	v_dual_mov_b32 v60, v10 :: v_dual_mov_b32 v71, v23
	v_dual_mov_b32 v61, v14 :: v_dual_mov_b32 v62, v12
	v_dual_mov_b32 v70, v22 :: v_dual_mov_b32 v73, v13
	v_dual_mov_b32 v74, v26 :: v_dual_mov_b32 v161, v173
	v_dual_mov_b32 v160, v172 :: v_dual_mov_b32 v163, v175
	v_dual_mov_b32 v162, v174 :: v_dual_mov_b32 v165, v177
	v_dual_mov_b32 v164, v176 :: v_dual_mov_b32 v167, v179
	v_dual_mov_b32 v166, v178 :: v_dual_mov_b32 v169, v181
	v_dual_mov_b32 v168, v180 :: v_dual_mov_b32 v157, v37
	v_dual_mov_b32 v170, v182 :: v_dual_mov_b32 v155, v35
	v_dual_mov_b32 v156, v36 :: v_dual_mov_b32 v151, v31
	v_dual_mov_b32 v154, v34 :: v_dual_mov_b32 v149, v29
	v_dual_mov_b32 v152, v32 :: v_dual_mov_b32 v147, v27
	v_dual_mov_b32 v150, v30 :: v_dual_mov_b32 v5, v4
	v_dual_mov_b32 v148, v28 :: v_dual_mov_b32 v19, v18
	v_mov_b32_e32 v2, v1
.LBB231_71:
	s_or_b32 exec_lo, exec_lo, s2
	v_mov_b32_e32 v1, v44
	s_mov_b32 s2, exec_lo
	s_delay_alu instid0(VALU_DEP_2)
	v_cmpx_lt_f32_e32 v2, v44
	s_cbranch_execz .LBB231_73
; %bb.72:
	v_mov_b32_e32 v163, v20
	v_mov_b32_e32 v151, v6
	v_dual_mov_b32 v99, v159 :: v_dual_mov_b32 v100, v160
	v_dual_mov_b32 v111, v147 :: v_dual_mov_b32 v112, v148
	;; [unrolled: 1-line block ×10, first 2 shown]
	v_mov_b32_e32 v108, v168
	v_dual_mov_b32 v104, v164 :: v_dual_mov_b32 v107, v167
	v_mov_b32_e32 v116, v5
	v_dual_mov_b32 v109, v169 :: v_dual_mov_b32 v104, v19
	v_dual_mov_b32 v87, v111 :: v_dual_mov_b32 v88, v112
	;; [unrolled: 1-line block ×13, first 2 shown]
	v_mov_b32_e32 v93, v7
	v_dual_mov_b32 v43, v44 :: v_dual_mov_b32 v44, v2
	v_mov_b32_e32 v81, v21
	v_dual_mov_b32 v51, v87 :: v_dual_mov_b32 v56, v92
	v_dual_mov_b32 v52, v88 :: v_dual_mov_b32 v63, v75
	;; [unrolled: 1-line block ×14, first 2 shown]
	v_mov_b32_e32 v136, v148
	v_dual_mov_b32 v54, v90 :: v_dual_mov_b32 v59, v9
	v_dual_mov_b32 v62, v12 :: v_dual_mov_b32 v61, v14
	v_mov_b32_e32 v72, v24
	v_dual_mov_b32 v70, v22 :: v_dual_mov_b32 v71, v23
	v_dual_mov_b32 v73, v13 :: v_dual_mov_b32 v74, v26
	v_dual_mov_b32 v125, v161 :: v_dual_mov_b32 v126, v162
	v_dual_mov_b32 v127, v163 :: v_dual_mov_b32 v128, v164
	v_dual_mov_b32 v129, v165 :: v_dual_mov_b32 v130, v166
	v_dual_mov_b32 v131, v167 :: v_dual_mov_b32 v132, v168
	v_dual_mov_b32 v133, v169 :: v_dual_mov_b32 v134, v170
	v_dual_mov_b32 v137, v149 :: v_dual_mov_b32 v138, v150
	v_dual_mov_b32 v139, v151 :: v_dual_mov_b32 v140, v152
	v_dual_mov_b32 v141, v153 :: v_dual_mov_b32 v142, v154
	v_dual_mov_b32 v143, v155 :: v_dual_mov_b32 v144, v156
	v_dual_mov_b32 v145, v157 :: v_dual_mov_b32 v146, v158
	v_dual_mov_b32 v1, v2 :: v_dual_mov_b32 v20, v19
	v_mov_b32_e32 v6, v5
.LBB231_73:
	s_or_b32 exec_lo, exec_lo, s2
	v_mov_b32_e32 v2, v45
	s_mov_b32 s2, exec_lo
	v_cmpx_lt_f32_e32 v1, v45
	s_cbranch_execz .LBB231_75
; %bb.74:
	v_mov_b32_e32 v140, v7
	v_dual_mov_b32 v128, v21 :: v_dual_mov_b32 v87, v135
	v_mov_b32_e32 v93, v141
	v_mov_b32_e32 v93, v6
	;; [unrolled: 1-line block ×3, first 2 shown]
	v_dual_mov_b32 v92, v140 :: v_dual_mov_b32 v95, v143
	v_dual_mov_b32 v96, v144 :: v_dual_mov_b32 v97, v145
	v_dual_mov_b32 v44, v45 :: v_dual_mov_b32 v75, v123
	v_dual_mov_b32 v84, v132 :: v_dual_mov_b32 v85, v133
	v_dual_mov_b32 v88, v136 :: v_dual_mov_b32 v89, v137
	v_dual_mov_b32 v90, v138 :: v_dual_mov_b32 v91, v139
	v_dual_mov_b32 v98, v146 :: v_dual_mov_b32 v45, v1
	v_dual_mov_b32 v80, v128 :: v_dual_mov_b32 v81, v129
	v_dual_mov_b32 v82, v130 :: v_dual_mov_b32 v83, v131
	v_dual_mov_b32 v86, v134 :: v_dual_mov_b32 v81, v20
	v_dual_mov_b32 v51, v87 :: v_dual_mov_b32 v52, v88
	v_dual_mov_b32 v76, v124 :: v_dual_mov_b32 v77, v125
	v_dual_mov_b32 v78, v126 :: v_dual_mov_b32 v79, v127
	v_dual_mov_b32 v59, v95 :: v_dual_mov_b32 v60, v96
	v_dual_mov_b32 v60, v10 :: v_dual_mov_b32 v63, v75
	v_dual_mov_b32 v72, v84 :: v_dual_mov_b32 v73, v85
	v_dual_mov_b32 v72, v24 :: v_dual_mov_b32 v99, v123
	v_dual_mov_b32 v57, v93 :: v_dual_mov_b32 v58, v94
	v_dual_mov_b32 v61, v97 :: v_dual_mov_b32 v62, v98
	v_dual_mov_b32 v70, v82 :: v_dual_mov_b32 v71, v83
	v_dual_mov_b32 v74, v86 :: v_dual_mov_b32 v71, v23
	v_dual_mov_b32 v108, v132 :: v_dual_mov_b32 v111, v135
	v_dual_mov_b32 v53, v89 :: v_dual_mov_b32 v54, v90
	v_dual_mov_b32 v55, v91 :: v_dual_mov_b32 v56, v92
	v_dual_mov_b32 v58, v8 :: v_dual_mov_b32 v59, v9
	v_dual_mov_b32 v61, v14 :: v_dual_mov_b32 v62, v12
	v_dual_mov_b32 v64, v76 :: v_dual_mov_b32 v65, v77
	v_dual_mov_b32 v66, v78 :: v_dual_mov_b32 v67, v79
	v_dual_mov_b32 v68, v80 :: v_dual_mov_b32 v69, v81
	v_dual_mov_b32 v70, v22 :: v_dual_mov_b32 v73, v13
	v_dual_mov_b32 v74, v26 :: v_dual_mov_b32 v101, v125
	v_dual_mov_b32 v100, v124 :: v_dual_mov_b32 v103, v127
	v_dual_mov_b32 v102, v126 :: v_dual_mov_b32 v105, v129
	v_dual_mov_b32 v104, v128 :: v_dual_mov_b32 v107, v131
	v_dual_mov_b32 v106, v130 :: v_dual_mov_b32 v109, v133
	v_dual_mov_b32 v110, v134 :: v_dual_mov_b32 v113, v137
	v_dual_mov_b32 v112, v136 :: v_dual_mov_b32 v115, v139
	v_dual_mov_b32 v114, v138 :: v_dual_mov_b32 v117, v141
	v_dual_mov_b32 v116, v140 :: v_dual_mov_b32 v119, v143
	v_dual_mov_b32 v118, v142 :: v_dual_mov_b32 v121, v145
	v_dual_mov_b32 v120, v144 :: v_dual_mov_b32 v7, v6
	v_dual_mov_b32 v122, v146 :: v_dual_mov_b32 v21, v20
	v_mov_b32_e32 v2, v1
.LBB231_75:
	s_or_b32 exec_lo, exec_lo, s2
	v_mov_b32_e32 v1, v46
	s_mov_b32 s2, exec_lo
	s_delay_alu instid0(VALU_DEP_2)
	v_cmpx_lt_f32_e32 v2, v46
	s_cbranch_execz .LBB231_77
; %bb.76:
	v_mov_b32_e32 v117, v8
	v_mov_b32_e32 v45, v46
	;; [unrolled: 1-line block ×4, first 2 shown]
	v_dual_mov_b32 v51, v111 :: v_dual_mov_b32 v54, v114
	v_dual_mov_b32 v56, v116 :: v_dual_mov_b32 v63, v99
	v_dual_mov_b32 v66, v102 :: v_dual_mov_b32 v53, v113
	v_dual_mov_b32 v58, v118 :: v_dual_mov_b32 v55, v115
	v_dual_mov_b32 v60, v120 :: v_dual_mov_b32 v57, v117
	v_dual_mov_b32 v62, v122 :: v_dual_mov_b32 v59, v119
	v_dual_mov_b32 v60, v10 :: v_dual_mov_b32 v61, v121
	v_mov_b32_e32 v58, v7
	v_dual_mov_b32 v67, v103 :: v_dual_mov_b32 v70, v106
	v_dual_mov_b32 v69, v105 :: v_dual_mov_b32 v72, v108
	v_dual_mov_b32 v71, v107 :: v_dual_mov_b32 v74, v110
	v_dual_mov_b32 v73, v109 :: v_dual_mov_b32 v72, v24
	v_dual_mov_b32 v75, v99 :: v_dual_mov_b32 v76, v100
	v_dual_mov_b32 v87, v111 :: v_dual_mov_b32 v88, v112
	v_dual_mov_b32 v52, v112 :: v_dual_mov_b32 v59, v9
	v_dual_mov_b32 v62, v12 :: v_dual_mov_b32 v61, v14
	v_dual_mov_b32 v64, v100 :: v_dual_mov_b32 v65, v101
	v_mov_b32_e32 v68, v104
	v_dual_mov_b32 v70, v21 :: v_dual_mov_b32 v71, v23
	v_dual_mov_b32 v73, v13 :: v_dual_mov_b32 v74, v26
	;; [unrolled: 10-line block ×3, first 2 shown]
	v_dual_mov_b32 v95, v119 :: v_dual_mov_b32 v96, v120
	v_dual_mov_b32 v97, v121 :: v_dual_mov_b32 v98, v122
.LBB231_77:
	s_or_b32 exec_lo, exec_lo, s2
	v_mov_b32_e32 v2, v47
	s_mov_b32 s2, exec_lo
	v_cmpx_lt_f32_e32 v1, v47
	s_cbranch_execz .LBB231_79
; %bb.78:
	v_dual_mov_b32 v83, v22 :: v_dual_mov_b32 v84, v24
	v_dual_mov_b32 v94, v9 :: v_dual_mov_b32 v95, v8
	v_dual_mov_b32 v96, v10 :: v_dual_mov_b32 v85, v13
	v_dual_mov_b32 v97, v14 :: v_dual_mov_b32 v82, v23
	v_mov_b32_e32 v86, v26
	v_dual_mov_b32 v46, v47 :: v_dual_mov_b32 v47, v1
	v_dual_mov_b32 v98, v12 :: v_dual_mov_b32 v63, v75
	;; [unrolled: 1-line block ×13, first 2 shown]
	v_mov_b32_e32 v62, v98
	v_mov_b32_e32 v2, v1
.LBB231_79:
	s_or_b32 exec_lo, exec_lo, s2
	s_delay_alu instid0(VALU_DEP_1)
	v_cmp_lt_f32_e32 vcc_lo, v2, v48
	v_dual_mov_b32 v1, v39 :: v_dual_mov_b32 v6, v44
	v_dual_mov_b32 v3, v41 :: v_dual_mov_b32 v8, v46
	s_waitcnt vmcnt(0)
	v_dual_cndmask_b32 v37, v72, v71 :: v_dual_mov_b32 v4, v42
	v_dual_cndmask_b32 v71, v71, v72 :: v_dual_cndmask_b32 v38, v60, v59
	v_dual_cndmask_b32 v59, v59, v60 :: v_dual_cndmask_b32 v10, v48, v2
	v_dual_cndmask_b32 v9, v47, v48 :: v_dual_mov_b32 v2, v40
	v_dual_mov_b32 v5, v43 :: v_dual_mov_b32 v12, v50
	v_mov_b32_e32 v7, v45
	v_mov_b32_e32 v11, v49
	s_mov_b32 s2, exec_lo
	v_cmpx_lt_f32_e32 v39, v40
	s_cbranch_execz .LBB231_81
; %bb.80:
	v_dual_mov_b32 v13, v2 :: v_dual_mov_b32 v14, v1
	v_dual_mov_b32 v15, v3 :: v_dual_mov_b32 v16, v4
	;; [unrolled: 1-line block ×6, first 2 shown]
	v_mov_b32_e32 v25, v63
	v_dual_mov_b32 v26, v51 :: v_dual_mov_b32 v1, v13
	v_swap_b32 v63, v64
	v_swap_b32 v51, v52
	v_dual_mov_b32 v2, v14 :: v_dual_mov_b32 v3, v15
	v_dual_mov_b32 v4, v16 :: v_dual_mov_b32 v5, v17
	;; [unrolled: 1-line block ×5, first 2 shown]
	v_mov_b32_e32 v12, v24
	v_mov_b32_e32 v40, v39
.LBB231_81:
	s_or_b32 exec_lo, exec_lo, s2
	v_mov_b32_e32 v60, v38
	v_dual_mov_b32 v72, v37 :: v_dual_mov_b32 v13, v51
	v_dual_mov_b32 v25, v63 :: v_dual_mov_b32 v98, v74
	;; [unrolled: 1-line block ×60, first 2 shown]
	s_mov_b32 s2, exec_lo
	v_dual_mov_b32 v96, v72 :: v_dual_mov_b32 v93, v69
	v_cmpx_lt_f32_e32 v40, v3
	s_cbranch_execz .LBB231_83
; %bb.82:
	v_dual_mov_b32 v134, v62 :: v_dual_mov_b32 v133, v61
	v_dual_mov_b32 v124, v52 :: v_dual_mov_b32 v123, v51
	v_mov_b32_e32 v124, v53
	v_dual_mov_b32 v128, v56 :: v_dual_mov_b32 v127, v55
	v_dual_mov_b32 v132, v60 :: v_dual_mov_b32 v131, v59
	;; [unrolled: 1-line block ×11, first 2 shown]
	v_mov_b32_e32 v141, v69
	v_dual_mov_b32 v136, v65 :: v_dual_mov_b32 v137, v64
	v_dual_mov_b32 v160, v124 :: v_dual_mov_b32 v159, v123
	;; [unrolled: 1-line block ×40, first 2 shown]
	v_mov_b32_e32 v22, v84
	v_dual_mov_b32 v22, v38 :: v_dual_mov_b32 v25, v87
	v_dual_mov_b32 v16, v78 :: v_dual_mov_b32 v19, v81
	;; [unrolled: 1-line block ×16, first 2 shown]
	v_mov_b32_e32 v35, v73
	v_dual_mov_b32 v34, v37 :: v_dual_mov_b32 v39, v40
	v_dual_mov_b32 v36, v74 :: v_dual_mov_b32 v65, v64
	v_mov_b32_e32 v53, v52
.LBB231_83:
	s_or_b32 exec_lo, exec_lo, s2
	v_mov_b32_e32 v40, v4
	s_mov_b32 s2, exec_lo
	v_cmpx_lt_f32_e32 v39, v4
	s_cbranch_execz .LBB231_85
; %bb.84:
	v_mov_b32_e32 v137, v66
	v_mov_b32_e32 v125, v54
	;; [unrolled: 1-line block ×4, first 2 shown]
	v_dual_mov_b32 v170, v134 :: v_dual_mov_b32 v169, v133
	v_dual_mov_b32 v168, v132 :: v_dual_mov_b32 v159, v123
	;; [unrolled: 1-line block ×9, first 2 shown]
	v_mov_b32_e32 v157, v145
	v_dual_mov_b32 v155, v143 :: v_dual_mov_b32 v152, v140
	v_mov_b32_e32 v162, v53
	v_mov_b32_e32 v149, v137
	v_dual_mov_b32 v150, v65 :: v_dual_mov_b32 v111, v159
	v_dual_mov_b32 v112, v160 :: v_dual_mov_b32 v99, v147
	;; [unrolled: 1-line block ×13, first 2 shown]
	v_mov_b32_e32 v115, v55
	v_dual_mov_b32 v87, v99 :: v_dual_mov_b32 v88, v100
	v_dual_mov_b32 v75, v111 :: v_dual_mov_b32 v78, v114
	;; [unrolled: 1-line block ×3, first 2 shown]
	s_delay_alu instid0(VALU_DEP_4)
	v_dual_mov_b32 v80, v116 :: v_dual_mov_b32 v79, v115
	v_dual_mov_b32 v82, v118 :: v_dual_mov_b32 v81, v117
	;; [unrolled: 1-line block ×6, first 2 shown]
	v_mov_b32_e32 v96, v108
	v_dual_mov_b32 v92, v104 :: v_dual_mov_b32 v93, v105
	v_dual_mov_b32 v98, v110 :: v_dual_mov_b32 v95, v107
	;; [unrolled: 1-line block ×21, first 2 shown]
	v_mov_b32_e32 v34, v37
	v_dual_mov_b32 v35, v73 :: v_dual_mov_b32 v36, v74
	v_mov_b32_e32 v40, v39
	v_mov_b32_e32 v66, v65
	;; [unrolled: 1-line block ×3, first 2 shown]
.LBB231_85:
	s_or_b32 exec_lo, exec_lo, s2
	v_mov_b32_e32 v39, v5
	s_mov_b32 s2, exec_lo
	v_cmpx_lt_f32_e32 v40, v5
	s_cbranch_execz .LBB231_87
; %bb.86:
	v_mov_b32_e32 v126, v55
	v_mov_b32_e32 v111, v123
	;; [unrolled: 1-line block ×3, first 2 shown]
	v_dual_mov_b32 v115, v54 :: v_dual_mov_b32 v116, v128
	v_dual_mov_b32 v138, v67 :: v_dual_mov_b32 v113, v125
	v_mov_b32_e32 v112, v124
	v_dual_mov_b32 v118, v130 :: v_dual_mov_b32 v119, v131
	v_dual_mov_b32 v120, v132 :: v_dual_mov_b32 v121, v133
	;; [unrolled: 1-line block ×24, first 2 shown]
	v_mov_b32_e32 v22, v84
	v_dual_mov_b32 v22, v38 :: v_dual_mov_b32 v25, v87
	v_dual_mov_b32 v16, v78 :: v_dual_mov_b32 v19, v81
	;; [unrolled: 1-line block ×18, first 2 shown]
	v_mov_b32_e32 v35, v73
	v_dual_mov_b32 v34, v37 :: v_dual_mov_b32 v155, v143
	v_dual_mov_b32 v36, v74 :: v_dual_mov_b32 v157, v145
	;; [unrolled: 1-line block ×12, first 2 shown]
	v_mov_b32_e32 v55, v54
.LBB231_87:
	s_or_b32 exec_lo, exec_lo, s2
	v_mov_b32_e32 v40, v6
	s_mov_b32 s2, exec_lo
	v_cmpx_lt_f32_e32 v39, v6
	s_cbranch_execz .LBB231_89
; %bb.88:
	v_mov_b32_e32 v163, v56
	v_dual_mov_b32 v75, v159 :: v_dual_mov_b32 v80, v164
	v_dual_mov_b32 v80, v55 :: v_dual_mov_b32 v81, v165
	;; [unrolled: 1-line block ×7, first 2 shown]
	v_mov_b32_e32 v85, v169
	v_dual_mov_b32 v89, v149 :: v_dual_mov_b32 v92, v152
	v_dual_mov_b32 v91, v151 :: v_dual_mov_b32 v94, v154
	v_dual_mov_b32 v93, v153 :: v_dual_mov_b32 v96, v156
	v_dual_mov_b32 v95, v155 :: v_dual_mov_b32 v98, v158
	v_dual_mov_b32 v97, v157 :: v_dual_mov_b32 v92, v67
	v_dual_mov_b32 v76, v160 :: v_dual_mov_b32 v5, v6
	v_mov_b32_e32 v88, v148
	v_mov_b32_e32 v6, v39
	s_delay_alu instid0(VALU_DEP_3) | instskip(NEXT) | instid1(VALU_DEP_3)
	v_dual_mov_b32 v13, v75 :: v_dual_mov_b32 v14, v76
	v_dual_mov_b32 v25, v87 :: v_dual_mov_b32 v26, v88
	;; [unrolled: 1-line block ×30, first 2 shown]
	v_mov_b32_e32 v40, v39
	v_mov_b32_e32 v68, v67
	;; [unrolled: 1-line block ×3, first 2 shown]
.LBB231_89:
	s_or_b32 exec_lo, exec_lo, s2
	v_mov_b32_e32 v39, v7
	s_mov_b32 s2, exec_lo
	v_cmpx_lt_f32_e32 v40, v7
	s_cbranch_execz .LBB231_91
; %bb.90:
	v_mov_b32_e32 v116, v57
	v_dual_mov_b32 v6, v7 :: v_dual_mov_b32 v7, v40
	v_dual_mov_b32 v104, v69 :: v_dual_mov_b32 v13, v111
	v_mov_b32_e32 v22, v120
	v_dual_mov_b32 v22, v38 :: v_dual_mov_b32 v25, v99
	v_mov_b32_e32 v34, v108
	v_dual_mov_b32 v34, v37 :: v_dual_mov_b32 v87, v99
	v_dual_mov_b32 v16, v114 :: v_dual_mov_b32 v19, v117
	v_dual_mov_b32 v18, v116 :: v_dual_mov_b32 v21, v119
	v_dual_mov_b32 v20, v118 :: v_dual_mov_b32 v23, v121
	v_dual_mov_b32 v24, v122 :: v_dual_mov_b32 v19, v56
	v_dual_mov_b32 v28, v102 :: v_dual_mov_b32 v31, v105
	v_dual_mov_b32 v30, v104 :: v_dual_mov_b32 v33, v107
	v_dual_mov_b32 v32, v106 :: v_dual_mov_b32 v35, v109
	v_dual_mov_b32 v36, v110 :: v_dual_mov_b32 v31, v68
	v_dual_mov_b32 v96, v108 :: v_dual_mov_b32 v75, v111
	v_dual_mov_b32 v14, v112 :: v_dual_mov_b32 v17, v115
	v_dual_mov_b32 v15, v113 :: v_dual_mov_b32 v20, v58
	v_mov_b32_e32 v23, v61
	v_dual_mov_b32 v21, v59 :: v_dual_mov_b32 v24, v62
	v_dual_mov_b32 v27, v101 :: v_dual_mov_b32 v26, v100
	;; [unrolled: 1-line block ×3, first 2 shown]
	v_mov_b32_e32 v35, v73
	v_dual_mov_b32 v33, v71 :: v_dual_mov_b32 v36, v74
	v_dual_mov_b32 v89, v101 :: v_dual_mov_b32 v88, v100
	;; [unrolled: 1-line block ×9, first 2 shown]
	v_mov_b32_e32 v39, v40
	v_mov_b32_e32 v69, v68
	v_dual_mov_b32 v57, v56 :: v_dual_mov_b32 v94, v106
	v_dual_mov_b32 v97, v109 :: v_dual_mov_b32 v82, v118
	;; [unrolled: 1-line block ×3, first 2 shown]
.LBB231_91:
	s_or_b32 exec_lo, exec_lo, s2
	v_mov_b32_e32 v40, v8
	s_mov_b32 s2, exec_lo
	v_cmpx_lt_f32_e32 v39, v8
	s_cbranch_execz .LBB231_93
; %bb.92:
	v_dual_mov_b32 v81, v58 :: v_dual_mov_b32 v82, v57
	v_dual_mov_b32 v83, v59 :: v_dual_mov_b32 v84, v38
	;; [unrolled: 1-line block ×19, first 2 shown]
	v_mov_b32_e32 v40, v39
.LBB231_93:
	s_or_b32 exec_lo, exec_lo, s2
	s_delay_alu instid0(VALU_DEP_1)
	v_cmp_lt_f32_e32 vcc_lo, v40, v9
	v_dual_mov_b32 v38, v2 :: v_dual_mov_b32 v41, v5
	v_dual_mov_b32 v42, v6 :: v_dual_mov_b32 v47, v11
	v_dual_cndmask_b32 v145, v33, v32 :: v_dual_cndmask_b32 v32, v32, v33
	v_dual_cndmask_b32 v146, v21, v20 :: v_dual_mov_b32 v39, v3
	v_dual_cndmask_b32 v20, v20, v21 :: v_dual_cndmask_b32 v45, v9, v40
	v_dual_cndmask_b32 v44, v8, v9 :: v_dual_mov_b32 v37, v1
	v_dual_mov_b32 v40, v4 :: v_dual_mov_b32 v43, v7
	v_mov_b32_e32 v46, v10
	v_mov_b32_e32 v48, v12
	s_mov_b32 s2, exec_lo
	v_cmpx_lt_f32_e32 v1, v2
	s_cbranch_execz .LBB231_95
; %bb.94:
	v_dual_mov_b32 v49, v38 :: v_dual_mov_b32 v50, v37
	v_dual_mov_b32 v51, v39 :: v_dual_mov_b32 v52, v40
	;; [unrolled: 1-line block ×6, first 2 shown]
	v_mov_b32_e32 v3, v25
	v_mov_b32_e32 v4, v13
	v_dual_mov_b32 v37, v49 :: v_dual_mov_b32 v40, v52
	v_swap_b32 v25, v26
	v_swap_b32 v13, v14
	v_dual_mov_b32 v38, v50 :: v_dual_mov_b32 v39, v51
	v_dual_mov_b32 v41, v53 :: v_dual_mov_b32 v42, v54
	;; [unrolled: 1-line block ×5, first 2 shown]
	v_mov_b32_e32 v2, v1
.LBB231_95:
	s_or_b32 exec_lo, exec_lo, s2
	v_mov_b32_e32 v21, v146
	v_dual_mov_b32 v33, v145 :: v_dual_mov_b32 v60, v24
	v_dual_mov_b32 v72, v36 :: v_dual_mov_b32 v61, v25
	;; [unrolled: 1-line block ×43, first 2 shown]
	v_mov_b32_e32 v97, v13
	v_mov_b32_e32 v1, v39
	s_mov_b32 s2, exec_lo
	v_dual_mov_b32 v95, v35 :: v_dual_mov_b32 v94, v34
	v_dual_mov_b32 v93, v33 :: v_dual_mov_b32 v92, v32
	;; [unrolled: 1-line block ×5, first 2 shown]
	v_cmpx_lt_f32_e32 v2, v39
	s_cbranch_execz .LBB231_97
; %bb.96:
	v_dual_mov_b32 v108, v24 :: v_dual_mov_b32 v107, v23
	v_dual_mov_b32 v98, v14 :: v_dual_mov_b32 v97, v13
	v_mov_b32_e32 v98, v15
	v_dual_mov_b32 v104, v20 :: v_dual_mov_b32 v103, v19
	v_dual_mov_b32 v100, v16 :: v_dual_mov_b32 v99, v15
	;; [unrolled: 1-line block ×26, first 2 shown]
	v_mov_b32_e32 v84, v144
	v_dual_mov_b32 v74, v134 :: v_dual_mov_b32 v77, v137
	v_mov_b32_e32 v75, v135
	v_dual_mov_b32 v38, v39 :: v_dual_mov_b32 v85, v121
	v_dual_mov_b32 v76, v136 :: v_dual_mov_b32 v79, v139
	;; [unrolled: 1-line block ×10, first 2 shown]
	v_mov_b32_e32 v39, v2
	v_dual_mov_b32 v49, v73 :: v_dual_mov_b32 v50, v74
	v_dual_mov_b32 v59, v83 :: v_dual_mov_b32 v60, v84
	;; [unrolled: 1-line block ×18, first 2 shown]
	v_mov_b32_e32 v70, v34
	v_dual_mov_b32 v72, v36 :: v_dual_mov_b32 v1, v2
	v_mov_b32_e32 v27, v26
	v_mov_b32_e32 v15, v14
.LBB231_97:
	s_or_b32 exec_lo, exec_lo, s2
	v_mov_b32_e32 v2, v40
	s_mov_b32 s2, exec_lo
	v_cmpx_lt_f32_e32 v1, v40
	s_cbranch_execz .LBB231_99
; %bb.98:
	v_mov_b32_e32 v99, v16
	v_mov_b32_e32 v144, v108
	;; [unrolled: 1-line block ×3, first 2 shown]
	v_dual_mov_b32 v136, v15 :: v_dual_mov_b32 v111, v28
	v_dual_mov_b32 v142, v106 :: v_dual_mov_b32 v133, v97
	;; [unrolled: 1-line block ×4, first 2 shown]
	v_mov_b32_e32 v135, v99
	v_dual_mov_b32 v125, v113 :: v_dual_mov_b32 v124, v112
	v_mov_b32_e32 v143, v107
	v_dual_mov_b32 v141, v105 :: v_dual_mov_b32 v140, v104
	v_dual_mov_b32 v139, v103 :: v_dual_mov_b32 v138, v102
	;; [unrolled: 1-line block ×18, first 2 shown]
	v_mov_b32_e32 v95, v131
	v_dual_mov_b32 v89, v29 :: v_dual_mov_b32 v88, v124
	v_dual_mov_b32 v49, v73 :: v_dual_mov_b32 v54, v78
	v_mov_b32_e32 v50, v74
	v_dual_mov_b32 v52, v76 :: v_dual_mov_b32 v61, v85
	s_delay_alu instid0(VALU_DEP_4)
	v_dual_mov_b32 v64, v88 :: v_dual_mov_b32 v51, v75
	v_dual_mov_b32 v56, v80 :: v_dual_mov_b32 v53, v77
	;; [unrolled: 1-line block ×12, first 2 shown]
	v_mov_b32_e32 v58, v22
	v_dual_mov_b32 v57, v146 :: v_dual_mov_b32 v60, v24
	v_dual_mov_b32 v59, v23 :: v_dual_mov_b32 v62, v86
	;; [unrolled: 1-line block ×5, first 2 shown]
	v_mov_b32_e32 v2, v1
	v_mov_b32_e32 v28, v27
	;; [unrolled: 1-line block ×3, first 2 shown]
.LBB231_99:
	s_or_b32 exec_lo, exec_lo, s2
	v_mov_b32_e32 v1, v41
	s_mov_b32 s2, exec_lo
	v_cmpx_lt_f32_e32 v2, v41
	s_cbranch_execz .LBB231_101
; %bb.100:
	v_mov_b32_e32 v100, v17
	v_mov_b32_e32 v73, v97
	;; [unrolled: 1-line block ×3, first 2 shown]
	v_dual_mov_b32 v77, v16 :: v_dual_mov_b32 v78, v102
	v_dual_mov_b32 v112, v29 :: v_dual_mov_b32 v75, v99
	;; [unrolled: 1-line block ×3, first 2 shown]
	v_mov_b32_e32 v84, v108
	v_dual_mov_b32 v74, v98 :: v_dual_mov_b32 v85, v109
	v_mov_b32_e32 v86, v110
	v_dual_mov_b32 v76, v100 :: v_dual_mov_b32 v79, v103
	v_dual_mov_b32 v80, v104 :: v_dual_mov_b32 v81, v105
	;; [unrolled: 1-line block ×8, first 2 shown]
	v_mov_b32_e32 v49, v73
	v_dual_mov_b32 v89, v28 :: v_dual_mov_b32 v50, v74
	v_dual_mov_b32 v59, v83 :: v_dual_mov_b32 v60, v84
	;; [unrolled: 1-line block ×32, first 2 shown]
	v_mov_b32_e32 v17, v16
.LBB231_101:
	s_or_b32 exec_lo, exec_lo, s2
	v_mov_b32_e32 v2, v42
	s_mov_b32 s2, exec_lo
	v_cmpx_lt_f32_e32 v1, v42
	s_cbranch_execz .LBB231_103
; %bb.102:
	v_mov_b32_e32 v137, v18
	v_mov_b32_e32 v125, v30
	v_dual_mov_b32 v41, v42 :: v_dual_mov_b32 v42, v1
	v_dual_mov_b32 v49, v133 :: v_dual_mov_b32 v50, v134
	;; [unrolled: 1-line block ×13, first 2 shown]
	v_mov_b32_e32 v66, v29
	v_dual_mov_b32 v85, v121 :: v_dual_mov_b32 v86, v122
	v_dual_mov_b32 v73, v133 :: v_dual_mov_b32 v74, v134
	;; [unrolled: 1-line block ×4, first 2 shown]
	v_mov_b32_e32 v64, v124
	v_dual_mov_b32 v58, v22 :: v_dual_mov_b32 v59, v23
	v_dual_mov_b32 v67, v31 :: v_dual_mov_b32 v68, v32
	;; [unrolled: 1-line block ×8, first 2 shown]
	v_mov_b32_e32 v2, v1
	v_mov_b32_e32 v30, v29
	v_dual_mov_b32 v18, v17 :: v_dual_mov_b32 v91, v127
	v_dual_mov_b32 v92, v128 :: v_dual_mov_b32 v93, v129
	v_dual_mov_b32 v94, v130 :: v_dual_mov_b32 v95, v131
	v_dual_mov_b32 v96, v132 :: v_dual_mov_b32 v79, v139
	v_dual_mov_b32 v80, v140 :: v_dual_mov_b32 v81, v141
	v_dual_mov_b32 v82, v142 :: v_dual_mov_b32 v83, v143
	v_mov_b32_e32 v84, v144
.LBB231_103:
	s_or_b32 exec_lo, exec_lo, s2
	v_mov_b32_e32 v1, v43
	s_mov_b32 s2, exec_lo
	v_cmpx_lt_f32_e32 v2, v43
	s_cbranch_execz .LBB231_105
; %bb.104:
	v_dual_mov_b32 v94, v34 :: v_dual_mov_b32 v95, v35
	v_dual_mov_b32 v78, v19 :: v_dual_mov_b32 v79, v18
	;; [unrolled: 1-line block ×6, first 2 shown]
	v_mov_b32_e32 v96, v36
	v_dual_mov_b32 v42, v43 :: v_dual_mov_b32 v43, v2
	v_dual_mov_b32 v84, v24 :: v_dual_mov_b32 v61, v85
	;; [unrolled: 1-line block ×14, first 2 shown]
.LBB231_105:
	s_or_b32 exec_lo, exec_lo, s2
	s_delay_alu instid0(VALU_DEP_1)
	v_cmp_lt_f32_e32 vcc_lo, v1, v44
	v_dual_mov_b32 v3, v39 :: v_dual_mov_b32 v10, v46
	v_dual_mov_b32 v5, v41 :: v_dual_mov_b32 v12, v48
	v_dual_cndmask_b32 v121, v68, v67 :: v_dual_mov_b32 v2, v38
	v_dual_cndmask_b32 v67, v67, v68 :: v_dual_cndmask_b32 v122, v56, v55
	v_dual_cndmask_b32 v55, v55, v56 :: v_dual_cndmask_b32 v8, v44, v1
	v_dual_cndmask_b32 v7, v43, v44 :: v_dual_mov_b32 v4, v40
	v_dual_mov_b32 v1, v37 :: v_dual_mov_b32 v6, v42
	v_mov_b32_e32 v9, v45
	v_mov_b32_e32 v11, v47
	s_mov_b32 s2, exec_lo
	v_cmpx_lt_f32_e32 v37, v38
	s_cbranch_execz .LBB231_107
; %bb.106:
	v_dual_mov_b32 v13, v2 :: v_dual_mov_b32 v14, v1
	v_dual_mov_b32 v15, v3 :: v_dual_mov_b32 v16, v4
	;; [unrolled: 1-line block ×6, first 2 shown]
	v_mov_b32_e32 v25, v61
	v_mov_b32_e32 v26, v49
	v_dual_mov_b32 v1, v13 :: v_dual_mov_b32 v4, v16
	v_swap_b32 v61, v62
	v_swap_b32 v49, v50
	v_dual_mov_b32 v2, v14 :: v_dual_mov_b32 v3, v15
	v_dual_mov_b32 v5, v17 :: v_dual_mov_b32 v6, v18
	;; [unrolled: 1-line block ×5, first 2 shown]
	v_mov_b32_e32 v38, v37
.LBB231_107:
	s_or_b32 exec_lo, exec_lo, s2
	v_mov_b32_e32 v56, v122
	v_mov_b32_e32 v68, v121
	;; [unrolled: 1-line block ×3, first 2 shown]
	v_dual_mov_b32 v27, v51 :: v_dual_mov_b32 v84, v72
	v_mov_b32_e32 v81, v69
	v_dual_mov_b32 v83, v71 :: v_dual_mov_b32 v96, v60
	v_dual_mov_b32 v91, v55 :: v_dual_mov_b32 v120, v72
	;; [unrolled: 1-line block ×31, first 2 shown]
	v_mov_b32_e32 v24, v60
	s_mov_b32 s2, exec_lo
	v_dual_mov_b32 v118, v70 :: v_dual_mov_b32 v115, v67
	v_dual_mov_b32 v116, v68 :: v_dual_mov_b32 v113, v65
	;; [unrolled: 1-line block ×3, first 2 shown]
	v_cmpx_lt_f32_e32 v38, v3
	s_cbranch_execz .LBB231_109
; %bb.108:
	v_dual_mov_b32 v13, v49 :: v_dual_mov_b32 v14, v50
	v_dual_mov_b32 v23, v59 :: v_dual_mov_b32 v24, v60
	;; [unrolled: 1-line block ×30, first 2 shown]
	v_mov_b32_e32 v112, v64
	v_dual_mov_b32 v34, v94 :: v_dual_mov_b32 v35, v95
	v_dual_mov_b32 v35, v59 :: v_dual_mov_b32 v34, v58
	;; [unrolled: 1-line block ×15, first 2 shown]
	v_mov_b32_e32 v81, v69
	v_dual_mov_b32 v80, v121 :: v_dual_mov_b32 v83, v71
	v_mov_b32_e32 v82, v70
	v_dual_mov_b32 v84, v72 :: v_dual_mov_b32 v37, v38
	v_mov_b32_e32 v63, v62
	v_mov_b32_e32 v51, v50
.LBB231_109:
	s_or_b32 exec_lo, exec_lo, s2
	v_mov_b32_e32 v38, v4
	s_mov_b32 s2, exec_lo
	v_cmpx_lt_f32_e32 v37, v4
	s_cbranch_execz .LBB231_111
; %bb.110:
	v_mov_b32_e32 v15, v52
	v_mov_b32_e32 v96, v24
	;; [unrolled: 1-line block ×3, first 2 shown]
	v_dual_mov_b32 v88, v51 :: v_dual_mov_b32 v99, v64
	v_dual_mov_b32 v94, v22 :: v_dual_mov_b32 v85, v13
	;; [unrolled: 1-line block ×3, first 2 shown]
	v_mov_b32_e32 v95, v23
	v_dual_mov_b32 v93, v21 :: v_dual_mov_b32 v92, v20
	v_dual_mov_b32 v91, v19 :: v_dual_mov_b32 v90, v18
	v_dual_mov_b32 v89, v17 :: v_dual_mov_b32 v86, v14
	v_dual_mov_b32 v119, v107 :: v_dual_mov_b32 v118, v106
	v_dual_mov_b32 v117, v105 :: v_dual_mov_b32 v116, v104
	v_dual_mov_b32 v115, v103 :: v_dual_mov_b32 v114, v102
	v_dual_mov_b32 v113, v101 :: v_dual_mov_b32 v112, v100
	v_mov_b32_e32 v87, v15
	v_dual_mov_b32 v111, v99 :: v_dual_mov_b32 v110, v98
	v_dual_mov_b32 v112, v63 :: v_dual_mov_b32 v25, v85
	;; [unrolled: 1-line block ×3, first 2 shown]
	s_delay_alu instid0(VALU_DEP_3)
	v_dual_mov_b32 v74, v110 :: v_dual_mov_b32 v29, v89
	v_dual_mov_b32 v30, v90 :: v_dual_mov_b32 v31, v91
	;; [unrolled: 1-line block ×8, first 2 shown]
	v_mov_b32_e32 v84, v120
	v_dual_mov_b32 v3, v4 :: v_dual_mov_b32 v4, v37
	v_dual_mov_b32 v27, v87 :: v_dual_mov_b32 v28, v88
	;; [unrolled: 1-line block ×11, first 2 shown]
	v_mov_b32_e32 v38, v37
	v_mov_b32_e32 v64, v63
	;; [unrolled: 1-line block ×3, first 2 shown]
.LBB231_111:
	s_or_b32 exec_lo, exec_lo, s2
	v_mov_b32_e32 v16, v5
	s_mov_b32 s2, exec_lo
	v_cmpx_lt_f32_e32 v38, v5
	s_cbranch_execz .LBB231_113
; %bb.112:
	v_mov_b32_e32 v100, v65
	v_mov_b32_e32 v16, v53
	v_dual_mov_b32 v4, v5 :: v_dual_mov_b32 v5, v38
	v_dual_mov_b32 v36, v24 :: v_dual_mov_b32 v33, v21
	;; [unrolled: 1-line block ×3, first 2 shown]
	v_mov_b32_e32 v31, v19
	v_dual_mov_b32 v35, v59 :: v_dual_mov_b32 v34, v58
	v_dual_mov_b32 v73, v97 :: v_dual_mov_b32 v32, v20
	v_dual_mov_b32 v29, v17 :: v_dual_mov_b32 v30, v18
	v_dual_mov_b32 v27, v15 :: v_dual_mov_b32 v74, v98
	v_dual_mov_b32 v77, v101 :: v_dual_mov_b32 v76, v100
	v_dual_mov_b32 v79, v103 :: v_dual_mov_b32 v78, v102
	v_dual_mov_b32 v81, v105 :: v_dual_mov_b32 v80, v104
	v_dual_mov_b32 v83, v107 :: v_dual_mov_b32 v82, v106
	v_mov_b32_e32 v77, v64
	v_dual_mov_b32 v84, v108 :: v_dual_mov_b32 v79, v67
	v_dual_mov_b32 v120, v108 :: v_dual_mov_b32 v115, v103
	;; [unrolled: 1-line block ×19, first 2 shown]
	v_mov_b32_e32 v88, v16
	v_dual_mov_b32 v86, v14 :: v_dual_mov_b32 v65, v64
	v_dual_mov_b32 v16, v38 :: v_dual_mov_b32 v53, v52
	;; [unrolled: 1-line block ×3, first 2 shown]
.LBB231_113:
	s_or_b32 exec_lo, exec_lo, s2
	v_mov_b32_e32 v13, v6
	s_mov_b32 s2, exec_lo
	v_cmpx_lt_f32_e32 v16, v6
	s_cbranch_execz .LBB231_115
; %bb.114:
	v_dual_mov_b32 v89, v54 :: v_dual_mov_b32 v90, v53
	v_dual_mov_b32 v91, v55 :: v_dual_mov_b32 v92, v122
	;; [unrolled: 1-line block ×21, first 2 shown]
	v_mov_b32_e32 v13, v16
.LBB231_115:
	s_or_b32 exec_lo, exec_lo, s2
	s_delay_alu instid0(VALU_DEP_1)
	v_cmp_lt_f32_e32 vcc_lo, v13, v7
	v_dual_mov_b32 v14, v2 :: v_dual_mov_b32 v17, v5
	v_dual_mov_b32 v16, v4 :: v_dual_mov_b32 v21, v9
	v_dual_cndmask_b32 v37, v79, v78 :: v_dual_cndmask_b32 v78, v78, v79
	v_cndmask_b32_e32 v38, v31, v30, vcc_lo
	v_dual_cndmask_b32 v30, v30, v31 :: v_dual_cndmask_b32 v19, v7, v13
	v_dual_cndmask_b32 v18, v6, v7 :: v_dual_mov_b32 v15, v3
	v_dual_mov_b32 v13, v1 :: v_dual_mov_b32 v20, v8
	v_dual_mov_b32 v23, v11 :: v_dual_mov_b32 v22, v10
	v_mov_b32_e32 v24, v12
	s_mov_b32 s2, exec_lo
	v_cmpx_lt_f32_e32 v1, v2
	s_cbranch_execz .LBB231_117
; %bb.116:
	v_dual_mov_b32 v2, v14 :: v_dual_mov_b32 v3, v13
	v_dual_mov_b32 v12, v23 :: v_dual_mov_b32 v13, v24
	v_dual_mov_b32 v4, v15 :: v_dual_mov_b32 v5, v16
	v_dual_mov_b32 v6, v17 :: v_dual_mov_b32 v7, v18
	v_dual_mov_b32 v8, v19 :: v_dual_mov_b32 v9, v20
	v_dual_mov_b32 v10, v21 :: v_dual_mov_b32 v11, v22
	v_mov_b32_e32 v24, v13
	v_mov_b32_e32 v31, v73
	v_dual_mov_b32 v39, v25 :: v_dual_mov_b32 v18, v7
	v_swap_b32 v73, v74
	v_swap_b32 v25, v26
	v_dual_mov_b32 v23, v12 :: v_dual_mov_b32 v20, v9
	v_dual_mov_b32 v22, v11 :: v_dual_mov_b32 v21, v10
	;; [unrolled: 1-line block ×4, first 2 shown]
	v_mov_b32_e32 v15, v4
	v_dual_mov_b32 v13, v2 :: v_dual_mov_b32 v2, v1
.LBB231_117:
	s_or_b32 exec_lo, exec_lo, s2
	v_mov_b32_e32 v31, v38
	v_dual_mov_b32 v79, v37 :: v_dual_mov_b32 v50, v36
	v_dual_mov_b32 v51, v73 :: v_dual_mov_b32 v52, v74
	;; [unrolled: 1-line block ×24, first 2 shown]
	v_mov_b32_e32 v85, v25
	v_mov_b32_e32 v1, v15
	s_mov_b32 s2, exec_lo
	v_cmpx_lt_f32_e32 v2, v15
	s_cbranch_execz .LBB231_119
; %bb.118:
	v_dual_mov_b32 v96, v36 :: v_dual_mov_b32 v95, v35
	v_dual_mov_b32 v86, v26 :: v_dual_mov_b32 v85, v25
	;; [unrolled: 1-line block ×8, first 2 shown]
	v_mov_b32_e32 v105, v81
	v_dual_mov_b32 v43, v89 :: v_dual_mov_b32 v44, v90
	v_dual_mov_b32 v100, v76 :: v_dual_mov_b32 v97, v73
	;; [unrolled: 1-line block ×6, first 2 shown]
	v_mov_b32_e32 v98, v74
	v_dual_mov_b32 v98, v75 :: v_dual_mov_b32 v99, v74
	v_dual_mov_b32 v49, v95 :: v_dual_mov_b32 v50, v96
	;; [unrolled: 1-line block ×12, first 2 shown]
	v_mov_b32_e32 v40, v86
	v_dual_mov_b32 v42, v28 :: v_dual_mov_b32 v43, v29
	v_dual_mov_b32 v45, v38 :: v_dual_mov_b32 v46, v32
	;; [unrolled: 1-line block ×9, first 2 shown]
	v_mov_b32_e32 v75, v74
	v_mov_b32_e32 v27, v26
.LBB231_119:
	s_or_b32 exec_lo, exec_lo, s2
	v_mov_b32_e32 v2, v16
	s_mov_b32 s2, exec_lo
	v_cmpx_lt_f32_e32 v1, v16
	s_cbranch_execz .LBB231_121
; %bb.120:
	v_mov_b32_e32 v87, v28
	v_mov_b32_e32 v99, v76
	v_dual_mov_b32 v15, v16 :: v_dual_mov_b32 v16, v1
	v_dual_mov_b32 v39, v85 :: v_dual_mov_b32 v42, v88
	v_dual_mov_b32 v45, v91 :: v_dual_mov_b32 v48, v94
	v_dual_mov_b32 v48, v34 :: v_dual_mov_b32 v51, v97
	v_dual_mov_b32 v54, v100 :: v_dual_mov_b32 v41, v87
	v_dual_mov_b32 v44, v90 :: v_dual_mov_b32 v43, v89
	v_dual_mov_b32 v46, v92 :: v_dual_mov_b32 v47, v93
	v_dual_mov_b32 v50, v96 :: v_dual_mov_b32 v49, v95
	v_dual_mov_b32 v44, v30 :: v_dual_mov_b32 v53, v99
	v_dual_mov_b32 v56, v102 :: v_dual_mov_b32 v55, v101
	v_dual_mov_b32 v58, v104 :: v_dual_mov_b32 v57, v103
	v_dual_mov_b32 v60, v106 :: v_dual_mov_b32 v59, v105
	v_dual_mov_b32 v62, v108 :: v_dual_mov_b32 v61, v107
	v_mov_b32_e32 v56, v78
	v_mov_b32_e32 v40, v86
	v_dual_mov_b32 v42, v27 :: v_dual_mov_b32 v43, v29
	v_dual_mov_b32 v45, v38 :: v_dual_mov_b32 v46, v32
	;; [unrolled: 1-line block ×8, first 2 shown]
	v_mov_b32_e32 v2, v1
	v_mov_b32_e32 v76, v75
	;; [unrolled: 1-line block ×3, first 2 shown]
.LBB231_121:
	s_or_b32 exec_lo, exec_lo, s2
	v_mov_b32_e32 v1, v17
	s_mov_b32 s2, exec_lo
	v_cmpx_lt_f32_e32 v2, v17
	s_cbranch_execz .LBB231_123
; %bb.122:
	v_dual_mov_b32 v106, v82 :: v_dual_mov_b32 v107, v83
	v_dual_mov_b32 v88, v29 :: v_dual_mov_b32 v89, v28
	;; [unrolled: 1-line block ×8, first 2 shown]
	v_mov_b32_e32 v108, v84
	v_dual_mov_b32 v16, v17 :: v_dual_mov_b32 v17, v2
	v_dual_mov_b32 v96, v36 :: v_dual_mov_b32 v51, v97
	;; [unrolled: 1-line block ×14, first 2 shown]
.LBB231_123:
	s_or_b32 exec_lo, exec_lo, s2
	s_delay_alu instid0(VALU_DEP_1)
	v_cmp_lt_f32_e32 vcc_lo, v1, v18
	v_dual_mov_b32 v27, v13 :: v_dual_mov_b32 v34, v20
	v_dual_mov_b32 v29, v15 :: v_dual_mov_b32 v36, v22
	v_dual_cndmask_b32 v63, v56, v55 :: v_dual_cndmask_b32 v32, v18, v1
	v_dual_cndmask_b32 v55, v55, v56 :: v_dual_cndmask_b32 v64, v44, v43
	v_dual_cndmask_b32 v43, v43, v44 :: v_dual_mov_b32 v28, v14
	v_dual_cndmask_b32 v31, v17, v18 :: v_dual_mov_b32 v30, v16
	v_dual_mov_b32 v33, v19 :: v_dual_mov_b32 v38, v24
	v_mov_b32_e32 v35, v21
	v_mov_b32_e32 v37, v23
	s_mov_b32 s2, exec_lo
	v_cmpx_lt_f32_e32 v13, v14
	s_cbranch_execz .LBB231_125
; %bb.124:
	s_delay_alu instid0(VALU_DEP_2)
	v_dual_mov_b32 v11, v37 :: v_dual_mov_b32 v12, v38
	v_dual_mov_b32 v1, v28 :: v_dual_mov_b32 v2, v27
	;; [unrolled: 1-line block ×7, first 2 shown]
	s_delay_alu instid0(VALU_DEP_2)
	v_dual_mov_b32 v16, v39 :: v_dual_mov_b32 v35, v9
	v_swap_b32 v51, v52
	v_swap_b32 v39, v40
	v_dual_mov_b32 v37, v11 :: v_dual_mov_b32 v36, v10
	v_dual_mov_b32 v34, v8 :: v_dual_mov_b32 v33, v7
	;; [unrolled: 1-line block ×5, first 2 shown]
	v_mov_b32_e32 v14, v13
.LBB231_125:
	s_or_b32 exec_lo, exec_lo, s2
	v_mov_b32_e32 v44, v64
	v_mov_b32_e32 v56, v63
	;; [unrolled: 1-line block ×4, first 2 shown]
	v_dual_mov_b32 v15, v51 :: v_dual_mov_b32 v2, v40
	v_dual_mov_b32 v16, v52 :: v_dual_mov_b32 v17, v53
	v_dual_mov_b32 v18, v54 :: v_dual_mov_b32 v19, v55
	v_dual_mov_b32 v20, v56 :: v_dual_mov_b32 v21, v57
	v_dual_mov_b32 v22, v58 :: v_dual_mov_b32 v23, v59
	v_dual_mov_b32 v24, v60 :: v_dual_mov_b32 v25, v61
	v_dual_mov_b32 v26, v62 :: v_dual_mov_b32 v5, v43
	v_dual_mov_b32 v4, v42 :: v_dual_mov_b32 v7, v45
	v_dual_mov_b32 v6, v44 :: v_dual_mov_b32 v9, v47
	v_dual_mov_b32 v8, v46 :: v_dual_mov_b32 v11, v49
	v_dual_mov_b32 v10, v48 :: v_dual_mov_b32 v13, v29
	v_mov_b32_e32 v12, v50
	s_mov_b32 s2, exec_lo
	v_cmpx_lt_f32_e32 v14, v29
	s_cbranch_execz .LBB231_127
; %bb.126:
	v_dual_mov_b32 v1, v39 :: v_dual_mov_b32 v2, v40
	v_dual_mov_b32 v11, v49 :: v_dual_mov_b32 v12, v50
	;; [unrolled: 1-line block ×25, first 2 shown]
	v_mov_b32_e32 v41, v40
.LBB231_127:
	s_or_b32 exec_lo, exec_lo, s2
	v_mov_b32_e32 v39, v30
	s_mov_b32 s2, exec_lo
	v_cmpx_lt_f32_e32 v13, v30
	s_cbranch_execz .LBB231_129
; %bb.128:
	v_dual_mov_b32 v29, v30 :: v_dual_mov_b32 v30, v13
	v_dual_mov_b32 v3, v42 :: v_dual_mov_b32 v4, v41
	;; [unrolled: 1-line block ×11, first 2 shown]
	v_mov_b32_e32 v39, v13
.LBB231_129:
	s_or_b32 exec_lo, exec_lo, s2
	s_delay_alu instid0(VALU_DEP_1)
	v_cmp_lt_f32_e32 vcc_lo, v39, v31
	v_dual_mov_b32 v40, v28 :: v_dual_mov_b32 v45, v33
	v_dual_mov_b32 v44, v32 :: v_dual_mov_b32 v47, v35
	v_dual_cndmask_b32 v13, v19, v18 :: v_dual_cndmask_b32 v18, v18, v19
	v_dual_cndmask_b32 v14, v5, v4 :: v_dual_cndmask_b32 v43, v31, v39
	v_dual_cndmask_b32 v4, v4, v5 :: v_dual_mov_b32 v39, v27
	v_dual_cndmask_b32 v42, v30, v31 :: v_dual_mov_b32 v41, v29
	v_dual_mov_b32 v46, v34 :: v_dual_mov_b32 v49, v37
	v_mov_b32_e32 v48, v36
	v_mov_b32_e32 v50, v38
	s_mov_b32 s2, exec_lo
	v_cmpx_lt_f32_e32 v27, v28
	s_cbranch_execz .LBB231_131
; %bb.130:
	v_dual_mov_b32 v28, v40 :: v_dual_mov_b32 v29, v39
	v_dual_mov_b32 v38, v49 :: v_dual_mov_b32 v39, v50
	;; [unrolled: 1-line block ×7, first 2 shown]
	v_mov_b32_e32 v5, v15
	v_swap_b32 v15, v16
	s_delay_alu instid0(VALU_DEP_4)
	v_mov_b32_e32 v48, v37
	v_swap_b32 v1, v2
	v_dual_mov_b32 v49, v38 :: v_dual_mov_b32 v46, v35
	v_dual_mov_b32 v47, v36 :: v_dual_mov_b32 v44, v33
	;; [unrolled: 1-line block ×4, first 2 shown]
	v_mov_b32_e32 v41, v30
	v_dual_mov_b32 v39, v28 :: v_dual_mov_b32 v28, v27
.LBB231_131:
	s_or_b32 exec_lo, exec_lo, s2
	v_mov_b32_e32 v5, v14
	v_mov_b32_e32 v19, v13
	;; [unrolled: 1-line block ×3, first 2 shown]
	s_mov_b32 s2, exec_lo
	v_cmpx_lt_f32_e32 v28, v41
	s_cbranch_execz .LBB231_133
; %bb.132:
	v_dual_mov_b32 v74, v26 :: v_dual_mov_b32 v73, v25
	v_dual_mov_b32 v62, v12 :: v_dual_mov_b32 v61, v11
	;; [unrolled: 1-line block ×22, first 2 shown]
	v_mov_b32_e32 v74, v26
	v_dual_mov_b32 v40, v41 :: v_dual_mov_b32 v41, v28
	v_dual_mov_b32 v62, v12 :: v_dual_mov_b32 v15, v63
	v_dual_mov_b32 v24, v72 :: v_dual_mov_b32 v1, v51
	v_dual_mov_b32 v16, v64 :: v_dual_mov_b32 v17, v65
	v_dual_mov_b32 v18, v66 :: v_dual_mov_b32 v21, v69
	v_dual_mov_b32 v19, v67 :: v_dual_mov_b32 v20, v68
	v_dual_mov_b32 v23, v71 :: v_dual_mov_b32 v22, v70
	v_dual_mov_b32 v25, v73 :: v_dual_mov_b32 v26, v74
	v_dual_mov_b32 v3, v53 :: v_dual_mov_b32 v2, v52
	v_dual_mov_b32 v5, v55 :: v_dual_mov_b32 v4, v54
	v_dual_mov_b32 v7, v57 :: v_dual_mov_b32 v6, v56
	v_dual_mov_b32 v9, v59 :: v_dual_mov_b32 v8, v58
	v_dual_mov_b32 v11, v61 :: v_dual_mov_b32 v10, v60
	v_dual_mov_b32 v12, v62 :: v_dual_mov_b32 v27, v28
.LBB231_133:
	s_or_b32 exec_lo, exec_lo, s2
	s_delay_alu instid0(VALU_DEP_1)
	v_cmp_lt_f32_e32 vcc_lo, v27, v42
	v_dual_mov_b32 v29, v24 :: v_dual_mov_b32 v32, v5
	v_dual_mov_b32 v31, v26 :: v_dual_mov_b32 v34, v7
	v_dual_cndmask_b32 v13, v18, v17 :: v_dual_cndmask_b32 v14, v4, v3
	v_cndmask_b32_e32 v51, v17, v18, vcc_lo
	v_dual_cndmask_b32 v59, v3, v4 :: v_dual_cndmask_b32 v60, v41, v42
	v_dual_cndmask_b32 v3, v42, v27 :: v_dual_mov_b32 v18, v21
	v_cmp_lt_f32_e32 vcc_lo, v39, v40
	v_dual_mov_b32 v4, v19 :: v_dual_mov_b32 v17, v20
	v_dual_mov_b32 v28, v23 :: v_dual_mov_b32 v27, v22
	;; [unrolled: 1-line block ×7, first 2 shown]
	v_mov_b32_e32 v58, v50
	v_dual_mov_b32 v52, v44 :: v_dual_mov_b32 v53, v45
	v_dual_mov_b32 v55, v47 :: v_dual_mov_b32 v56, v48
	v_mov_b32_e32 v57, v49
	s_and_saveexec_b32 s2, vcc_lo
	s_cbranch_execz .LBB231_135
; %bb.134:
	v_dual_mov_b32 v42, v40 :: v_dual_mov_b32 v27, v22
	v_dual_mov_b32 v4, v15 :: v_dual_mov_b32 v17, v20
	v_dual_mov_b32 v32, v1 :: v_dual_mov_b32 v61, v39
	v_swap_b32 v15, v16
	v_swap_b32 v1, v2
	v_dual_mov_b32 v40, v39 :: v_dual_mov_b32 v29, v24
	v_dual_mov_b32 v4, v19 :: v_dual_mov_b32 v31, v26
	v_dual_mov_b32 v18, v21 :: v_dual_mov_b32 v33, v6
	v_dual_mov_b32 v28, v23 :: v_dual_mov_b32 v35, v8
	v_dual_mov_b32 v30, v25 :: v_dual_mov_b32 v37, v10
	v_dual_mov_b32 v32, v5 :: v_dual_mov_b32 v41, v12
	v_dual_mov_b32 v34, v7 :: v_dual_mov_b32 v39, v42
	v_dual_mov_b32 v36, v9 :: v_dual_mov_b32 v55, v47
	v_dual_mov_b32 v38, v11 :: v_dual_mov_b32 v53, v45
	v_dual_mov_b32 v42, v43 :: v_dual_mov_b32 v57, v49
	v_mov_b32_e32 v52, v44
	v_mov_b32_e32 v54, v46
	;; [unrolled: 1-line block ×4, first 2 shown]
.LBB231_135:
	s_or_b32 exec_lo, exec_lo, s2
	s_clause 0x1
	s_load_b32 s8, s[0:1], 0x28
	s_load_b128 s[4:7], s[0:1], 0x10
	v_mov_b32_e32 v6, 0
	s_waitcnt lgkmcnt(0)
	s_cmp_lt_i32 s8, 1
	s_cbranch_scc1 .LBB231_141
; %bb.136:
	v_cmp_lt_f32_e32 vcc_lo, v40, v60
	v_mov_b32_e32 v7, 0
	s_mov_b32 s9, 0x76543210
	s_mov_b32 s10, s8
	v_mov_b32_e32 v6, 0
	v_cndmask_b32_e32 v8, v60, v40, vcc_lo
	v_cndmask_b32_e32 v19, v61, v60, vcc_lo
	v_dual_cndmask_b32 v5, v59, v2 :: v_dual_cndmask_b32 v2, v2, v59
	v_dual_cndmask_b32 v9, v51, v16 :: v_dual_cndmask_b32 v20, v16, v51
	s_delay_alu instid0(VALU_DEP_3) | instskip(NEXT) | instid1(VALU_DEP_1)
	v_cmp_lt_f32_e64 s2, v39, v19
	v_cndmask_b32_e64 v10, v2, v1, s2
	v_cndmask_b32_e64 v11, v1, v2, s2
	;; [unrolled: 1-line block ×6, first 2 shown]
	v_dual_mov_b32 v20, v0 :: v_dual_mov_b32 v1, 0
	v_mov_b32_e32 v2, 0
.LBB231_137:                            ; =>This Inner Loop Header: Depth=1
	v_cmp_eq_u32_e32 vcc_lo, 1, v7
	v_cmp_eq_u32_e64 s2, 2, v7
	v_dual_cndmask_b32 v21, v16, v12 :: v_dual_cndmask_b32 v22, v11, v10
	s_delay_alu instid0(VALU_DEP_1) | instskip(NEXT) | instid1(VALU_DEP_2)
	v_cndmask_b32_e64 v21, v21, v8, s2
	v_cndmask_b32_e64 v22, v22, v5, s2
	v_cndmask_b32_e32 v23, v15, v19, vcc_lo
	v_cmp_eq_u32_e32 vcc_lo, 3, v7
	s_delay_alu instid0(VALU_DEP_3) | instskip(NEXT) | instid1(VALU_DEP_3)
	v_cndmask_b32_e32 v22, v22, v14, vcc_lo
	v_cndmask_b32_e64 v23, v23, v9, s2
	v_cmp_eq_u32_e64 s2, 4, v7
	s_delay_alu instid0(VALU_DEP_2) | instskip(NEXT) | instid1(VALU_DEP_2)
	v_cndmask_b32_e32 v23, v23, v13, vcc_lo
	v_cndmask_b32_e64 v22, v22, v32, s2
	v_cndmask_b32_e32 v21, v21, v3, vcc_lo
	v_cmp_eq_u32_e32 vcc_lo, 5, v7
	s_delay_alu instid0(VALU_DEP_4) | instskip(NEXT) | instid1(VALU_DEP_4)
	v_cndmask_b32_e64 v23, v23, v4, s2
	v_cndmask_b32_e32 v22, v22, v33, vcc_lo
	s_delay_alu instid0(VALU_DEP_4) | instskip(SKIP_1) | instid1(VALU_DEP_4)
	v_cndmask_b32_e64 v21, v21, v42, s2
	v_cmp_eq_u32_e64 s2, 6, v7
	v_cndmask_b32_e32 v23, v23, v17, vcc_lo
	s_delay_alu instid0(VALU_DEP_3) | instskip(SKIP_1) | instid1(VALU_DEP_4)
	v_cndmask_b32_e32 v21, v21, v52, vcc_lo
	v_cmp_eq_u32_e32 vcc_lo, 7, v7
	v_cndmask_b32_e64 v22, v22, v34, s2
	s_delay_alu instid0(VALU_DEP_4) | instskip(NEXT) | instid1(VALU_DEP_4)
	v_cndmask_b32_e64 v23, v23, v18, s2
	v_cndmask_b32_e64 v21, v21, v53, s2
	v_cmp_eq_u32_e64 s2, 8, v7
	s_delay_alu instid0(VALU_DEP_4) | instskip(NEXT) | instid1(VALU_DEP_4)
	v_cndmask_b32_e32 v22, v22, v35, vcc_lo
	v_cndmask_b32_e32 v23, v23, v27, vcc_lo
	s_delay_alu instid0(VALU_DEP_4) | instskip(SKIP_1) | instid1(VALU_DEP_4)
	v_cndmask_b32_e32 v21, v21, v54, vcc_lo
	v_cmp_eq_u32_e32 vcc_lo, 9, v7
	v_cndmask_b32_e64 v22, v22, v36, s2
	s_delay_alu instid0(VALU_DEP_4) | instskip(NEXT) | instid1(VALU_DEP_4)
	v_cndmask_b32_e64 v23, v23, v28, s2
	v_cndmask_b32_e64 v21, v21, v55, s2
	v_cmp_eq_u32_e64 s2, 10, v7
	s_delay_alu instid0(VALU_DEP_4) | instskip(NEXT) | instid1(VALU_DEP_4)
	v_cndmask_b32_e32 v22, v22, v37, vcc_lo
	v_cndmask_b32_e32 v23, v23, v29, vcc_lo
	s_delay_alu instid0(VALU_DEP_4) | instskip(SKIP_1) | instid1(VALU_DEP_4)
	v_cndmask_b32_e32 v21, v21, v56, vcc_lo
	v_cmp_eq_u32_e32 vcc_lo, 11, v7
	v_cndmask_b32_e64 v22, v22, v38, s2
	s_delay_alu instid0(VALU_DEP_4) | instskip(NEXT) | instid1(VALU_DEP_4)
	v_cndmask_b32_e64 v23, v23, v30, s2
	v_cndmask_b32_e64 v21, v21, v57, s2
	v_cmp_gt_u32_e64 s2, 12, v7
	s_delay_alu instid0(VALU_DEP_2) | instskip(NEXT) | instid1(VALU_DEP_1)
	v_dual_cndmask_b32 v22, v22, v41 :: v_dual_cndmask_b32 v21, v21, v58
	v_cndmask_b32_e64 v24, 0, v22, s2
	s_delay_alu instid0(VALU_DEP_2)
	v_cndmask_b32_e64 v21, 0xff800000, v21, s2
	;;#ASMSTART
	v_max_f32 v25, v21, v21 quad_perm:[1,0,3,2] row_mask:0xf bank_mask:0xf bound_ctrl:1
	;;#ASMEND
	;;#ASMSTART
	v_max_f32 v26, v25, v25 quad_perm:[2,3,0,1] row_mask:0xf bank_mask:0xf bound_ctrl:1
	;;#ASMEND
	;;#ASMSTART
	v_max_f32 v25, v26, v26 row_half_mirror row_mask:0xf bank_mask:0xf bound_ctrl:1
	;;#ASMEND
	;;#ASMSTART
	v_max_f32 v26, v25, v25 row_mirror row_mask:0xf bank_mask:0xf bound_ctrl:1
	;;#ASMEND
	v_permlanex16_b32 v25, v26, s9, 0xfedcba98 op_sel:[1,1]
	s_delay_alu instid0(VALU_DEP_1) | instskip(NEXT) | instid1(VALU_DEP_1)
	v_dual_max_f32 v26, v26, v26 :: v_dual_max_f32 v25, v25, v25
	v_max_f32_e32 v25, v26, v25
	s_delay_alu instid0(VALU_DEP_1) | instskip(SKIP_1) | instid1(VALU_DEP_2)
	v_cmp_eq_f32_e64 s3, v21, v25
	v_cndmask_b32_e32 v21, v23, v31, vcc_lo
	s_ctz_i32_b32 s11, s3
	s_cmp_lg_u32 s3, 0
	s_cselect_b32 s3, s11, 0
	s_add_i32 s10, s10, -1
	v_readlane_b32 s3, v24, s3
	s_delay_alu instid0(VALU_DEP_1)
	v_cmp_eq_u32_e32 vcc_lo, s3, v22
	s_and_b32 vcc_lo, s2, vcc_lo
	s_and_b32 s2, s3, 31
	v_cndmask_b32_e32 v21, 0, v21, vcc_lo
	v_add_co_ci_u32_e32 v7, vcc_lo, 0, v7, vcc_lo
	s_cmp_eq_u32 s10, 0
	s_delay_alu instid0(VALU_DEP_2) | instskip(SKIP_2) | instid1(VALU_DEP_3)
	v_readlane_b32 s11, v21, s2
	v_cmp_eq_u32_e64 s2, 0, v20
	v_add_nc_u32_e32 v20, -1, v20
	v_add_f32_e32 v6, s11, v6
	s_delay_alu instid0(VALU_DEP_3)
	v_cndmask_b32_e64 v2, v2, s11, s2
	v_cndmask_b32_e64 v1, v1, s3, s2
	s_cbranch_scc0 .LBB231_137
; %bb.138:
	s_mov_b32 s2, exec_lo
	v_cmpx_gt_i32_e64 s8, v0
	s_cbranch_execz .LBB231_140
.LBB231_139:
	s_load_b32 s2, s[0:1], 0x30
	v_max_f32_e32 v0, v6, v6
	s_load_b64 s[0:1], s[0:1], 0x20
	s_ashr_i32 s3, s15, 31
	s_delay_alu instid0(VALU_DEP_1) | instskip(SKIP_1) | instid1(VALU_DEP_1)
	v_max_f32_e32 v0, 0x1e3ce508, v0
	s_waitcnt lgkmcnt(0)
	v_div_scale_f32 v3, null, v0, v0, s2
	v_div_scale_f32 v6, vcc_lo, s2, v0, s2
	s_mul_i32 s1, s15, s1
	s_delay_alu instid0(VALU_DEP_2)
	v_rcp_f32_e32 v4, v3
	s_mul_hi_u32 s8, s15, s0
	s_mul_i32 s3, s3, s0
	s_add_i32 s1, s8, s1
	s_mul_i32 s0, s15, s0
	s_add_i32 s1, s1, s3
	s_delay_alu instid0(SALU_CYCLE_1) | instskip(SKIP_2) | instid1(VALU_DEP_1)
	s_lshl_b64 s[0:1], s[0:1], 2
	s_waitcnt_depctr 0xfff
	v_fma_f32 v5, -v3, v4, 1.0
	v_fmac_f32_e32 v4, v5, v4
	s_delay_alu instid0(VALU_DEP_1) | instskip(NEXT) | instid1(VALU_DEP_1)
	v_mul_f32_e32 v5, v6, v4
	v_fma_f32 v7, -v3, v5, v6
	s_delay_alu instid0(VALU_DEP_1) | instskip(NEXT) | instid1(VALU_DEP_1)
	v_fmac_f32_e32 v5, v7, v4
	v_fma_f32 v3, -v3, v5, v6
	s_delay_alu instid0(VALU_DEP_1) | instskip(NEXT) | instid1(VALU_DEP_1)
	v_div_fmas_f32 v3, v3, v4, v5
	v_div_fixup_f32 v0, v3, v0, s2
	s_add_u32 s2, s4, s0
	s_addc_u32 s3, s5, s1
	s_add_u32 s0, s6, s0
	s_addc_u32 s1, s7, s1
	v_mul_f32_e32 v0, v2, v0
	s_clause 0x1
	global_store_b32 v183, v0, s[2:3]
	global_store_b32 v183, v1, s[0:1]
.LBB231_140:
	s_endpgm
.LBB231_141:
	v_dual_mov_b32 v1, 0 :: v_dual_mov_b32 v2, 0
	s_mov_b32 s2, exec_lo
	v_cmpx_gt_i32_e64 s8, v0
	s_cbranch_execnz .LBB231_139
	s_branch .LBB231_140
	.section	.rodata,"a",@progbits
	.p2align	6, 0x0
	.amdhsa_kernel _ZN5aiter24topk_softplus_kernel_optI12hip_bfloat16fLi384ELb1ELi0EEEvPKT_PKT0_PfPimiif
		.amdhsa_group_segment_fixed_size 0
		.amdhsa_private_segment_fixed_size 196
		.amdhsa_kernarg_size 52
		.amdhsa_user_sgpr_count 15
		.amdhsa_user_sgpr_dispatch_ptr 0
		.amdhsa_user_sgpr_queue_ptr 0
		.amdhsa_user_sgpr_kernarg_segment_ptr 1
		.amdhsa_user_sgpr_dispatch_id 0
		.amdhsa_user_sgpr_private_segment_size 0
		.amdhsa_wavefront_size32 1
		.amdhsa_uses_dynamic_stack 0
		.amdhsa_enable_private_segment 1
		.amdhsa_system_sgpr_workgroup_id_x 1
		.amdhsa_system_sgpr_workgroup_id_y 0
		.amdhsa_system_sgpr_workgroup_id_z 0
		.amdhsa_system_sgpr_workgroup_info 0
		.amdhsa_system_vgpr_workitem_id 0
		.amdhsa_next_free_vgpr 184
		.amdhsa_next_free_sgpr 16
		.amdhsa_reserve_vcc 1
		.amdhsa_float_round_mode_32 0
		.amdhsa_float_round_mode_16_64 0
		.amdhsa_float_denorm_mode_32 3
		.amdhsa_float_denorm_mode_16_64 3
		.amdhsa_dx10_clamp 1
		.amdhsa_ieee_mode 1
		.amdhsa_fp16_overflow 0
		.amdhsa_workgroup_processor_mode 1
		.amdhsa_memory_ordered 1
		.amdhsa_forward_progress 0
		.amdhsa_shared_vgpr_count 0
		.amdhsa_exception_fp_ieee_invalid_op 0
		.amdhsa_exception_fp_denorm_src 0
		.amdhsa_exception_fp_ieee_div_zero 0
		.amdhsa_exception_fp_ieee_overflow 0
		.amdhsa_exception_fp_ieee_underflow 0
		.amdhsa_exception_fp_ieee_inexact 0
		.amdhsa_exception_int_div_zero 0
	.end_amdhsa_kernel
	.section	.text._ZN5aiter24topk_softplus_kernel_optI12hip_bfloat16fLi384ELb1ELi0EEEvPKT_PKT0_PfPimiif,"axG",@progbits,_ZN5aiter24topk_softplus_kernel_optI12hip_bfloat16fLi384ELb1ELi0EEEvPKT_PKT0_PfPimiif,comdat
.Lfunc_end231:
	.size	_ZN5aiter24topk_softplus_kernel_optI12hip_bfloat16fLi384ELb1ELi0EEEvPKT_PKT0_PfPimiif, .Lfunc_end231-_ZN5aiter24topk_softplus_kernel_optI12hip_bfloat16fLi384ELb1ELi0EEEvPKT_PKT0_PfPimiif
                                        ; -- End function
	.section	.AMDGPU.csdata,"",@progbits
; Kernel info:
; codeLenInByte = 30464
; NumSgprs: 18
; NumVgprs: 184
; ScratchSize: 196
; MemoryBound: 0
; FloatMode: 240
; IeeeMode: 1
; LDSByteSize: 0 bytes/workgroup (compile time only)
; SGPRBlocks: 2
; VGPRBlocks: 22
; NumSGPRsForWavesPerEU: 18
; NumVGPRsForWavesPerEU: 184
; Occupancy: 8
; WaveLimiterHint : 0
; COMPUTE_PGM_RSRC2:SCRATCH_EN: 1
; COMPUTE_PGM_RSRC2:USER_SGPR: 15
; COMPUTE_PGM_RSRC2:TRAP_HANDLER: 0
; COMPUTE_PGM_RSRC2:TGID_X_EN: 1
; COMPUTE_PGM_RSRC2:TGID_Y_EN: 0
; COMPUTE_PGM_RSRC2:TGID_Z_EN: 0
; COMPUTE_PGM_RSRC2:TIDIG_COMP_CNT: 0
	.section	.text._ZN5aiter24topk_softplus_kernel_optI12hip_bfloat16fLi384ELb0ELi0EEEvPKT_PKT0_PfPimiif,"axG",@progbits,_ZN5aiter24topk_softplus_kernel_optI12hip_bfloat16fLi384ELb0ELi0EEEvPKT_PKT0_PfPimiif,comdat
	.protected	_ZN5aiter24topk_softplus_kernel_optI12hip_bfloat16fLi384ELb0ELi0EEEvPKT_PKT0_PfPimiif ; -- Begin function _ZN5aiter24topk_softplus_kernel_optI12hip_bfloat16fLi384ELb0ELi0EEEvPKT_PKT0_PfPimiif
	.globl	_ZN5aiter24topk_softplus_kernel_optI12hip_bfloat16fLi384ELb0ELi0EEEvPKT_PKT0_PfPimiif
	.p2align	8
	.type	_ZN5aiter24topk_softplus_kernel_optI12hip_bfloat16fLi384ELb0ELi0EEEvPKT_PKT0_PfPimiif,@function
_ZN5aiter24topk_softplus_kernel_optI12hip_bfloat16fLi384ELb0ELi0EEEvPKT_PKT0_PfPimiif: ; @_ZN5aiter24topk_softplus_kernel_optI12hip_bfloat16fLi384ELb0ELi0EEEvPKT_PKT0_PfPimiif
; %bb.0:
	s_load_b128 s[4:7], s[0:1], 0x0
	s_mul_i32 s2, s15, 0x180
	v_lshlrev_b32_e32 v1, 1, v0
	s_ashr_i32 s3, s2, 31
	v_lshlrev_b32_e32 v183, 2, v0
	s_lshl_b64 s[2:3], s[2:3], 1
	s_waitcnt lgkmcnt(0)
	s_add_u32 s4, s4, s2
	s_addc_u32 s5, s5, s3
	s_cmp_lg_u64 s[6:7], 0
	global_load_u16 v2, v1, s[4:5]
	s_cselect_b32 s3, -1, 0
	s_waitcnt vmcnt(0)
	v_lshlrev_b32_e32 v2, 16, v2
	s_delay_alu instid0(VALU_DEP_1) | instskip(NEXT) | instid1(VALU_DEP_1)
	v_mul_f32_e32 v3, 0x3fb8aa3b, v2
	v_cmp_gt_f32_e32 vcc_lo, 0xc2fc0000, v3
	v_cndmask_b32_e64 v3, 0, 0x42800000, vcc_lo
	v_cndmask_b32_e64 v4, 1.0, 0x1f800000, vcc_lo
	s_delay_alu instid0(VALU_DEP_2) | instskip(NEXT) | instid1(VALU_DEP_1)
	v_fmac_f32_e32 v3, 0x3fb8aa3b, v2
	v_exp_f32_e32 v3, v3
	s_waitcnt_depctr 0xfff
	v_fma_f32 v3, v3, v4, 1.0
	s_delay_alu instid0(VALU_DEP_1) | instskip(SKIP_1) | instid1(VALU_DEP_1)
	v_cmp_gt_f32_e32 vcc_lo, 0x800000, v3
	v_cndmask_b32_e64 v4, 1.0, 0x4f800000, vcc_lo
	v_mul_f32_e32 v3, v3, v4
	v_cndmask_b32_e64 v4, 0, 0x42000000, vcc_lo
	v_cmp_lt_f32_e32 vcc_lo, 0x41a00000, v2
	s_delay_alu instid0(VALU_DEP_3) | instskip(SKIP_2) | instid1(VALU_DEP_1)
	v_log_f32_e32 v3, v3
	s_waitcnt_depctr 0xfff
	v_sub_f32_e32 v3, v3, v4
	v_mul_f32_e32 v3, 0x3f317218, v3
	s_delay_alu instid0(VALU_DEP_1) | instskip(NEXT) | instid1(VALU_DEP_1)
	v_cndmask_b32_e32 v2, v3, v2, vcc_lo
	v_mul_f32_e32 v3, 0x4f800000, v2
	v_cmp_gt_f32_e32 vcc_lo, 0xf800000, v2
	s_delay_alu instid0(VALU_DEP_2) | instskip(NEXT) | instid1(VALU_DEP_1)
	v_cndmask_b32_e32 v2, v2, v3, vcc_lo
	v_sqrt_f32_e32 v3, v2
	s_waitcnt_depctr 0xfff
	v_add_nc_u32_e32 v4, -1, v3
	v_add_nc_u32_e32 v5, 1, v3
	s_delay_alu instid0(VALU_DEP_2) | instskip(NEXT) | instid1(VALU_DEP_2)
	v_fma_f32 v6, -v4, v3, v2
	v_fma_f32 v7, -v5, v3, v2
	s_delay_alu instid0(VALU_DEP_2) | instskip(NEXT) | instid1(VALU_DEP_1)
	v_cmp_ge_f32_e64 s2, 0, v6
	v_cndmask_b32_e64 v3, v3, v4, s2
	s_delay_alu instid0(VALU_DEP_3) | instskip(NEXT) | instid1(VALU_DEP_1)
	v_cmp_lt_f32_e64 s2, 0, v7
	v_cndmask_b32_e64 v3, v3, v5, s2
	v_add_co_u32 v12, s2, s4, v1
	s_delay_alu instid0(VALU_DEP_1) | instskip(NEXT) | instid1(VALU_DEP_3)
	v_add_co_ci_u32_e64 v13, null, s5, 0, s2
	v_mul_f32_e32 v4, 0x37800000, v3
	s_delay_alu instid0(VALU_DEP_1) | instskip(SKIP_1) | instid1(VALU_DEP_2)
	v_cndmask_b32_e32 v3, v3, v4, vcc_lo
	v_cmp_class_f32_e64 vcc_lo, v2, 0x260
	v_cndmask_b32_e32 v49, v3, v2, vcc_lo
	s_and_b32 vcc_lo, exec_lo, s3
	s_delay_alu instid0(VALU_DEP_1)
	v_mov_b32_e32 v37, v49
	s_cbranch_vccz .LBB232_2
; %bb.1:
	global_load_b32 v1, v183, s[6:7]
	s_waitcnt vmcnt(0)
	v_add_f32_e32 v37, v49, v1
.LBB232_2:
	global_load_u16 v1, v[12:13], off offset:64
	s_waitcnt vmcnt(0)
	v_lshlrev_b32_e32 v1, 16, v1
	s_delay_alu instid0(VALU_DEP_1) | instskip(NEXT) | instid1(VALU_DEP_1)
	v_mul_f32_e32 v2, 0x3fb8aa3b, v1
	v_cmp_gt_f32_e32 vcc_lo, 0xc2fc0000, v2
	v_cndmask_b32_e64 v2, 0, 0x42800000, vcc_lo
	v_cndmask_b32_e64 v3, 1.0, 0x1f800000, vcc_lo
	s_delay_alu instid0(VALU_DEP_2) | instskip(NEXT) | instid1(VALU_DEP_1)
	v_fmac_f32_e32 v2, 0x3fb8aa3b, v1
	v_exp_f32_e32 v2, v2
	s_waitcnt_depctr 0xfff
	v_fma_f32 v2, v2, v3, 1.0
	s_delay_alu instid0(VALU_DEP_1) | instskip(SKIP_1) | instid1(VALU_DEP_1)
	v_cmp_gt_f32_e32 vcc_lo, 0x800000, v2
	v_cndmask_b32_e64 v3, 1.0, 0x4f800000, vcc_lo
	v_mul_f32_e32 v2, v2, v3
	v_cndmask_b32_e64 v3, 0, 0x42000000, vcc_lo
	v_cmp_lt_f32_e32 vcc_lo, 0x41a00000, v1
	s_delay_alu instid0(VALU_DEP_3) | instskip(SKIP_2) | instid1(VALU_DEP_1)
	v_log_f32_e32 v2, v2
	s_waitcnt_depctr 0xfff
	v_sub_f32_e32 v2, v2, v3
	v_mul_f32_e32 v2, 0x3f317218, v2
	s_delay_alu instid0(VALU_DEP_1) | instskip(NEXT) | instid1(VALU_DEP_1)
	v_cndmask_b32_e32 v1, v2, v1, vcc_lo
	v_mul_f32_e32 v2, 0x4f800000, v1
	v_cmp_gt_f32_e32 vcc_lo, 0xf800000, v1
	s_delay_alu instid0(VALU_DEP_2) | instskip(NEXT) | instid1(VALU_DEP_1)
	v_cndmask_b32_e32 v2, v1, v2, vcc_lo
	v_sqrt_f32_e32 v1, v2
	s_waitcnt_depctr 0xfff
	v_add_nc_u32_e32 v3, -1, v1
	v_add_nc_u32_e32 v4, 1, v1
	s_delay_alu instid0(VALU_DEP_2) | instskip(NEXT) | instid1(VALU_DEP_2)
	v_fma_f32 v5, -v3, v1, v2
	v_fma_f32 v6, -v4, v1, v2
	s_delay_alu instid0(VALU_DEP_2) | instskip(NEXT) | instid1(VALU_DEP_1)
	v_cmp_ge_f32_e64 s2, 0, v5
	v_cndmask_b32_e64 v1, v1, v3, s2
	s_delay_alu instid0(VALU_DEP_3) | instskip(NEXT) | instid1(VALU_DEP_1)
	v_cmp_lt_f32_e64 s2, 0, v6
	v_cndmask_b32_e64 v1, v1, v4, s2
	s_delay_alu instid0(VALU_DEP_1) | instskip(NEXT) | instid1(VALU_DEP_1)
	v_mul_f32_e32 v3, 0x37800000, v1
	v_cndmask_b32_e32 v3, v1, v3, vcc_lo
	v_cmp_class_f32_e64 vcc_lo, v2, 0x260
	v_cndmask_b32_e64 v1, 0, 1, s3
	s_delay_alu instid0(VALU_DEP_3) | instskip(SKIP_1) | instid1(VALU_DEP_1)
	v_cndmask_b32_e32 v2, v3, v2, vcc_lo
	s_and_not1_b32 vcc_lo, exec_lo, s3
	v_mov_b32_e32 v38, v2
	s_cbranch_vccnz .LBB232_4
; %bb.3:
	global_load_b32 v3, v183, s[6:7] offset:128
	s_waitcnt vmcnt(0)
	v_add_f32_e32 v38, v2, v3
.LBB232_4:
	global_load_u16 v3, v[12:13], off offset:128
	s_waitcnt vmcnt(0)
	v_lshlrev_b32_e32 v3, 16, v3
	s_delay_alu instid0(VALU_DEP_1) | instskip(NEXT) | instid1(VALU_DEP_1)
	v_mul_f32_e32 v4, 0x3fb8aa3b, v3
	v_cmp_gt_f32_e32 vcc_lo, 0xc2fc0000, v4
	v_cndmask_b32_e64 v4, 0, 0x42800000, vcc_lo
	v_cndmask_b32_e64 v5, 1.0, 0x1f800000, vcc_lo
	s_delay_alu instid0(VALU_DEP_2) | instskip(NEXT) | instid1(VALU_DEP_1)
	v_fmac_f32_e32 v4, 0x3fb8aa3b, v3
	v_exp_f32_e32 v4, v4
	s_waitcnt_depctr 0xfff
	v_fma_f32 v4, v4, v5, 1.0
	s_delay_alu instid0(VALU_DEP_1) | instskip(SKIP_1) | instid1(VALU_DEP_1)
	v_cmp_gt_f32_e32 vcc_lo, 0x800000, v4
	v_cndmask_b32_e64 v5, 1.0, 0x4f800000, vcc_lo
	v_mul_f32_e32 v4, v4, v5
	v_cndmask_b32_e64 v5, 0, 0x42000000, vcc_lo
	v_cmp_lt_f32_e32 vcc_lo, 0x41a00000, v3
	s_delay_alu instid0(VALU_DEP_3) | instskip(SKIP_2) | instid1(VALU_DEP_1)
	v_log_f32_e32 v4, v4
	s_waitcnt_depctr 0xfff
	v_sub_f32_e32 v4, v4, v5
	v_mul_f32_e32 v4, 0x3f317218, v4
	s_delay_alu instid0(VALU_DEP_1) | instskip(NEXT) | instid1(VALU_DEP_1)
	v_cndmask_b32_e32 v3, v4, v3, vcc_lo
	v_mul_f32_e32 v4, 0x4f800000, v3
	v_cmp_gt_f32_e32 vcc_lo, 0xf800000, v3
	s_delay_alu instid0(VALU_DEP_2) | instskip(NEXT) | instid1(VALU_DEP_1)
	v_cndmask_b32_e32 v3, v3, v4, vcc_lo
	v_sqrt_f32_e32 v4, v3
	s_waitcnt_depctr 0xfff
	v_add_nc_u32_e32 v5, -1, v4
	v_add_nc_u32_e32 v6, 1, v4
	s_delay_alu instid0(VALU_DEP_2) | instskip(NEXT) | instid1(VALU_DEP_2)
	v_fma_f32 v7, -v5, v4, v3
	v_fma_f32 v8, -v6, v4, v3
	s_delay_alu instid0(VALU_DEP_2) | instskip(NEXT) | instid1(VALU_DEP_1)
	v_cmp_ge_f32_e64 s2, 0, v7
	v_cndmask_b32_e64 v4, v4, v5, s2
	s_delay_alu instid0(VALU_DEP_3) | instskip(NEXT) | instid1(VALU_DEP_1)
	v_cmp_lt_f32_e64 s2, 0, v8
	v_cndmask_b32_e64 v4, v4, v6, s2
	s_delay_alu instid0(VALU_DEP_1) | instskip(NEXT) | instid1(VALU_DEP_1)
	v_mul_f32_e32 v5, 0x37800000, v4
	v_cndmask_b32_e32 v4, v4, v5, vcc_lo
	v_cmp_class_f32_e64 vcc_lo, v3, 0x260
	s_delay_alu instid0(VALU_DEP_2) | instskip(SKIP_1) | instid1(VALU_DEP_2)
	v_cndmask_b32_e32 v3, v4, v3, vcc_lo
	v_cmp_ne_u32_e32 vcc_lo, 1, v1
	v_mov_b32_e32 v39, v3
	s_cbranch_vccnz .LBB232_6
; %bb.5:
	global_load_b32 v4, v183, s[6:7] offset:256
	s_waitcnt vmcnt(0)
	v_add_f32_e32 v39, v3, v4
.LBB232_6:
	global_load_u16 v4, v[12:13], off offset:192
	s_waitcnt vmcnt(0)
	v_lshlrev_b32_e32 v4, 16, v4
	s_delay_alu instid0(VALU_DEP_1) | instskip(NEXT) | instid1(VALU_DEP_1)
	v_mul_f32_e32 v5, 0x3fb8aa3b, v4
	v_cmp_gt_f32_e32 vcc_lo, 0xc2fc0000, v5
	v_cndmask_b32_e64 v5, 0, 0x42800000, vcc_lo
	v_cndmask_b32_e64 v6, 1.0, 0x1f800000, vcc_lo
	s_delay_alu instid0(VALU_DEP_2) | instskip(NEXT) | instid1(VALU_DEP_1)
	v_fmac_f32_e32 v5, 0x3fb8aa3b, v4
	v_exp_f32_e32 v5, v5
	s_waitcnt_depctr 0xfff
	v_fma_f32 v5, v5, v6, 1.0
	s_delay_alu instid0(VALU_DEP_1) | instskip(SKIP_1) | instid1(VALU_DEP_1)
	v_cmp_gt_f32_e32 vcc_lo, 0x800000, v5
	v_cndmask_b32_e64 v6, 1.0, 0x4f800000, vcc_lo
	v_mul_f32_e32 v5, v5, v6
	v_cndmask_b32_e64 v6, 0, 0x42000000, vcc_lo
	v_cmp_lt_f32_e32 vcc_lo, 0x41a00000, v4
	s_delay_alu instid0(VALU_DEP_3) | instskip(SKIP_2) | instid1(VALU_DEP_1)
	v_log_f32_e32 v5, v5
	s_waitcnt_depctr 0xfff
	v_sub_f32_e32 v5, v5, v6
	v_mul_f32_e32 v5, 0x3f317218, v5
	s_delay_alu instid0(VALU_DEP_1) | instskip(NEXT) | instid1(VALU_DEP_1)
	v_cndmask_b32_e32 v4, v5, v4, vcc_lo
	v_mul_f32_e32 v5, 0x4f800000, v4
	v_cmp_gt_f32_e32 vcc_lo, 0xf800000, v4
	s_delay_alu instid0(VALU_DEP_2) | instskip(NEXT) | instid1(VALU_DEP_1)
	v_cndmask_b32_e32 v4, v4, v5, vcc_lo
	v_sqrt_f32_e32 v5, v4
	s_waitcnt_depctr 0xfff
	v_add_nc_u32_e32 v6, -1, v5
	v_add_nc_u32_e32 v7, 1, v5
	s_delay_alu instid0(VALU_DEP_2) | instskip(NEXT) | instid1(VALU_DEP_2)
	v_fma_f32 v8, -v6, v5, v4
	v_fma_f32 v9, -v7, v5, v4
	s_delay_alu instid0(VALU_DEP_2) | instskip(NEXT) | instid1(VALU_DEP_1)
	v_cmp_ge_f32_e64 s2, 0, v8
	v_cndmask_b32_e64 v5, v5, v6, s2
	s_delay_alu instid0(VALU_DEP_3) | instskip(NEXT) | instid1(VALU_DEP_1)
	v_cmp_lt_f32_e64 s2, 0, v9
	v_cndmask_b32_e64 v5, v5, v7, s2
	s_delay_alu instid0(VALU_DEP_1) | instskip(NEXT) | instid1(VALU_DEP_1)
	v_mul_f32_e32 v6, 0x37800000, v5
	v_cndmask_b32_e32 v5, v5, v6, vcc_lo
	v_cmp_class_f32_e64 vcc_lo, v4, 0x260
	s_delay_alu instid0(VALU_DEP_2) | instskip(SKIP_1) | instid1(VALU_DEP_2)
	v_cndmask_b32_e32 v4, v5, v4, vcc_lo
	v_cmp_ne_u32_e32 vcc_lo, 1, v1
	;; [unrolled: 57-line block ×7, first 2 shown]
	v_mov_b32_e32 v45, v9
	s_cbranch_vccnz .LBB232_18
; %bb.17:
	global_load_b32 v10, v183, s[6:7] offset:1024
	s_waitcnt vmcnt(0)
	v_add_f32_e32 v45, v9, v10
.LBB232_18:
	global_load_u16 v10, v[12:13], off offset:576
	s_waitcnt vmcnt(0)
	v_lshlrev_b32_e32 v10, 16, v10
	s_delay_alu instid0(VALU_DEP_1) | instskip(NEXT) | instid1(VALU_DEP_1)
	v_mul_f32_e32 v11, 0x3fb8aa3b, v10
	v_cmp_gt_f32_e32 vcc_lo, 0xc2fc0000, v11
	v_cndmask_b32_e64 v11, 0, 0x42800000, vcc_lo
	v_cndmask_b32_e64 v14, 1.0, 0x1f800000, vcc_lo
	s_delay_alu instid0(VALU_DEP_2) | instskip(NEXT) | instid1(VALU_DEP_1)
	v_fmac_f32_e32 v11, 0x3fb8aa3b, v10
	v_exp_f32_e32 v11, v11
	s_waitcnt_depctr 0xfff
	v_fma_f32 v11, v11, v14, 1.0
	s_delay_alu instid0(VALU_DEP_1) | instskip(SKIP_1) | instid1(VALU_DEP_1)
	v_cmp_gt_f32_e32 vcc_lo, 0x800000, v11
	v_cndmask_b32_e64 v14, 1.0, 0x4f800000, vcc_lo
	v_mul_f32_e32 v11, v11, v14
	v_cndmask_b32_e64 v14, 0, 0x42000000, vcc_lo
	s_delay_alu instid0(VALU_DEP_2) | instskip(SKIP_2) | instid1(VALU_DEP_1)
	v_log_f32_e32 v11, v11
	s_waitcnt_depctr 0xfff
	v_sub_f32_e32 v11, v11, v14
	v_mul_f32_e32 v11, 0x3f317218, v11
	v_cmp_lt_f32_e32 vcc_lo, 0x41a00000, v10
	s_delay_alu instid0(VALU_DEP_2) | instskip(NEXT) | instid1(VALU_DEP_1)
	v_cndmask_b32_e32 v10, v11, v10, vcc_lo
	v_mul_f32_e32 v11, 0x4f800000, v10
	v_cmp_gt_f32_e32 vcc_lo, 0xf800000, v10
	s_delay_alu instid0(VALU_DEP_2) | instskip(NEXT) | instid1(VALU_DEP_1)
	v_cndmask_b32_e32 v10, v10, v11, vcc_lo
	v_sqrt_f32_e32 v11, v10
	s_waitcnt_depctr 0xfff
	v_add_nc_u32_e32 v14, -1, v11
	v_add_nc_u32_e32 v15, 1, v11
	s_delay_alu instid0(VALU_DEP_2) | instskip(NEXT) | instid1(VALU_DEP_2)
	v_fma_f32 v16, -v14, v11, v10
	v_fma_f32 v17, -v15, v11, v10
	s_delay_alu instid0(VALU_DEP_2) | instskip(NEXT) | instid1(VALU_DEP_1)
	v_cmp_ge_f32_e64 s2, 0, v16
	v_cndmask_b32_e64 v11, v11, v14, s2
	s_delay_alu instid0(VALU_DEP_3) | instskip(NEXT) | instid1(VALU_DEP_1)
	v_cmp_lt_f32_e64 s2, 0, v17
	v_cndmask_b32_e64 v11, v11, v15, s2
	s_delay_alu instid0(VALU_DEP_1) | instskip(NEXT) | instid1(VALU_DEP_1)
	v_mul_f32_e32 v14, 0x37800000, v11
	v_cndmask_b32_e32 v11, v11, v14, vcc_lo
	v_cmp_class_f32_e64 vcc_lo, v10, 0x260
	s_delay_alu instid0(VALU_DEP_2) | instskip(SKIP_1) | instid1(VALU_DEP_2)
	v_cndmask_b32_e32 v10, v11, v10, vcc_lo
	v_cmp_ne_u32_e32 vcc_lo, 1, v1
	v_mov_b32_e32 v46, v10
	s_cbranch_vccnz .LBB232_20
; %bb.19:
	global_load_b32 v11, v183, s[6:7] offset:1152
	s_waitcnt vmcnt(0)
	v_add_f32_e32 v46, v10, v11
.LBB232_20:
	global_load_u16 v11, v[12:13], off offset:640
	s_waitcnt vmcnt(0)
	v_lshlrev_b32_e32 v11, 16, v11
	s_delay_alu instid0(VALU_DEP_1) | instskip(NEXT) | instid1(VALU_DEP_1)
	v_mul_f32_e32 v14, 0x3fb8aa3b, v11
	v_cmp_gt_f32_e32 vcc_lo, 0xc2fc0000, v14
	v_cndmask_b32_e64 v14, 0, 0x42800000, vcc_lo
	v_cndmask_b32_e64 v15, 1.0, 0x1f800000, vcc_lo
	s_delay_alu instid0(VALU_DEP_2) | instskip(NEXT) | instid1(VALU_DEP_1)
	v_fmac_f32_e32 v14, 0x3fb8aa3b, v11
	v_exp_f32_e32 v14, v14
	s_waitcnt_depctr 0xfff
	v_fma_f32 v14, v14, v15, 1.0
	s_delay_alu instid0(VALU_DEP_1) | instskip(SKIP_1) | instid1(VALU_DEP_1)
	v_cmp_gt_f32_e32 vcc_lo, 0x800000, v14
	v_cndmask_b32_e64 v15, 1.0, 0x4f800000, vcc_lo
	v_mul_f32_e32 v14, v14, v15
	v_cndmask_b32_e64 v15, 0, 0x42000000, vcc_lo
	s_delay_alu instid0(VALU_DEP_2) | instskip(SKIP_2) | instid1(VALU_DEP_1)
	v_log_f32_e32 v14, v14
	s_waitcnt_depctr 0xfff
	v_sub_f32_e32 v14, v14, v15
	v_mul_f32_e32 v14, 0x3f317218, v14
	v_cmp_lt_f32_e32 vcc_lo, 0x41a00000, v11
	s_delay_alu instid0(VALU_DEP_2) | instskip(NEXT) | instid1(VALU_DEP_1)
	v_cndmask_b32_e32 v11, v14, v11, vcc_lo
	v_mul_f32_e32 v14, 0x4f800000, v11
	v_cmp_gt_f32_e32 vcc_lo, 0xf800000, v11
	s_delay_alu instid0(VALU_DEP_2) | instskip(NEXT) | instid1(VALU_DEP_1)
	v_cndmask_b32_e32 v11, v11, v14, vcc_lo
	v_sqrt_f32_e32 v14, v11
	s_waitcnt_depctr 0xfff
	v_add_nc_u32_e32 v15, -1, v14
	v_add_nc_u32_e32 v16, 1, v14
	s_delay_alu instid0(VALU_DEP_2) | instskip(NEXT) | instid1(VALU_DEP_2)
	v_fma_f32 v17, -v15, v14, v11
	v_fma_f32 v18, -v16, v14, v11
	s_delay_alu instid0(VALU_DEP_2) | instskip(NEXT) | instid1(VALU_DEP_1)
	v_cmp_ge_f32_e64 s2, 0, v17
	v_cndmask_b32_e64 v14, v14, v15, s2
	s_delay_alu instid0(VALU_DEP_3) | instskip(NEXT) | instid1(VALU_DEP_1)
	v_cmp_lt_f32_e64 s2, 0, v18
	v_cndmask_b32_e64 v14, v14, v16, s2
	s_delay_alu instid0(VALU_DEP_1) | instskip(NEXT) | instid1(VALU_DEP_1)
	v_mul_f32_e32 v15, 0x37800000, v14
	v_cndmask_b32_e32 v14, v14, v15, vcc_lo
	v_cmp_class_f32_e64 vcc_lo, v11, 0x260
	s_delay_alu instid0(VALU_DEP_2) | instskip(SKIP_1) | instid1(VALU_DEP_2)
	v_cndmask_b32_e32 v11, v14, v11, vcc_lo
	v_cmp_ne_u32_e32 vcc_lo, 1, v1
	v_mov_b32_e32 v47, v11
	s_cbranch_vccnz .LBB232_22
; %bb.21:
	global_load_b32 v14, v183, s[6:7] offset:1280
	s_waitcnt vmcnt(0)
	v_add_f32_e32 v47, v11, v14
.LBB232_22:
	global_load_u16 v12, v[12:13], off offset:704
	s_waitcnt vmcnt(0)
	v_lshlrev_b32_e32 v12, 16, v12
	s_delay_alu instid0(VALU_DEP_1) | instskip(NEXT) | instid1(VALU_DEP_1)
	v_mul_f32_e32 v13, 0x3fb8aa3b, v12
	v_cmp_gt_f32_e32 vcc_lo, 0xc2fc0000, v13
	v_cndmask_b32_e64 v13, 0, 0x42800000, vcc_lo
	v_cndmask_b32_e64 v14, 1.0, 0x1f800000, vcc_lo
	s_delay_alu instid0(VALU_DEP_2) | instskip(NEXT) | instid1(VALU_DEP_1)
	v_fmac_f32_e32 v13, 0x3fb8aa3b, v12
	v_exp_f32_e32 v13, v13
	s_waitcnt_depctr 0xfff
	v_fma_f32 v13, v13, v14, 1.0
	s_delay_alu instid0(VALU_DEP_1) | instskip(SKIP_1) | instid1(VALU_DEP_1)
	v_cmp_gt_f32_e32 vcc_lo, 0x800000, v13
	v_cndmask_b32_e64 v14, 1.0, 0x4f800000, vcc_lo
	v_mul_f32_e32 v13, v13, v14
	v_cndmask_b32_e64 v14, 0, 0x42000000, vcc_lo
	v_cmp_lt_f32_e32 vcc_lo, 0x41a00000, v12
	s_delay_alu instid0(VALU_DEP_3) | instskip(SKIP_2) | instid1(VALU_DEP_1)
	v_log_f32_e32 v13, v13
	s_waitcnt_depctr 0xfff
	v_sub_f32_e32 v13, v13, v14
	v_mul_f32_e32 v13, 0x3f317218, v13
	s_delay_alu instid0(VALU_DEP_1) | instskip(NEXT) | instid1(VALU_DEP_1)
	v_cndmask_b32_e32 v12, v13, v12, vcc_lo
	v_mul_f32_e32 v13, 0x4f800000, v12
	v_cmp_gt_f32_e32 vcc_lo, 0xf800000, v12
	s_delay_alu instid0(VALU_DEP_2) | instskip(NEXT) | instid1(VALU_DEP_1)
	v_cndmask_b32_e32 v12, v12, v13, vcc_lo
	v_sqrt_f32_e32 v13, v12
	s_waitcnt_depctr 0xfff
	v_add_nc_u32_e32 v14, -1, v13
	v_add_nc_u32_e32 v15, 1, v13
	s_delay_alu instid0(VALU_DEP_2) | instskip(NEXT) | instid1(VALU_DEP_2)
	v_fma_f32 v16, -v14, v13, v12
	v_fma_f32 v17, -v15, v13, v12
	s_delay_alu instid0(VALU_DEP_2) | instskip(NEXT) | instid1(VALU_DEP_1)
	v_cmp_ge_f32_e64 s2, 0, v16
	v_cndmask_b32_e64 v13, v13, v14, s2
	s_delay_alu instid0(VALU_DEP_3) | instskip(NEXT) | instid1(VALU_DEP_1)
	v_cmp_lt_f32_e64 s2, 0, v17
	v_cndmask_b32_e64 v13, v13, v15, s2
	s_delay_alu instid0(VALU_DEP_1) | instskip(NEXT) | instid1(VALU_DEP_1)
	v_mul_f32_e32 v14, 0x37800000, v13
	v_cndmask_b32_e32 v13, v13, v14, vcc_lo
	v_cmp_class_f32_e64 vcc_lo, v12, 0x260
	s_delay_alu instid0(VALU_DEP_2)
	v_cndmask_b32_e32 v12, v13, v12, vcc_lo
	v_cmp_ne_u32_e32 vcc_lo, 1, v1
	s_cbranch_vccnz .LBB232_24
; %bb.23:
	global_load_b32 v1, v183, s[6:7] offset:1408
	s_waitcnt vmcnt(0)
	v_add_f32_e32 v48, v12, v1
	s_branch .LBB232_25
.LBB232_24:
	s_delay_alu instid0(VALU_DEP_2)
	v_mov_b32_e32 v48, v12
.LBB232_25:
	v_dual_mov_b32 v13, v37 :: v_dual_add_nc_u32 v26, 32, v0
	v_dual_mov_b32 v14, v38 :: v_dual_add_nc_u32 v27, 64, v0
	;; [unrolled: 1-line block ×11, first 2 shown]
	v_dual_mov_b32 v24, v48 :: v_dual_mov_b32 v1, v49
	v_mov_b32_e32 v25, v0
	s_mov_b32 s2, exec_lo
	v_cmpx_lt_f32_e32 v37, v38
	s_xor_b32 s2, exec_lo, s2
; %bb.26:
	v_dual_mov_b32 v13, v38 :: v_dual_mov_b32 v14, v37
	v_dual_mov_b32 v15, v39 :: v_dual_mov_b32 v16, v40
	;; [unrolled: 1-line block ×8, first 2 shown]
	v_mov_b32_e32 v26, v0
; %bb.27:
	s_or_b32 exec_lo, exec_lo, s2
	v_dual_mov_b32 v37, v15 :: v_dual_mov_b32 v86, v12
	v_dual_mov_b32 v75, v1 :: v_dual_mov_b32 v146, v12
	;; [unrolled: 1-line block ×36, first 2 shown]
	s_clause 0x8
	scratch_store_b128 off, v[1:4], off
	scratch_store_b128 off, v[5:8], off offset:16
	scratch_store_b128 off, v[9:12], off offset:32
	scratch_store_b128 off, v[1:4], off offset:48
	scratch_store_b128 off, v[5:8], off offset:64
	scratch_store_b128 off, v[9:12], off offset:80
	scratch_store_b128 off, v[1:4], off offset:96
	scratch_store_b128 off, v[5:8], off offset:112
	scratch_store_b128 off, v[9:12], off offset:128
	v_dual_mov_b32 v73, v35 :: v_dual_mov_b32 v72, v34
	v_dual_mov_b32 v71, v33 :: v_dual_mov_b32 v70, v32
	;; [unrolled: 1-line block ×30, first 2 shown]
	v_mov_b32_e32 v159, v25
	s_clause 0x2
	scratch_store_b128 off, v[25:28], off offset:144
	scratch_store_b128 off, v[29:32], off offset:160
	;; [unrolled: 1-line block ×3, first 2 shown]
	s_mov_b32 s2, exec_lo
	v_dual_mov_b32 v182, v36 :: v_dual_mov_b32 v181, v35
	v_dual_mov_b32 v180, v34 :: v_dual_mov_b32 v179, v33
	;; [unrolled: 1-line block ×6, first 2 shown]
	v_cmpx_lt_f32_e32 v38, v15
	s_cbranch_execz .LBB232_29
; %bb.28:
	v_dual_mov_b32 v37, v38 :: v_dual_mov_b32 v182, v36
	v_dual_mov_b32 v173, v27 :: v_dual_mov_b32 v172, v26
	;; [unrolled: 1-line block ×14, first 2 shown]
	v_mov_b32_e32 v125, v2
	v_dual_mov_b32 v159, v171 :: v_dual_mov_b32 v162, v174
	v_dual_mov_b32 v161, v173 :: v_dual_mov_b32 v164, v176
	;; [unrolled: 1-line block ×6, first 2 shown]
	v_mov_b32_e32 v162, v28
	s_clause 0x2
	scratch_store_b128 off, v[123:126], off offset:96
	scratch_store_b128 off, v[127:130], off offset:112
	;; [unrolled: 1-line block ×3, first 2 shown]
	v_dual_mov_b32 v14, v15 :: v_dual_mov_b32 v15, v38
	v_dual_mov_b32 v43, v164 :: v_dual_mov_b32 v44, v165
	;; [unrolled: 1-line block ×7, first 2 shown]
	s_clause 0x2
	scratch_store_b128 off, v[38:41], off offset:144
	scratch_store_b128 off, v[42:45], off offset:160
	;; [unrolled: 1-line block ×3, first 2 shown]
	v_mov_b32_e32 v163, v29
	v_mov_b32_e32 v27, v26
	v_dual_mov_b32 v43, v128 :: v_dual_mov_b32 v44, v129
	v_dual_mov_b32 v47, v132 :: v_dual_mov_b32 v38, v123
	;; [unrolled: 1-line block ×5, first 2 shown]
	v_mov_b32_e32 v41, v126
	v_dual_mov_b32 v147, v159 :: v_dual_mov_b32 v154, v166
	v_mov_b32_e32 v148, v160
	v_mov_b32_e32 v150, v162
	s_clause 0x2
	scratch_store_b128 off, v[38:41], off offset:48
	scratch_store_b128 off, v[42:45], off offset:64
	;; [unrolled: 1-line block ×3, first 2 shown]
	v_dual_mov_b32 v127, v5 :: v_dual_mov_b32 v152, v164
	v_dual_mov_b32 v153, v165 :: v_dual_mov_b32 v152, v30
	;; [unrolled: 1-line block ×7, first 2 shown]
	v_mov_b32_e32 v41, v126
	v_dual_mov_b32 v128, v6 :: v_dual_mov_b32 v99, v147
	v_dual_mov_b32 v105, v153 :: v_dual_mov_b32 v106, v154
	;; [unrolled: 1-line block ×3, first 2 shown]
	v_mov_b32_e32 v105, v31
	v_dual_mov_b32 v103, v151 :: v_dual_mov_b32 v104, v152
	v_dual_mov_b32 v107, v155 :: v_dual_mov_b32 v108, v156
	;; [unrolled: 1-line block ×6, first 2 shown]
	v_mov_b32_e32 v60, v132
	v_dual_mov_b32 v52, v124 :: v_dual_mov_b32 v55, v127
	v_dual_mov_b32 v58, v130 :: v_dual_mov_b32 v61, v133
	v_mov_b32_e32 v57, v7
	v_dual_mov_b32 v53, v125 :: v_dual_mov_b32 v56, v128
	s_clause 0x2
	scratch_store_b128 off, v[38:41], off
	scratch_store_b128 off, v[42:45], off offset:16
	scratch_store_b128 off, v[46:49], off offset:32
	v_dual_mov_b32 v39, v99 :: v_dual_mov_b32 v44, v104
	v_dual_mov_b32 v45, v105 :: v_dual_mov_b32 v50, v110
	;; [unrolled: 1-line block ×6, first 2 shown]
	v_mov_b32_e32 v122, v62
	v_dual_mov_b32 v46, v32 :: v_dual_mov_b32 v111, v51
	v_dual_mov_b32 v121, v61 :: v_dual_mov_b32 v120, v60
	;; [unrolled: 1-line block ×6, first 2 shown]
	v_mov_b32_e32 v118, v8
	v_dual_mov_b32 v98, v50 :: v_dual_mov_b32 v97, v49
	v_dual_mov_b32 v96, v48 :: v_dual_mov_b32 v95, v47
	;; [unrolled: 1-line block ×7, first 2 shown]
	v_mov_b32_e32 v135, v111
	v_dual_mov_b32 v3, v2 :: v_dual_mov_b32 v144, v120
	v_dual_mov_b32 v145, v121 :: v_dual_mov_b32 v142, v118
	;; [unrolled: 1-line block ×5, first 2 shown]
	v_mov_b32_e32 v137, v113
	v_mov_b32_e32 v143, v9
	v_dual_mov_b32 v63, v87 :: v_dual_mov_b32 v70, v94
	v_mov_b32_e32 v64, v88
	v_mov_b32_e32 v66, v90
	v_dual_mov_b32 v68, v92 :: v_dual_mov_b32 v75, v135
	v_dual_mov_b32 v80, v140 :: v_dual_mov_b32 v65, v89
	;; [unrolled: 1-line block ×13, first 2 shown]
.LBB232_29:
	s_or_b32 exec_lo, exec_lo, s2
	v_mov_b32_e32 v1, v16
	s_mov_b32 s2, exec_lo
	v_cmpx_lt_f32_e32 v37, v16
	s_cbranch_execz .LBB232_31
; %bb.30:
	s_clause 0x2
	scratch_load_b128 v[38:41], off, off offset:96
	scratch_load_b128 v[42:45], off, off offset:112
	;; [unrolled: 1-line block ×3, first 2 shown]
	v_mov_b32_e32 v173, v28
	v_dual_mov_b32 v15, v16 :: v_dual_mov_b32 v16, v37
	v_dual_mov_b32 v1, v37 :: v_dual_mov_b32 v28, v27
	s_waitcnt vmcnt(2)
	v_dual_mov_b32 v124, v39 :: v_dual_mov_b32 v123, v38
	s_waitcnt vmcnt(0)
	v_dual_mov_b32 v134, v49 :: v_dual_mov_b32 v125, v4
	v_dual_mov_b32 v159, v171 :: v_dual_mov_b32 v160, v172
	v_mov_b32_e32 v162, v174
	v_dual_mov_b32 v38, v123 :: v_dual_mov_b32 v39, v124
	v_dual_mov_b32 v161, v173 :: v_dual_mov_b32 v164, v176
	;; [unrolled: 1-line block ×10, first 2 shown]
	v_mov_b32_e32 v126, v41
	s_clause 0x2
	scratch_store_b128 off, v[38:41], off offset:96
	scratch_store_b128 off, v[42:45], off offset:112
	scratch_store_b128 off, v[46:49], off offset:128
	v_dual_mov_b32 v43, v164 :: v_dual_mov_b32 v38, v159
	v_dual_mov_b32 v41, v162 :: v_dual_mov_b32 v126, v3
	;; [unrolled: 1-line block ×7, first 2 shown]
	s_clause 0x2
	scratch_store_b128 off, v[38:41], off offset:144
	scratch_store_b128 off, v[42:45], off offset:160
	;; [unrolled: 1-line block ×3, first 2 shown]
	v_dual_mov_b32 v43, v128 :: v_dual_mov_b32 v46, v131
	v_dual_mov_b32 v49, v134 :: v_dual_mov_b32 v38, v123
	;; [unrolled: 1-line block ×5, first 2 shown]
	v_mov_b32_e32 v41, v126
	v_dual_mov_b32 v147, v159 :: v_dual_mov_b32 v152, v164
	v_dual_mov_b32 v148, v160 :: v_dual_mov_b32 v127, v5
	;; [unrolled: 1-line block ×7, first 2 shown]
	s_clause 0x2
	scratch_store_b128 off, v[38:41], off offset:48
	scratch_store_b128 off, v[42:45], off offset:64
	;; [unrolled: 1-line block ×3, first 2 shown]
	v_dual_mov_b32 v38, v123 :: v_dual_mov_b32 v39, v124
	v_dual_mov_b32 v40, v125 :: v_dual_mov_b32 v41, v126
	v_mov_b32_e32 v42, v127
	v_dual_mov_b32 v128, v6 :: v_dual_mov_b32 v99, v147
	v_dual_mov_b32 v106, v154 :: v_dual_mov_b32 v107, v155
	;; [unrolled: 1-line block ×3, first 2 shown]
	v_mov_b32_e32 v52, v124
	v_dual_mov_b32 v100, v148 :: v_dual_mov_b32 v101, v149
	v_dual_mov_b32 v102, v150 :: v_dual_mov_b32 v103, v151
	;; [unrolled: 1-line block ×6, first 2 shown]
	v_mov_b32_e32 v105, v31
	v_dual_mov_b32 v57, v129 :: v_dual_mov_b32 v58, v130
	v_dual_mov_b32 v53, v125 :: v_dual_mov_b32 v54, v126
	;; [unrolled: 1-line block ×3, first 2 shown]
	v_mov_b32_e32 v57, v7
	s_clause 0x2
	scratch_store_b128 off, v[38:41], off
	scratch_store_b128 off, v[42:45], off offset:16
	scratch_store_b128 off, v[46:49], off offset:32
	v_dual_mov_b32 v39, v99 :: v_dual_mov_b32 v42, v102
	v_dual_mov_b32 v47, v107 :: v_dual_mov_b32 v50, v110
	;; [unrolled: 1-line block ×9, first 2 shown]
	v_mov_b32_e32 v46, v32
	v_dual_mov_b32 v118, v58 :: v_dual_mov_b32 v117, v57
	v_dual_mov_b32 v116, v56 :: v_dual_mov_b32 v115, v55
	;; [unrolled: 1-line block ×3, first 2 shown]
	v_mov_b32_e32 v118, v8
	v_dual_mov_b32 v98, v50 :: v_dual_mov_b32 v95, v47
	v_dual_mov_b32 v97, v49 :: v_dual_mov_b32 v90, v42
	;; [unrolled: 1-line block ×9, first 2 shown]
	v_mov_b32_e32 v89, v41
	v_dual_mov_b32 v143, v9 :: v_dual_mov_b32 v142, v118
	v_dual_mov_b32 v141, v117 :: v_dual_mov_b32 v140, v116
	;; [unrolled: 1-line block ×3, first 2 shown]
	v_mov_b32_e32 v137, v113
	v_dual_mov_b32 v63, v87 :: v_dual_mov_b32 v66, v90
	v_dual_mov_b32 v64, v88 :: v_dual_mov_b32 v75, v135
	;; [unrolled: 1-line block ×13, first 2 shown]
	v_mov_b32_e32 v82, v142
	v_dual_mov_b32 v84, v10 :: v_dual_mov_b32 v85, v11
	v_mov_b32_e32 v86, v12
.LBB232_31:
	s_or_b32 exec_lo, exec_lo, s2
	v_mov_b32_e32 v2, v17
	s_mov_b32 s2, exec_lo
	v_cmpx_lt_f32_e32 v1, v17
	s_cbranch_execz .LBB232_33
; %bb.32:
	s_clause 0x2
	scratch_load_b128 v[37:40], off, off offset:96
	scratch_load_b128 v[41:44], off, off offset:112
	;; [unrolled: 1-line block ×3, first 2 shown]
	v_mov_b32_e32 v174, v29
	v_dual_mov_b32 v2, v1 :: v_dual_mov_b32 v29, v28
	v_mov_b32_e32 v16, v17
	s_waitcnt vmcnt(0)
	v_dual_mov_b32 v74, v48 :: v_dual_mov_b32 v71, v45
	v_dual_mov_b32 v68, v42 :: v_dual_mov_b32 v65, v39
	;; [unrolled: 1-line block ×18, first 2 shown]
	v_mov_b32_e32 v125, v65
	v_mov_b32_e32 v127, v4
	v_dual_mov_b32 v147, v159 :: v_dual_mov_b32 v148, v160
	v_dual_mov_b32 v153, v165 :: v_dual_mov_b32 v156, v168
	;; [unrolled: 1-line block ×3, first 2 shown]
	v_mov_b32_e32 v157, v169
	v_dual_mov_b32 v151, v163 :: v_dual_mov_b32 v154, v166
	v_dual_mov_b32 v149, v161 :: v_dual_mov_b32 v152, v164
	;; [unrolled: 1-line block ×4, first 2 shown]
	v_mov_b32_e32 v38, v124
	v_dual_mov_b32 v152, v30 :: v_dual_mov_b32 v45, v131
	v_dual_mov_b32 v46, v132 :: v_dual_mov_b32 v47, v133
	;; [unrolled: 1-line block ×13, first 2 shown]
	s_clause 0x2
	scratch_store_b128 off, v[37:40], off
	scratch_store_b128 off, v[41:44], off offset:16
	scratch_store_b128 off, v[45:48], off offset:32
	v_dual_mov_b32 v57, v129 :: v_dual_mov_b32 v60, v132
	v_dual_mov_b32 v55, v127 :: v_dual_mov_b32 v58, v130
	v_mov_b32_e32 v61, v133
	v_mov_b32_e32 v57, v7
	v_dual_mov_b32 v39, v99 :: v_dual_mov_b32 v44, v104
	v_dual_mov_b32 v17, v1 :: v_dual_mov_b32 v52, v124
	v_dual_mov_b32 v53, v125 :: v_dual_mov_b32 v56, v128
	v_dual_mov_b32 v45, v105 :: v_dual_mov_b32 v50, v110
	v_dual_mov_b32 v43, v103 :: v_dual_mov_b32 v48, v108
	v_dual_mov_b32 v47, v107 :: v_dual_mov_b32 v40, v100
	v_dual_mov_b32 v41, v101 :: v_dual_mov_b32 v46, v106
	v_dual_mov_b32 v42, v102 :: v_dual_mov_b32 v49, v109
	v_mov_b32_e32 v122, v62
	v_dual_mov_b32 v46, v32 :: v_dual_mov_b32 v119, v59
	v_dual_mov_b32 v118, v58 :: v_dual_mov_b32 v111, v51
	v_dual_mov_b32 v118, v8 :: v_dual_mov_b32 v121, v61
	v_dual_mov_b32 v120, v60 :: v_dual_mov_b32 v117, v57
	v_dual_mov_b32 v116, v56 :: v_dual_mov_b32 v115, v55
	v_dual_mov_b32 v114, v54 :: v_dual_mov_b32 v113, v53
	v_mov_b32_e32 v112, v52
	v_dual_mov_b32 v98, v50 :: v_dual_mov_b32 v97, v49
	v_dual_mov_b32 v96, v48 :: v_dual_mov_b32 v95, v47
	;; [unrolled: 1-line block ×8, first 2 shown]
	v_mov_b32_e32 v135, v111
	v_dual_mov_b32 v145, v121 :: v_dual_mov_b32 v144, v120
	v_dual_mov_b32 v141, v117 :: v_dual_mov_b32 v140, v116
	v_mov_b32_e32 v143, v9
	v_dual_mov_b32 v139, v115 :: v_dual_mov_b32 v138, v114
	v_dual_mov_b32 v137, v113 :: v_dual_mov_b32 v136, v112
	s_clause 0x5
	scratch_store_b128 off, v[63:66], off offset:48
	scratch_store_b128 off, v[67:70], off offset:64
	;; [unrolled: 1-line block ×6, first 2 shown]
	v_dual_mov_b32 v63, v87 :: v_dual_mov_b32 v68, v92
	v_mov_b32_e32 v64, v88
	v_dual_mov_b32 v66, v90 :: v_dual_mov_b32 v75, v135
	v_dual_mov_b32 v78, v138 :: v_dual_mov_b32 v67, v91
	;; [unrolled: 1-line block ×14, first 2 shown]
.LBB232_33:
	s_or_b32 exec_lo, exec_lo, s2
	v_mov_b32_e32 v1, v18
	s_mov_b32 s2, exec_lo
	v_cmpx_lt_f32_e32 v2, v18
	s_cbranch_execz .LBB232_35
; %bb.34:
	s_clause 0x2
	scratch_load_b128 v[37:40], off, off offset:144
	scratch_load_b128 v[41:44], off, off offset:160
	;; [unrolled: 1-line block ×3, first 2 shown]
	s_waitcnt vmcnt(0)
	v_dual_mov_b32 v17, v18 :: v_dual_mov_b32 v170, v48
	v_dual_mov_b32 v169, v47 :: v_dual_mov_b32 v162, v40
	;; [unrolled: 1-line block ×6, first 2 shown]
	s_clause 0x2
	scratch_load_b128 v[37:40], off, off offset:48
	scratch_load_b128 v[41:44], off, off offset:64
	;; [unrolled: 1-line block ×3, first 2 shown]
	v_dual_mov_b32 v163, v30 :: v_dual_mov_b32 v30, v29
	s_waitcnt vmcnt(0)
	v_mov_b32_e32 v74, v48
	v_dual_mov_b32 v66, v40 :: v_dual_mov_b32 v63, v37
	v_dual_mov_b32 v73, v47 :: v_dual_mov_b32 v64, v38
	v_dual_mov_b32 v147, v159 :: v_dual_mov_b32 v68, v42
	v_dual_mov_b32 v65, v39 :: v_dual_mov_b32 v72, v46
	v_dual_mov_b32 v71, v45 :: v_dual_mov_b32 v70, v44
	v_mov_b32_e32 v69, v43
	v_dual_mov_b32 v67, v6 :: v_dual_mov_b32 v148, v160
	v_dual_mov_b32 v134, v74 :: v_dual_mov_b32 v133, v73
	;; [unrolled: 1-line block ×12, first 2 shown]
	v_mov_b32_e32 v128, v5
	v_dual_mov_b32 v152, v29 :: v_dual_mov_b32 v51, v123
	v_dual_mov_b32 v99, v147 :: v_dual_mov_b32 v108, v156
	v_dual_mov_b32 v109, v157 :: v_dual_mov_b32 v110, v158
	v_dual_mov_b32 v53, v125 :: v_dual_mov_b32 v62, v134
	v_dual_mov_b32 v100, v148 :: v_dual_mov_b32 v101, v149
	v_dual_mov_b32 v102, v150 :: v_dual_mov_b32 v103, v151
	v_dual_mov_b32 v104, v152 :: v_dual_mov_b32 v105, v153
	v_dual_mov_b32 v106, v154 :: v_dual_mov_b32 v107, v155
	v_dual_mov_b32 v52, v124 :: v_dual_mov_b32 v55, v127
	v_dual_mov_b32 v54, v126 :: v_dual_mov_b32 v57, v129
	v_dual_mov_b32 v56, v128 :: v_dual_mov_b32 v59, v131
	v_dual_mov_b32 v60, v132 :: v_dual_mov_b32 v105, v31
	v_dual_mov_b32 v58, v130 :: v_dual_mov_b32 v61, v133
	v_mov_b32_e32 v57, v7
	v_dual_mov_b32 v39, v99 :: v_dual_mov_b32 v40, v100
	v_dual_mov_b32 v49, v109 :: v_dual_mov_b32 v50, v110
	s_delay_alu instid0(VALU_DEP_4)
	v_dual_mov_b32 v122, v62 :: v_dual_mov_b32 v121, v61
	v_dual_mov_b32 v43, v103 :: v_dual_mov_b32 v44, v104
	;; [unrolled: 1-line block ×10, first 2 shown]
	v_mov_b32_e32 v46, v32
	v_mov_b32_e32 v118, v8
	v_dual_mov_b32 v98, v50 :: v_dual_mov_b32 v93, v45
	v_dual_mov_b32 v97, v49 :: v_dual_mov_b32 v146, v122
	;; [unrolled: 1-line block ×13, first 2 shown]
	v_mov_b32_e32 v137, v113
	s_clause 0x2
	scratch_store_b128 off, v[63:66], off
	scratch_store_b128 off, v[67:70], off offset:16
	scratch_store_b128 off, v[71:74], off offset:32
	v_dual_mov_b32 v63, v87 :: v_dual_mov_b32 v66, v90
	v_dual_mov_b32 v75, v135 :: v_dual_mov_b32 v78, v138
	;; [unrolled: 1-line block ×15, first 2 shown]
	v_mov_b32_e32 v86, v12
	v_mov_b32_e32 v6, v5
.LBB232_35:
	s_or_b32 exec_lo, exec_lo, s2
	v_mov_b32_e32 v2, v19
	s_mov_b32 s2, exec_lo
	v_cmpx_lt_f32_e32 v1, v19
	s_cbranch_execz .LBB232_37
; %bb.36:
	s_clause 0x2
	scratch_load_b128 v[37:40], off, off
	scratch_load_b128 v[41:44], off, off offset:16
	scratch_load_b128 v[45:48], off, off offset:32
	v_mov_b32_e32 v164, v31
	v_dual_mov_b32 v2, v1 :: v_dual_mov_b32 v31, v30
	v_mov_b32_e32 v18, v19
	s_waitcnt vmcnt(0)
	v_dual_mov_b32 v134, v48 :: v_dual_mov_b32 v133, v47
	v_dual_mov_b32 v130, v44 :: v_dual_mov_b32 v127, v41
	;; [unrolled: 1-line block ×17, first 2 shown]
	v_mov_b32_e32 v61, v133
	v_mov_b32_e32 v57, v6
	;; [unrolled: 1-line block ×3, first 2 shown]
	v_dual_mov_b32 v62, v134 :: v_dual_mov_b32 v39, v99
	v_dual_mov_b32 v147, v159 :: v_dual_mov_b32 v148, v160
	s_delay_alu instid0(VALU_DEP_2)
	v_dual_mov_b32 v149, v161 :: v_dual_mov_b32 v122, v62
	v_dual_mov_b32 v120, v60 :: v_dual_mov_b32 v49, v109
	v_mov_b32_e32 v50, v110
	v_dual_mov_b32 v40, v100 :: v_dual_mov_b32 v119, v59
	v_dual_mov_b32 v118, v58 :: v_dual_mov_b32 v115, v55
	;; [unrolled: 1-line block ×6, first 2 shown]
	v_mov_b32_e32 v121, v61
	v_dual_mov_b32 v117, v57 :: v_dual_mov_b32 v116, v56
	v_dual_mov_b32 v113, v53 :: v_dual_mov_b32 v112, v52
	;; [unrolled: 1-line block ×3, first 2 shown]
	v_mov_b32_e32 v46, v32
	v_mov_b32_e32 v118, v8
	v_dual_mov_b32 v98, v50 :: v_dual_mov_b32 v95, v47
	v_dual_mov_b32 v97, v49 :: v_dual_mov_b32 v146, v122
	;; [unrolled: 1-line block ×4, first 2 shown]
	v_mov_b32_e32 v87, v39
	v_dual_mov_b32 v143, v9 :: v_dual_mov_b32 v96, v48
	v_dual_mov_b32 v93, v45 :: v_dual_mov_b32 v88, v40
	;; [unrolled: 1-line block ×8, first 2 shown]
	v_mov_b32_e32 v137, v113
	v_dual_mov_b32 v75, v135 :: v_dual_mov_b32 v78, v138
	v_dual_mov_b32 v63, v87 :: v_dual_mov_b32 v66, v90
	v_dual_mov_b32 v83, v143 :: v_dual_mov_b32 v86, v146
	v_dual_mov_b32 v69, v93 :: v_dual_mov_b32 v72, v96
	v_dual_mov_b32 v71, v95 :: v_dual_mov_b32 v74, v98
	v_dual_mov_b32 v73, v97 :: v_dual_mov_b32 v76, v136
	v_dual_mov_b32 v81, v141 :: v_dual_mov_b32 v84, v144
	v_dual_mov_b32 v85, v145 :: v_dual_mov_b32 v72, v34
	v_dual_mov_b32 v86, v12 :: v_dual_mov_b32 v19, v1
	v_dual_mov_b32 v64, v88 :: v_dual_mov_b32 v65, v89
	v_dual_mov_b32 v68, v92 :: v_dual_mov_b32 v67, v91
	v_dual_mov_b32 v70, v94 :: v_dual_mov_b32 v77, v137
	v_dual_mov_b32 v80, v140 :: v_dual_mov_b32 v79, v139
	v_dual_mov_b32 v82, v142 :: v_dual_mov_b32 v73, v35
	v_mov_b32_e32 v74, v36
	v_dual_mov_b32 v84, v10 :: v_dual_mov_b32 v85, v11
	v_dual_mov_b32 v150, v162 :: v_dual_mov_b32 v151, v163
	;; [unrolled: 1-line block ×5, first 2 shown]
	v_mov_b32_e32 v158, v170
	v_mov_b32_e32 v7, v6
.LBB232_37:
	s_or_b32 exec_lo, exec_lo, s2
	v_mov_b32_e32 v1, v20
	s_mov_b32 s2, exec_lo
	v_cmpx_lt_f32_e32 v2, v20
	s_cbranch_execz .LBB232_39
; %bb.38:
	v_mov_b32_e32 v129, v8
	v_mov_b32_e32 v153, v32
	v_dual_mov_b32 v111, v123 :: v_dual_mov_b32 v114, v126
	v_dual_mov_b32 v39, v147 :: v_dual_mov_b32 v40, v148
	;; [unrolled: 1-line block ×10, first 2 shown]
	v_mov_b32_e32 v120, v132
	v_dual_mov_b32 v116, v128 :: v_dual_mov_b32 v121, v133
	v_mov_b32_e32 v46, v31
	v_dual_mov_b32 v119, v131 :: v_dual_mov_b32 v98, v50
	v_dual_mov_b32 v118, v7 :: v_dual_mov_b32 v97, v49
	;; [unrolled: 1-line block ×13, first 2 shown]
	v_mov_b32_e32 v95, v33
	v_dual_mov_b32 v19, v20 :: v_dual_mov_b32 v20, v2
	v_mov_b32_e32 v143, v9
	v_dual_mov_b32 v63, v87 :: v_dual_mov_b32 v68, v92
	v_dual_mov_b32 v64, v88 :: v_dual_mov_b32 v75, v135
	;; [unrolled: 1-line block ×11, first 2 shown]
	v_mov_b32_e32 v70, v94
	v_dual_mov_b32 v66, v90 :: v_dual_mov_b32 v71, v95
	v_dual_mov_b32 v76, v136 :: v_dual_mov_b32 v77, v137
	;; [unrolled: 1-line block ×15, first 2 shown]
	v_mov_b32_e32 v110, v158
	v_dual_mov_b32 v1, v2 :: v_dual_mov_b32 v8, v7
	v_mov_b32_e32 v32, v31
.LBB232_39:
	s_or_b32 exec_lo, exec_lo, s2
	v_mov_b32_e32 v2, v21
	s_mov_b32 s2, exec_lo
	v_cmpx_lt_f32_e32 v1, v21
	s_cbranch_execz .LBB232_41
; %bb.40:
	v_mov_b32_e32 v58, v9
	v_mov_b32_e32 v106, v33
	v_dual_mov_b32 v146, v62 :: v_dual_mov_b32 v143, v59
	v_mov_b32_e32 v87, v99
	s_delay_alu instid0(VALU_DEP_3)
	v_dual_mov_b32 v141, v57 :: v_dual_mov_b32 v94, v106
	v_dual_mov_b32 v95, v107 :: v_dual_mov_b32 v140, v56
	;; [unrolled: 1-line block ×6, first 2 shown]
	v_mov_b32_e32 v95, v32
	v_dual_mov_b32 v143, v8 :: v_dual_mov_b32 v20, v21
	v_dual_mov_b32 v88, v100 :: v_dual_mov_b32 v89, v101
	;; [unrolled: 1-line block ×7, first 2 shown]
	s_delay_alu instid0(VALU_DEP_2)
	v_dual_mov_b32 v75, v135 :: v_dual_mov_b32 v76, v136
	v_dual_mov_b32 v122, v62 :: v_dual_mov_b32 v117, v57
	;; [unrolled: 1-line block ×25, first 2 shown]
	v_mov_b32_e32 v48, v108
	v_dual_mov_b32 v50, v110 :: v_dual_mov_b32 v9, v8
	v_dual_mov_b32 v2, v1 :: v_dual_mov_b32 v33, v32
.LBB232_41:
	s_or_b32 exec_lo, exec_lo, s2
	v_mov_b32_e32 v3, v22
	s_mov_b32 s2, exec_lo
	s_delay_alu instid0(VALU_DEP_2)
	v_cmpx_lt_f32_e32 v2, v22
	s_cbranch_execz .LBB232_43
; %bb.42:
	v_mov_b32_e32 v47, v34
	v_mov_b32_e32 v74, v50
	v_dual_mov_b32 v21, v22 :: v_dual_mov_b32 v72, v48
	v_dual_mov_b32 v72, v33 :: v_dual_mov_b32 v119, v10
	;; [unrolled: 1-line block ×3, first 2 shown]
	v_mov_b32_e32 v78, v114
	v_dual_mov_b32 v22, v2 :: v_dual_mov_b32 v73, v49
	v_dual_mov_b32 v81, v117 :: v_dual_mov_b32 v84, v120
	;; [unrolled: 1-line block ×7, first 2 shown]
	v_mov_b32_e32 v69, v45
	v_dual_mov_b32 v67, v43 :: v_dual_mov_b32 v66, v42
	v_dual_mov_b32 v65, v41 :: v_dual_mov_b32 v64, v40
	;; [unrolled: 1-line block ×18, first 2 shown]
	v_mov_b32_e32 v34, v33
.LBB232_43:
	s_or_b32 exec_lo, exec_lo, s2
	v_mov_b32_e32 v1, v23
	s_mov_b32 s2, exec_lo
	v_cmpx_lt_f32_e32 v3, v23
	s_cbranch_execz .LBB232_45
; %bb.44:
	v_dual_mov_b32 v144, v11 :: v_dual_mov_b32 v145, v10
	v_dual_mov_b32 v96, v35 :: v_dual_mov_b32 v97, v34
	v_mov_b32_e32 v146, v12
	v_mov_b32_e32 v22, v23
	v_dual_mov_b32 v23, v3 :: v_dual_mov_b32 v98, v36
	v_dual_mov_b32 v75, v135 :: v_dual_mov_b32 v84, v144
	;; [unrolled: 1-line block ×3, first 2 shown]
	v_mov_b32_e32 v79, v139
	v_dual_mov_b32 v77, v137 :: v_dual_mov_b32 v78, v138
	v_dual_mov_b32 v81, v141 :: v_dual_mov_b32 v80, v140
	;; [unrolled: 1-line block ×10, first 2 shown]
.LBB232_45:
	s_or_b32 exec_lo, exec_lo, s2
	s_delay_alu instid0(VALU_DEP_1)
	v_cmp_lt_f32_e32 vcc_lo, v1, v24
	v_mov_b32_e32 v42, v78
	v_cmp_lt_f32_e64 s2, v13, v14
	v_dual_mov_b32 v40, v76 :: v_dual_mov_b32 v41, v77
	v_dual_cndmask_b32 v12, v24, v1 :: v_dual_mov_b32 v43, v79
	v_dual_cndmask_b32 v23, v23, v24 :: v_dual_cndmask_b32 v50, v86, v85
	s_delay_alu instid0(VALU_DEP_2) | instskip(SKIP_2) | instid1(VALU_DEP_3)
	v_dual_mov_b32 v39, v75 :: v_dual_mov_b32 v24, v12
	v_dual_cndmask_b32 v49, v85, v86 :: v_dual_mov_b32 v44, v80
	v_dual_cndmask_b32 v61, v73, v74 :: v_dual_cndmask_b32 v62, v74, v73
	v_dual_mov_b32 v38, v24 :: v_dual_mov_b32 v35, v21
	v_dual_mov_b32 v37, v23 :: v_dual_mov_b32 v36, v22
	;; [unrolled: 1-line block ×13, first 2 shown]
	s_and_saveexec_b32 s3, s2
	s_delay_alu instid0(SALU_CYCLE_1)
	s_xor_b32 s2, exec_lo, s3
	s_cbranch_execz .LBB232_47
; %bb.46:
	v_dual_mov_b32 v1, v14 :: v_dual_mov_b32 v2, v13
	v_dual_mov_b32 v3, v15 :: v_dual_mov_b32 v4, v16
	;; [unrolled: 1-line block ×6, first 2 shown]
	s_delay_alu instid0(VALU_DEP_2) | instskip(NEXT) | instid1(VALU_DEP_2)
	v_dual_mov_b32 v38, v12 :: v_dual_mov_b32 v35, v9
	v_dual_mov_b32 v36, v10 :: v_dual_mov_b32 v37, v11
	;; [unrolled: 1-line block ×16, first 2 shown]
.LBB232_47:
	s_or_b32 exec_lo, exec_lo, s2
	v_dual_mov_b32 v13, v29 :: v_dual_mov_b32 v122, v50
	v_dual_mov_b32 v15, v39 :: v_dual_mov_b32 v16, v40
	;; [unrolled: 1-line block ×30, first 2 shown]
	v_mov_b32_e32 v135, v39
	s_clause 0x2
	scratch_store_b128 off, v[39:42], off offset:48
	scratch_store_b128 off, v[43:46], off offset:64
	;; [unrolled: 1-line block ×3, first 2 shown]
	v_dual_mov_b32 v1, v51 :: v_dual_mov_b32 v4, v54
	v_dual_mov_b32 v11, v61 :: v_dual_mov_b32 v74, v62
	;; [unrolled: 1-line block ×34, first 2 shown]
	v_mov_b32_e32 v159, v51
	s_mov_b32 s2, exec_lo
	v_dual_mov_b32 v73, v61 :: v_dual_mov_b32 v72, v60
	v_mov_b32_e32 v2, v52
	s_clause 0x2
	scratch_store_b128 off, v[51:54], off
	scratch_store_b128 off, v[55:58], off offset:16
	scratch_store_b128 off, v[59:62], off offset:32
	v_dual_mov_b32 v182, v50 :: v_dual_mov_b32 v181, v49
	v_dual_mov_b32 v180, v48 :: v_dual_mov_b32 v179, v47
	;; [unrolled: 1-line block ×6, first 2 shown]
	v_cmpx_lt_f32_e32 v14, v29
	s_cbranch_execz .LBB232_49
; %bb.48:
	v_dual_mov_b32 v170, v62 :: v_dual_mov_b32 v169, v61
	v_dual_mov_b32 v162, v54 :: v_dual_mov_b32 v161, v53
	;; [unrolled: 1-line block ×7, first 2 shown]
	s_clause 0x2
	scratch_store_b128 off, v[159:162], off
	scratch_store_b128 off, v[163:166], off offset:16
	scratch_store_b128 off, v[167:170], off offset:32
	v_dual_mov_b32 v182, v50 :: v_dual_mov_b32 v181, v49
	v_dual_mov_b32 v172, v40 :: v_dual_mov_b32 v171, v39
	;; [unrolled: 1-line block ×8, first 2 shown]
	s_delay_alu instid0(VALU_DEP_3)
	v_dual_mov_b32 v140, v176 :: v_dual_mov_b32 v141, v177
	v_dual_mov_b32 v138, v174 :: v_dual_mov_b32 v139, v175
	v_dual_mov_b32 v144, v180 :: v_dual_mov_b32 v145, v181
	v_mov_b32_e32 v146, v182
	v_dual_mov_b32 v136, v172 :: v_dual_mov_b32 v137, v173
	v_mov_b32_e32 v138, v42
	v_dual_mov_b32 v142, v178 :: v_dual_mov_b32 v143, v179
	v_mov_b32_e32 v53, v52
	v_mov_b32_e32 v139, v43
	;; [unrolled: 1-line block ×3, first 2 shown]
	v_dual_mov_b32 v147, v159 :: v_dual_mov_b32 v148, v160
	v_mov_b32_e32 v151, v163
	v_dual_mov_b32 v149, v161 :: v_dual_mov_b32 v150, v162
	v_dual_mov_b32 v153, v165 :: v_dual_mov_b32 v152, v164
	;; [unrolled: 1-line block ×16, first 2 shown]
	v_mov_b32_e32 v122, v146
	v_dual_mov_b32 v114, v138 :: v_dual_mov_b32 v117, v141
	v_dual_mov_b32 v116, v140 :: v_dual_mov_b32 v119, v143
	;; [unrolled: 1-line block ×14, first 2 shown]
	v_mov_b32_e32 v82, v118
	v_dual_mov_b32 v76, v112 :: v_dual_mov_b32 v81, v117
	v_dual_mov_b32 v80, v116 :: v_dual_mov_b32 v85, v121
	;; [unrolled: 1-line block ×6, first 2 shown]
	v_mov_b32_e32 v81, v45
	v_dual_mov_b32 v65, v89 :: v_dual_mov_b32 v72, v96
	v_mov_b32_e32 v29, v14
	s_delay_alu instid0(VALU_DEP_3)
	v_dual_mov_b32 v110, v86 :: v_dual_mov_b32 v105, v81
	v_dual_mov_b32 v70, v94 :: v_dual_mov_b32 v73, v97
	;; [unrolled: 1-line block ×11, first 2 shown]
	v_mov_b32_e32 v106, v46
	s_clause 0x2
	scratch_store_b128 off, v[1:4], off offset:48
	scratch_store_b128 off, v[5:8], off offset:64
	;; [unrolled: 1-line block ×3, first 2 shown]
	v_dual_mov_b32 v100, v76 :: v_dual_mov_b32 v1, v63
	v_dual_mov_b32 v10, v72 :: v_dual_mov_b32 v3, v65
	;; [unrolled: 1-line block ×16, first 2 shown]
	v_mov_b32_e32 v26, v50
.LBB232_49:
	s_or_b32 exec_lo, exec_lo, s2
	v_mov_b32_e32 v14, v30
	s_mov_b32 s2, exec_lo
	v_cmpx_lt_f32_e32 v13, v30
	s_cbranch_execz .LBB232_51
; %bb.50:
	s_clause 0x2
	scratch_load_b128 v[1:4], off, off
	scratch_load_b128 v[5:8], off, off offset:16
	scratch_load_b128 v[9:12], off, off offset:32
	v_mov_b32_e32 v161, v54
	v_dual_mov_b32 v29, v30 :: v_dual_mov_b32 v30, v13
	v_mov_b32_e32 v54, v53
	s_waitcnt vmcnt(0)
	v_dual_mov_b32 v170, v12 :: v_dual_mov_b32 v169, v11
	v_mov_b32_e32 v162, v4
	v_dual_mov_b32 v162, v53 :: v_dual_mov_b32 v173, v42
	v_dual_mov_b32 v160, v2 :: v_dual_mov_b32 v135, v171
	v_dual_mov_b32 v159, v1 :: v_dual_mov_b32 v168, v10
	v_dual_mov_b32 v167, v9 :: v_dual_mov_b32 v166, v8
	v_mov_b32_e32 v165, v7
	s_delay_alu instid0(VALU_DEP_3)
	v_dual_mov_b32 v1, v159 :: v_dual_mov_b32 v2, v160
	v_dual_mov_b32 v136, v172 :: v_dual_mov_b32 v3, v161
	v_mov_b32_e32 v138, v174
	v_dual_mov_b32 v164, v6 :: v_dual_mov_b32 v163, v5
	s_clause 0x2
	scratch_store_b128 off, v[1:4], off
	scratch_store_b128 off, v[5:8], off offset:16
	scratch_store_b128 off, v[9:12], off offset:32
	v_dual_mov_b32 v137, v173 :: v_dual_mov_b32 v140, v176
	v_dual_mov_b32 v138, v41 :: v_dual_mov_b32 v147, v159
	;; [unrolled: 1-line block ×12, first 2 shown]
	v_mov_b32_e32 v139, v43
	v_dual_mov_b32 v123, v147 :: v_dual_mov_b32 v126, v150
	v_dual_mov_b32 v124, v148 :: v_dual_mov_b32 v111, v135
	v_dual_mov_b32 v112, v136 :: v_dual_mov_b32 v125, v149
	s_delay_alu instid0(VALU_DEP_4)
	v_dual_mov_b32 v128, v152 :: v_dual_mov_b32 v115, v139
	v_dual_mov_b32 v116, v140 :: v_dual_mov_b32 v121, v145
	;; [unrolled: 1-line block ×6, first 2 shown]
	v_mov_b32_e32 v128, v56
	v_dual_mov_b32 v116, v44 :: v_dual_mov_b32 v87, v123
	v_dual_mov_b32 v113, v137 :: v_dual_mov_b32 v114, v138
	v_dual_mov_b32 v117, v141 :: v_dual_mov_b32 v118, v142
	v_dual_mov_b32 v119, v143 :: v_dual_mov_b32 v120, v144
	v_dual_mov_b32 v75, v111 :: v_dual_mov_b32 v76, v112
	v_dual_mov_b32 v88, v124 :: v_dual_mov_b32 v89, v125
	v_dual_mov_b32 v85, v121 :: v_dual_mov_b32 v86, v122
	v_dual_mov_b32 v90, v126 :: v_dual_mov_b32 v91, v127
	v_dual_mov_b32 v92, v128 :: v_dual_mov_b32 v93, v129
	v_dual_mov_b32 v94, v130 :: v_dual_mov_b32 v95, v131
	v_dual_mov_b32 v98, v134 :: v_dual_mov_b32 v93, v57
	v_dual_mov_b32 v79, v115 :: v_dual_mov_b32 v80, v116
	v_dual_mov_b32 v96, v132 :: v_dual_mov_b32 v97, v133
	v_dual_mov_b32 v77, v113 :: v_dual_mov_b32 v78, v114
	v_dual_mov_b32 v81, v117 :: v_dual_mov_b32 v82, v118
	v_dual_mov_b32 v83, v119 :: v_dual_mov_b32 v84, v120
	v_dual_mov_b32 v1, v135 :: v_dual_mov_b32 v2, v136
	v_mov_b32_e32 v81, v45
	v_dual_mov_b32 v7, v141 :: v_dual_mov_b32 v8, v142
	v_dual_mov_b32 v9, v143 :: v_dual_mov_b32 v10, v144
	;; [unrolled: 1-line block ×5, first 2 shown]
	v_mov_b32_e32 v64, v88
	v_dual_mov_b32 v110, v86 :: v_dual_mov_b32 v109, v85
	v_dual_mov_b32 v65, v89 :: v_dual_mov_b32 v68, v92
	v_dual_mov_b32 v67, v91 :: v_dual_mov_b32 v70, v94
	v_dual_mov_b32 v71, v95 :: v_dual_mov_b32 v74, v98
	v_dual_mov_b32 v104, v80 :: v_dual_mov_b32 v99, v75
	v_dual_mov_b32 v69, v93 :: v_dual_mov_b32 v72, v96
	v_dual_mov_b32 v73, v97 :: v_dual_mov_b32 v70, v58
	v_dual_mov_b32 v14, v13 :: v_dual_mov_b32 v107, v83
	v_dual_mov_b32 v108, v84 :: v_dual_mov_b32 v105, v81
	v_dual_mov_b32 v106, v82 :: v_dual_mov_b32 v101, v77
	v_mov_b32_e32 v102, v78
	v_dual_mov_b32 v42, v41 :: v_dual_mov_b32 v103, v79
	v_mov_b32_e32 v100, v76
	v_mov_b32_e32 v106, v46
	s_clause 0x2
	scratch_store_b128 off, v[1:4], off offset:48
	scratch_store_b128 off, v[5:8], off offset:64
	;; [unrolled: 1-line block ×3, first 2 shown]
	v_mov_b32_e32 v1, v63
	v_mov_b32_e32 v5, v67
	v_dual_mov_b32 v3, v65 :: v_dual_mov_b32 v12, v74
	v_dual_mov_b32 v15, v99 :: v_dual_mov_b32 v4, v66
	;; [unrolled: 1-line block ×14, first 2 shown]
	v_mov_b32_e32 v24, v48
	v_mov_b32_e32 v26, v50
.LBB232_51:
	s_or_b32 exec_lo, exec_lo, s2
	v_mov_b32_e32 v13, v31
	s_mov_b32 s2, exec_lo
	v_cmpx_lt_f32_e32 v14, v31
	s_cbranch_execz .LBB232_53
; %bb.52:
	s_clause 0x2
	scratch_load_b128 v[1:4], off, off
	scratch_load_b128 v[5:8], off, off offset:16
	scratch_load_b128 v[9:12], off, off offset:32
	v_dual_mov_b32 v30, v31 :: v_dual_mov_b32 v31, v14
	v_dual_mov_b32 v13, v14 :: v_dual_mov_b32 v162, v55
	v_mov_b32_e32 v55, v54
	s_waitcnt vmcnt(2)
	v_dual_mov_b32 v161, v3 :: v_dual_mov_b32 v160, v2
	s_waitcnt vmcnt(0)
	v_dual_mov_b32 v159, v1 :: v_dual_mov_b32 v170, v12
	v_dual_mov_b32 v169, v11 :: v_dual_mov_b32 v168, v10
	v_dual_mov_b32 v167, v9 :: v_dual_mov_b32 v166, v8
	v_dual_mov_b32 v165, v7 :: v_dual_mov_b32 v164, v6
	v_dual_mov_b32 v163, v5 :: v_dual_mov_b32 v174, v43
	v_dual_mov_b32 v147, v159 :: v_dual_mov_b32 v148, v160
	v_dual_mov_b32 v149, v161 :: v_dual_mov_b32 v158, v170
	v_dual_mov_b32 v135, v171 :: v_dual_mov_b32 v150, v162
	s_delay_alu instid0(VALU_DEP_4)
	v_dual_mov_b32 v151, v163 :: v_dual_mov_b32 v156, v168
	v_dual_mov_b32 v157, v169 :: v_dual_mov_b32 v136, v172
	;; [unrolled: 1-line block ×8, first 2 shown]
	v_mov_b32_e32 v145, v181
	v_mov_b32_e32 v139, v42
	v_mov_b32_e32 v151, v54
	v_dual_mov_b32 v146, v182 :: v_dual_mov_b32 v123, v147
	v_dual_mov_b32 v111, v135 :: v_dual_mov_b32 v112, v136
	;; [unrolled: 1-line block ×3, first 2 shown]
	s_delay_alu instid0(VALU_DEP_4)
	v_dual_mov_b32 v124, v148 :: v_dual_mov_b32 v127, v151
	v_dual_mov_b32 v128, v152 :: v_dual_mov_b32 v131, v155
	;; [unrolled: 1-line block ×9, first 2 shown]
	v_mov_b32_e32 v120, v144
	v_dual_mov_b32 v116, v44 :: v_dual_mov_b32 v87, v123
	v_mov_b32_e32 v114, v138
	v_dual_mov_b32 v98, v134 :: v_dual_mov_b32 v75, v111
	v_dual_mov_b32 v88, v124 :: v_dual_mov_b32 v89, v125
	;; [unrolled: 1-line block ×3, first 2 shown]
	v_mov_b32_e32 v86, v122
	v_dual_mov_b32 v90, v126 :: v_dual_mov_b32 v91, v127
	v_dual_mov_b32 v92, v128 :: v_dual_mov_b32 v93, v129
	;; [unrolled: 1-line block ×8, first 2 shown]
	v_mov_b32_e32 v79, v115
	v_mov_b32_e32 v81, v45
	v_dual_mov_b32 v63, v87 :: v_dual_mov_b32 v66, v90
	v_dual_mov_b32 v64, v88 :: v_dual_mov_b32 v73, v97
	;; [unrolled: 1-line block ×9, first 2 shown]
	v_mov_b32_e32 v108, v84
	v_dual_mov_b32 v106, v46 :: v_dual_mov_b32 v1, v63
	v_dual_mov_b32 v105, v81 :: v_dual_mov_b32 v104, v80
	;; [unrolled: 1-line block ×19, first 2 shown]
	v_mov_b32_e32 v26, v50
	v_mov_b32_e32 v43, v42
	s_clause 0x2
	scratch_store_b128 off, v[171:174], off offset:48
	scratch_store_b128 off, v[175:178], off offset:64
	;; [unrolled: 1-line block ×3, first 2 shown]
.LBB232_53:
	s_or_b32 exec_lo, exec_lo, s2
	v_mov_b32_e32 v14, v32
	s_mov_b32 s2, exec_lo
	v_cmpx_lt_f32_e32 v13, v32
	s_cbranch_execz .LBB232_55
; %bb.54:
	s_clause 0x2
	scratch_load_b128 v[1:4], off, off offset:48
	scratch_load_b128 v[5:8], off, off offset:64
	;; [unrolled: 1-line block ×3, first 2 shown]
	v_dual_mov_b32 v163, v56 :: v_dual_mov_b32 v14, v13
	v_dual_mov_b32 v56, v55 :: v_dual_mov_b32 v31, v32
	s_waitcnt vmcnt(2)
	v_dual_mov_b32 v138, v4 :: v_dual_mov_b32 v137, v3
	s_waitcnt vmcnt(0)
	v_dual_mov_b32 v146, v12 :: v_dual_mov_b32 v145, v11
	v_dual_mov_b32 v136, v2 :: v_dual_mov_b32 v135, v1
	;; [unrolled: 1-line block ×17, first 2 shown]
	v_mov_b32_e32 v120, v144
	v_mov_b32_e32 v116, v43
	v_dual_mov_b32 v87, v123 :: v_dual_mov_b32 v88, v124
	v_dual_mov_b32 v89, v125 :: v_dual_mov_b32 v98, v134
	;; [unrolled: 1-line block ×12, first 2 shown]
	v_mov_b32_e32 v79, v115
	v_mov_b32_e32 v81, v45
	v_dual_mov_b32 v63, v87 :: v_dual_mov_b32 v66, v90
	v_dual_mov_b32 v64, v88 :: v_dual_mov_b32 v73, v97
	;; [unrolled: 1-line block ×8, first 2 shown]
	v_mov_b32_e32 v70, v58
	v_dual_mov_b32 v106, v46 :: v_dual_mov_b32 v65, v89
	v_dual_mov_b32 v68, v92 :: v_dual_mov_b32 v105, v81
	;; [unrolled: 1-line block ×4, first 2 shown]
	v_mov_b32_e32 v100, v76
	v_dual_mov_b32 v32, v13 :: v_dual_mov_b32 v1, v63
	v_dual_mov_b32 v12, v74 :: v_dual_mov_b32 v15, v99
	v_mov_b32_e32 v26, v110
	v_dual_mov_b32 v8, v70 :: v_dual_mov_b32 v9, v71
	v_dual_mov_b32 v10, v72 :: v_dual_mov_b32 v11, v73
	;; [unrolled: 1-line block ×20, first 2 shown]
	v_mov_b32_e32 v44, v43
.LBB232_55:
	s_or_b32 exec_lo, exec_lo, s2
	v_mov_b32_e32 v13, v33
	s_mov_b32 s2, exec_lo
	v_cmpx_lt_f32_e32 v14, v33
	s_cbranch_execz .LBB232_57
; %bb.56:
	v_mov_b32_e32 v140, v45
	v_dual_mov_b32 v152, v57 :: v_dual_mov_b32 v75, v135
	v_dual_mov_b32 v87, v147 :: v_dual_mov_b32 v90, v150
	;; [unrolled: 1-line block ×3, first 2 shown]
	s_delay_alu instid0(VALU_DEP_3)
	v_dual_mov_b32 v92, v152 :: v_dual_mov_b32 v93, v153
	v_dual_mov_b32 v76, v136 :: v_dual_mov_b32 v79, v139
	;; [unrolled: 1-line block ×6, first 2 shown]
	v_mov_b32_e32 v93, v56
	v_dual_mov_b32 v84, v144 :: v_dual_mov_b32 v63, v87
	v_dual_mov_b32 v78, v138 :: v_dual_mov_b32 v81, v141
	;; [unrolled: 1-line block ×5, first 2 shown]
	s_delay_alu instid0(VALU_DEP_3) | instskip(SKIP_1) | instid1(VALU_DEP_4)
	v_dual_mov_b32 v110, v86 :: v_dual_mov_b32 v109, v85
	v_dual_mov_b32 v100, v76 :: v_dual_mov_b32 v99, v75
	;; [unrolled: 1-line block ×11, first 2 shown]
	v_mov_b32_e32 v106, v46
	v_dual_mov_b32 v70, v58 :: v_dual_mov_b32 v15, v99
	v_dual_mov_b32 v1, v63 :: v_dual_mov_b32 v24, v108
	;; [unrolled: 1-line block ×3, first 2 shown]
	s_delay_alu instid0(VALU_DEP_3)
	v_dual_mov_b32 v8, v70 :: v_dual_mov_b32 v9, v71
	v_dual_mov_b32 v10, v72 :: v_dual_mov_b32 v11, v73
	v_dual_mov_b32 v12, v74 :: v_dual_mov_b32 v17, v101
	v_dual_mov_b32 v20, v104 :: v_dual_mov_b32 v23, v107
	v_dual_mov_b32 v22, v106 :: v_dual_mov_b32 v25, v109
	v_dual_mov_b32 v26, v110 :: v_dual_mov_b32 v11, v61
	v_dual_mov_b32 v120, v144 :: v_dual_mov_b32 v123, v147
	v_dual_mov_b32 v32, v33 :: v_dual_mov_b32 v33, v14
	v_dual_mov_b32 v2, v64 :: v_dual_mov_b32 v3, v65
	v_dual_mov_b32 v4, v66 :: v_dual_mov_b32 v5, v67
	v_dual_mov_b32 v6, v68 :: v_dual_mov_b32 v7, v69
	v_dual_mov_b32 v16, v100 :: v_dual_mov_b32 v19, v103
	v_dual_mov_b32 v18, v102 :: v_dual_mov_b32 v21, v105
	v_dual_mov_b32 v9, v59 :: v_dual_mov_b32 v10, v60
	v_dual_mov_b32 v23, v47 :: v_dual_mov_b32 v12, v62
	v_dual_mov_b32 v25, v49 :: v_dual_mov_b32 v26, v50
	v_dual_mov_b32 v113, v137 :: v_dual_mov_b32 v112, v136
	v_dual_mov_b32 v115, v139 :: v_dual_mov_b32 v114, v138
	v_dual_mov_b32 v117, v141 :: v_dual_mov_b32 v116, v140
	v_dual_mov_b32 v119, v143 :: v_dual_mov_b32 v118, v142
	v_dual_mov_b32 v121, v145 :: v_dual_mov_b32 v122, v146
	v_dual_mov_b32 v125, v149 :: v_dual_mov_b32 v124, v148
	v_dual_mov_b32 v127, v151 :: v_dual_mov_b32 v126, v150
	v_dual_mov_b32 v129, v153 :: v_dual_mov_b32 v128, v152
	v_dual_mov_b32 v131, v155 :: v_dual_mov_b32 v130, v154
	v_dual_mov_b32 v133, v157 :: v_dual_mov_b32 v132, v156
	v_mov_b32_e32 v13, v14
	v_dual_mov_b32 v134, v158 :: v_dual_mov_b32 v45, v44
	v_mov_b32_e32 v57, v56
.LBB232_57:
	s_or_b32 exec_lo, exec_lo, s2
	v_mov_b32_e32 v14, v34
	s_mov_b32 s2, exec_lo
	v_cmpx_lt_f32_e32 v13, v34
	s_cbranch_execz .LBB232_59
; %bb.58:
	v_mov_b32_e32 v129, v58
	v_dual_mov_b32 v63, v123 :: v_dual_mov_b32 v70, v130
	v_dual_mov_b32 v70, v57 :: v_dual_mov_b32 v71, v131
	;; [unrolled: 1-line block ×22, first 2 shown]
	v_mov_b32_e32 v34, v13
	v_dual_mov_b32 v3, v65 :: v_dual_mov_b32 v4, v66
	v_dual_mov_b32 v5, v67 :: v_dual_mov_b32 v6, v68
	;; [unrolled: 1-line block ×20, first 2 shown]
	v_mov_b32_e32 v14, v13
	v_mov_b32_e32 v46, v45
	;; [unrolled: 1-line block ×3, first 2 shown]
.LBB232_59:
	s_or_b32 exec_lo, exec_lo, s2
	v_mov_b32_e32 v13, v35
	s_mov_b32 s2, exec_lo
	v_cmpx_lt_f32_e32 v14, v35
	s_cbranch_execz .LBB232_61
; %bb.60:
	v_mov_b32_e32 v94, v59
	v_dual_mov_b32 v34, v35 :: v_dual_mov_b32 v35, v14
	v_mov_b32_e32 v82, v47
	v_dual_mov_b32 v1, v87 :: v_dual_mov_b32 v2, v88
	v_dual_mov_b32 v10, v96 :: v_dual_mov_b32 v7, v93
	;; [unrolled: 1-line block ×13, first 2 shown]
	v_mov_b32_e32 v5, v91
	v_mov_b32_e32 v9, v58
	v_dual_mov_b32 v12, v62 :: v_dual_mov_b32 v17, v77
	v_dual_mov_b32 v16, v76 :: v_dual_mov_b32 v19, v79
	;; [unrolled: 1-line block ×14, first 2 shown]
	v_mov_b32_e32 v47, v46
	v_mov_b32_e32 v59, v58
	;; [unrolled: 1-line block ×3, first 2 shown]
.LBB232_61:
	s_or_b32 exec_lo, exec_lo, s2
	v_mov_b32_e32 v39, v36
	s_mov_b32 s2, exec_lo
	v_cmpx_lt_f32_e32 v13, v36
	s_cbranch_execz .LBB232_63
; %bb.62:
	v_dual_mov_b32 v71, v60 :: v_dual_mov_b32 v72, v59
	v_dual_mov_b32 v73, v61 :: v_dual_mov_b32 v108, v47
	;; [unrolled: 1-line block ×17, first 2 shown]
	v_mov_b32_e32 v39, v13
.LBB232_63:
	s_or_b32 exec_lo, exec_lo, s2
	s_delay_alu instid0(VALU_DEP_1)
	v_cmp_lt_f32_e32 vcc_lo, v39, v37
	v_dual_mov_b32 v40, v28 :: v_dual_mov_b32 v43, v31
	v_dual_mov_b32 v42, v30 :: v_dual_mov_b32 v45, v33
	v_dual_cndmask_b32 v13, v25, v24 :: v_dual_cndmask_b32 v24, v24, v25
	v_dual_cndmask_b32 v14, v11, v10 :: v_dual_cndmask_b32 v49, v37, v39
	v_dual_cndmask_b32 v10, v10, v11 :: v_dual_mov_b32 v39, v27
	v_dual_cndmask_b32 v48, v36, v37 :: v_dual_mov_b32 v41, v29
	v_dual_mov_b32 v44, v32 :: v_dual_mov_b32 v47, v35
	v_mov_b32_e32 v46, v34
	v_mov_b32_e32 v50, v38
	s_mov_b32 s2, exec_lo
	v_cmpx_lt_f32_e32 v27, v28
	s_cbranch_execz .LBB232_65
; %bb.64:
	v_dual_mov_b32 v28, v40 :: v_dual_mov_b32 v29, v39
	v_dual_mov_b32 v38, v49 :: v_dual_mov_b32 v39, v50
	;; [unrolled: 1-line block ×7, first 2 shown]
	v_mov_b32_e32 v11, v15
	v_swap_b32 v15, v16
	s_delay_alu instid0(VALU_DEP_4)
	v_mov_b32_e32 v48, v37
	v_swap_b32 v1, v2
	v_dual_mov_b32 v49, v38 :: v_dual_mov_b32 v46, v35
	v_dual_mov_b32 v47, v36 :: v_dual_mov_b32 v44, v33
	;; [unrolled: 1-line block ×4, first 2 shown]
	v_mov_b32_e32 v41, v30
	v_dual_mov_b32 v39, v28 :: v_dual_mov_b32 v28, v27
.LBB232_65:
	s_or_b32 exec_lo, exec_lo, s2
	v_mov_b32_e32 v11, v14
	v_dual_mov_b32 v25, v13 :: v_dual_mov_b32 v62, v12
	v_dual_mov_b32 v74, v26 :: v_dual_mov_b32 v63, v15
	v_mov_b32_e32 v86, v26
	v_dual_mov_b32 v72, v24 :: v_dual_mov_b32 v75, v15
	v_dual_mov_b32 v110, v26 :: v_dual_mov_b32 v53, v3
	;; [unrolled: 1-line block ×61, first 2 shown]
	v_mov_b32_e32 v149, v3
	v_mov_b32_e32 v147, v1
	;; [unrolled: 1-line block ×3, first 2 shown]
	s_mov_b32 s2, exec_lo
	v_dual_mov_b32 v85, v25 :: v_dual_mov_b32 v84, v24
	v_dual_mov_b32 v83, v23 :: v_dual_mov_b32 v82, v22
	s_clause 0x2
	scratch_store_b128 off, v[1:4], off
	scratch_store_b128 off, v[5:8], off offset:16
	scratch_store_b128 off, v[9:12], off offset:32
	v_cmpx_lt_f32_e32 v28, v41
	s_cbranch_execz .LBB232_67
; %bb.66:
	v_dual_mov_b32 v158, v12 :: v_dual_mov_b32 v157, v11
	v_dual_mov_b32 v150, v4 :: v_dual_mov_b32 v149, v3
	;; [unrolled: 1-line block ×7, first 2 shown]
	s_clause 0x2
	scratch_store_b128 off, v[147:150], off
	scratch_store_b128 off, v[151:154], off offset:16
	scratch_store_b128 off, v[155:158], off offset:32
	v_dual_mov_b32 v182, v26 :: v_dual_mov_b32 v181, v25
	v_dual_mov_b32 v172, v16 :: v_dual_mov_b32 v171, v15
	;; [unrolled: 1-line block ×8, first 2 shown]
	s_delay_alu instid0(VALU_DEP_4) | instskip(SKIP_1) | instid1(VALU_DEP_4)
	v_dual_mov_b32 v160, v172 :: v_dual_mov_b32 v161, v173
	v_dual_mov_b32 v162, v174 :: v_dual_mov_b32 v163, v175
	;; [unrolled: 1-line block ×4, first 2 shown]
	v_mov_b32_e32 v170, v182
	v_dual_mov_b32 v166, v178 :: v_dual_mov_b32 v167, v179
	v_mov_b32_e32 v162, v18
	v_dual_mov_b32 v40, v41 :: v_dual_mov_b32 v41, v28
	v_mov_b32_e32 v3, v2
	v_mov_b32_e32 v17, v16
	;; [unrolled: 1-line block ×3, first 2 shown]
	v_dual_mov_b32 v137, v149 :: v_dual_mov_b32 v144, v156
	v_dual_mov_b32 v123, v159 :: v_dual_mov_b32 v136, v148
	;; [unrolled: 1-line block ×12, first 2 shown]
	v_mov_b32_e32 v133, v169
	v_dual_mov_b32 v111, v135 :: v_dual_mov_b32 v112, v136
	v_dual_mov_b32 v99, v123 :: v_dual_mov_b32 v100, v124
	;; [unrolled: 1-line block ×12, first 2 shown]
	v_mov_b32_e32 v104, v20
	v_dual_mov_b32 v116, v6 :: v_dual_mov_b32 v75, v99
	v_mov_b32_e32 v87, v111
	v_dual_mov_b32 v93, v117 :: v_dual_mov_b32 v78, v102
	s_delay_alu instid0(VALU_DEP_3)
	v_dual_mov_b32 v81, v105 :: v_dual_mov_b32 v92, v116
	v_dual_mov_b32 v90, v114 :: v_dual_mov_b32 v91, v115
	;; [unrolled: 1-line block ×11, first 2 shown]
	v_mov_b32_e32 v51, v87
	v_dual_mov_b32 v63, v75 :: v_dual_mov_b32 v66, v78
	v_dual_mov_b32 v55, v91 :: v_dual_mov_b32 v58, v94
	;; [unrolled: 1-line block ×13, first 2 shown]
	v_mov_b32_e32 v60, v10
	v_dual_mov_b32 v61, v14 :: v_dual_mov_b32 v62, v12
	v_dual_mov_b32 v70, v22 :: v_dual_mov_b32 v71, v23
	;; [unrolled: 1-line block ×3, first 2 shown]
	v_mov_b32_e32 v74, v26
.LBB232_67:
	s_or_b32 exec_lo, exec_lo, s2
	v_mov_b32_e32 v1, v42
	v_cmp_lt_f32_e32 vcc_lo, v11, v42
	s_mov_b32 s2, exec_lo
	s_clause 0x2
	scratch_load_b128 v[27:30], off, off
	scratch_load_b128 v[31:34], off, off offset:16
	scratch_load_b128 v[35:38], off, off offset:32
	s_and_b32 s3, s2, vcc_lo
	s_delay_alu instid0(SALU_CYCLE_1)
	s_mov_b32 exec_lo, s3
	s_cbranch_execz .LBB232_69
; %bb.68:
	v_mov_b32_e32 v173, v18
	s_waitcnt vmcnt(2)
	v_mov_b32_e32 v29, v4
	v_dual_mov_b32 v159, v171 :: v_dual_mov_b32 v162, v174
	s_waitcnt vmcnt(0)
	v_dual_mov_b32 v158, v38 :: v_dual_mov_b32 v157, v37
	v_dual_mov_b32 v156, v36 :: v_dual_mov_b32 v147, v27
	;; [unrolled: 1-line block ×6, first 2 shown]
	v_mov_b32_e32 v168, v180
	v_dual_mov_b32 v164, v176 :: v_dual_mov_b32 v165, v177
	v_dual_mov_b32 v170, v182 :: v_dual_mov_b32 v155, v35
	;; [unrolled: 1-line block ×4, first 2 shown]
	v_mov_b32_e32 v162, v17
	v_dual_mov_b32 v169, v181 :: v_dual_mov_b32 v150, v3
	v_dual_mov_b32 v123, v159 :: v_dual_mov_b32 v124, v160
	;; [unrolled: 1-line block ×3, first 2 shown]
	s_delay_alu instid0(VALU_DEP_3)
	v_dual_mov_b32 v137, v149 :: v_dual_mov_b32 v138, v150
	v_dual_mov_b32 v139, v151 :: v_dual_mov_b32 v140, v152
	v_dual_mov_b32 v141, v153 :: v_dual_mov_b32 v142, v154
	v_dual_mov_b32 v127, v163 :: v_dual_mov_b32 v128, v164
	v_dual_mov_b32 v129, v165 :: v_dual_mov_b32 v130, v166
	v_dual_mov_b32 v143, v155 :: v_dual_mov_b32 v144, v156
	v_dual_mov_b32 v145, v157 :: v_dual_mov_b32 v146, v158
	v_dual_mov_b32 v125, v161 :: v_dual_mov_b32 v126, v162
	v_dual_mov_b32 v131, v167 :: v_dual_mov_b32 v132, v168
	v_dual_mov_b32 v133, v169 :: v_dual_mov_b32 v134, v170
	v_mov_b32_e32 v127, v19
	v_mov_b32_e32 v139, v5
	v_dual_mov_b32 v99, v123 :: v_dual_mov_b32 v100, v124
	v_dual_mov_b32 v111, v135 :: v_dual_mov_b32 v114, v138
	;; [unrolled: 1-line block ×4, first 2 shown]
	v_mov_b32_e32 v120, v144
	v_dual_mov_b32 v104, v128 :: v_dual_mov_b32 v105, v129
	v_dual_mov_b32 v110, v134 :: v_dual_mov_b32 v115, v139
	;; [unrolled: 1-line block ×22, first 2 shown]
	v_mov_b32_e32 v93, v7
	v_dual_mov_b32 v63, v75 :: v_dual_mov_b32 v68, v80
	v_dual_mov_b32 v64, v76 :: v_dual_mov_b32 v51, v87
	;; [unrolled: 1-line block ×3, first 2 shown]
	s_delay_alu instid0(VALU_DEP_4)
	v_dual_mov_b32 v58, v94 :: v_dual_mov_b32 v57, v93
	v_dual_mov_b32 v60, v96 :: v_dual_mov_b32 v59, v95
	v_dual_mov_b32 v62, v98 :: v_dual_mov_b32 v61, v97
	v_dual_mov_b32 v66, v78 :: v_dual_mov_b32 v65, v77
	v_dual_mov_b32 v70, v82 :: v_dual_mov_b32 v67, v79
	v_dual_mov_b32 v72, v84 :: v_dual_mov_b32 v69, v81
	v_dual_mov_b32 v74, v86 :: v_dual_mov_b32 v71, v83
	v_dual_mov_b32 v58, v8 :: v_dual_mov_b32 v73, v85
	v_mov_b32_e32 v60, v10
	v_dual_mov_b32 v52, v88 :: v_dual_mov_b32 v53, v89
	v_dual_mov_b32 v56, v92 :: v_dual_mov_b32 v59, v9
	;; [unrolled: 1-line block ×3, first 2 shown]
	v_mov_b32_e32 v72, v24
	v_dual_mov_b32 v70, v22 :: v_dual_mov_b32 v71, v23
	v_dual_mov_b32 v73, v13 :: v_dual_mov_b32 v74, v26
	;; [unrolled: 1-line block ×3, first 2 shown]
	v_mov_b32_e32 v4, v3
.LBB232_69:
	s_or_b32 exec_lo, exec_lo, s2
	v_mov_b32_e32 v2, v43
	s_mov_b32 s2, exec_lo
	v_cmpx_lt_f32_e32 v1, v43
	s_cbranch_execz .LBB232_71
; %bb.70:
	v_mov_b32_e32 v174, v19
	s_waitcnt vmcnt(2)
	v_dual_mov_b32 v30, v5 :: v_dual_mov_b32 v123, v171
	s_waitcnt vmcnt(0)
	v_dual_mov_b32 v146, v38 :: v_dual_mov_b32 v143, v35
	v_dual_mov_b32 v145, v37 :: v_dual_mov_b32 v142, v34
	s_delay_alu instid0(VALU_DEP_3)
	v_dual_mov_b32 v139, v31 :: v_dual_mov_b32 v138, v30
	v_dual_mov_b32 v135, v27 :: v_dual_mov_b32 v124, v172
	;; [unrolled: 1-line block ×5, first 2 shown]
	v_mov_b32_e32 v127, v18
	v_dual_mov_b32 v134, v182 :: v_dual_mov_b32 v139, v4
	v_dual_mov_b32 v144, v36 :: v_dual_mov_b32 v141, v33
	;; [unrolled: 1-line block ×5, first 2 shown]
	s_delay_alu instid0(VALU_DEP_3)
	v_dual_mov_b32 v111, v135 :: v_dual_mov_b32 v112, v136
	v_dual_mov_b32 v99, v123 :: v_dual_mov_b32 v100, v124
	;; [unrolled: 1-line block ×12, first 2 shown]
	v_mov_b32_e32 v104, v20
	v_dual_mov_b32 v116, v6 :: v_dual_mov_b32 v75, v99
	v_mov_b32_e32 v87, v111
	v_dual_mov_b32 v93, v117 :: v_dual_mov_b32 v78, v102
	s_delay_alu instid0(VALU_DEP_3)
	v_dual_mov_b32 v81, v105 :: v_dual_mov_b32 v92, v116
	v_dual_mov_b32 v80, v104 :: v_dual_mov_b32 v83, v107
	;; [unrolled: 1-line block ×11, first 2 shown]
	v_mov_b32_e32 v63, v75
	s_delay_alu instid0(VALU_DEP_4)
	v_dual_mov_b32 v51, v87 :: v_dual_mov_b32 v52, v88
	v_dual_mov_b32 v71, v83 :: v_dual_mov_b32 v72, v84
	v_dual_mov_b32 v57, v93 :: v_dual_mov_b32 v58, v94
	v_dual_mov_b32 v59, v95 :: v_dual_mov_b32 v60, v96
	v_dual_mov_b32 v61, v97 :: v_dual_mov_b32 v62, v98
	v_dual_mov_b32 v69, v81 :: v_dual_mov_b32 v70, v82
	v_dual_mov_b32 v73, v85 :: v_dual_mov_b32 v74, v86
	v_dual_mov_b32 v72, v24 :: v_dual_mov_b32 v159, v171
	v_dual_mov_b32 v158, v38 :: v_dual_mov_b32 v153, v33
	v_dual_mov_b32 v42, v43 :: v_dual_mov_b32 v43, v1
	v_dual_mov_b32 v53, v89 :: v_dual_mov_b32 v54, v90
	v_dual_mov_b32 v55, v91 :: v_dual_mov_b32 v56, v92
	v_dual_mov_b32 v64, v76 :: v_dual_mov_b32 v65, v77
	v_dual_mov_b32 v66, v78 :: v_dual_mov_b32 v67, v79
	v_mov_b32_e32 v68, v80
	v_dual_mov_b32 v58, v8 :: v_dual_mov_b32 v59, v9
	v_dual_mov_b32 v60, v10 :: v_dual_mov_b32 v71, v23
	;; [unrolled: 1-line block ×16, first 2 shown]
	v_mov_b32_e32 v2, v1
.LBB232_71:
	s_or_b32 exec_lo, exec_lo, s2
	v_mov_b32_e32 v1, v44
	s_mov_b32 s2, exec_lo
	s_delay_alu instid0(VALU_DEP_2)
	v_cmpx_lt_f32_e32 v2, v44
	s_cbranch_execz .LBB232_73
; %bb.72:
	v_mov_b32_e32 v163, v20
	v_mov_b32_e32 v151, v6
	v_dual_mov_b32 v99, v159 :: v_dual_mov_b32 v100, v160
	v_dual_mov_b32 v111, v147 :: v_dual_mov_b32 v112, v148
	;; [unrolled: 1-line block ×10, first 2 shown]
	v_mov_b32_e32 v108, v168
	v_dual_mov_b32 v104, v164 :: v_dual_mov_b32 v107, v167
	v_mov_b32_e32 v116, v5
	v_dual_mov_b32 v109, v169 :: v_dual_mov_b32 v104, v19
	v_dual_mov_b32 v87, v111 :: v_dual_mov_b32 v88, v112
	;; [unrolled: 1-line block ×13, first 2 shown]
	v_mov_b32_e32 v93, v7
	v_dual_mov_b32 v43, v44 :: v_dual_mov_b32 v44, v2
	v_mov_b32_e32 v81, v21
	v_dual_mov_b32 v51, v87 :: v_dual_mov_b32 v56, v92
	v_dual_mov_b32 v52, v88 :: v_dual_mov_b32 v63, v75
	;; [unrolled: 1-line block ×14, first 2 shown]
	v_mov_b32_e32 v136, v148
	v_dual_mov_b32 v54, v90 :: v_dual_mov_b32 v59, v9
	v_dual_mov_b32 v62, v12 :: v_dual_mov_b32 v61, v14
	v_mov_b32_e32 v72, v24
	v_dual_mov_b32 v70, v22 :: v_dual_mov_b32 v71, v23
	v_dual_mov_b32 v73, v13 :: v_dual_mov_b32 v74, v26
	;; [unrolled: 1-line block ×13, first 2 shown]
	v_mov_b32_e32 v6, v5
.LBB232_73:
	s_or_b32 exec_lo, exec_lo, s2
	v_mov_b32_e32 v2, v45
	s_mov_b32 s2, exec_lo
	v_cmpx_lt_f32_e32 v1, v45
	s_cbranch_execz .LBB232_75
; %bb.74:
	v_mov_b32_e32 v140, v7
	v_dual_mov_b32 v128, v21 :: v_dual_mov_b32 v87, v135
	v_mov_b32_e32 v93, v141
	v_mov_b32_e32 v93, v6
	;; [unrolled: 1-line block ×3, first 2 shown]
	v_dual_mov_b32 v92, v140 :: v_dual_mov_b32 v95, v143
	v_dual_mov_b32 v96, v144 :: v_dual_mov_b32 v97, v145
	;; [unrolled: 1-line block ×42, first 2 shown]
	v_mov_b32_e32 v2, v1
.LBB232_75:
	s_or_b32 exec_lo, exec_lo, s2
	v_mov_b32_e32 v1, v46
	s_mov_b32 s2, exec_lo
	s_delay_alu instid0(VALU_DEP_2)
	v_cmpx_lt_f32_e32 v2, v46
	s_cbranch_execz .LBB232_77
; %bb.76:
	v_mov_b32_e32 v117, v8
	v_mov_b32_e32 v45, v46
	;; [unrolled: 1-line block ×4, first 2 shown]
	v_dual_mov_b32 v51, v111 :: v_dual_mov_b32 v54, v114
	v_dual_mov_b32 v56, v116 :: v_dual_mov_b32 v63, v99
	v_dual_mov_b32 v66, v102 :: v_dual_mov_b32 v53, v113
	v_dual_mov_b32 v58, v118 :: v_dual_mov_b32 v55, v115
	v_dual_mov_b32 v60, v120 :: v_dual_mov_b32 v57, v117
	v_dual_mov_b32 v62, v122 :: v_dual_mov_b32 v59, v119
	v_dual_mov_b32 v60, v10 :: v_dual_mov_b32 v61, v121
	v_mov_b32_e32 v58, v7
	v_dual_mov_b32 v67, v103 :: v_dual_mov_b32 v70, v106
	v_dual_mov_b32 v69, v105 :: v_dual_mov_b32 v72, v108
	v_dual_mov_b32 v71, v107 :: v_dual_mov_b32 v74, v110
	v_dual_mov_b32 v73, v109 :: v_dual_mov_b32 v72, v24
	v_dual_mov_b32 v75, v99 :: v_dual_mov_b32 v76, v100
	v_dual_mov_b32 v87, v111 :: v_dual_mov_b32 v88, v112
	v_dual_mov_b32 v52, v112 :: v_dual_mov_b32 v59, v9
	v_dual_mov_b32 v62, v12 :: v_dual_mov_b32 v61, v14
	v_dual_mov_b32 v64, v100 :: v_dual_mov_b32 v65, v101
	v_mov_b32_e32 v68, v104
	v_dual_mov_b32 v70, v21 :: v_dual_mov_b32 v71, v23
	v_dual_mov_b32 v73, v13 :: v_dual_mov_b32 v74, v26
	;; [unrolled: 10-line block ×3, first 2 shown]
	v_dual_mov_b32 v95, v119 :: v_dual_mov_b32 v96, v120
	v_dual_mov_b32 v97, v121 :: v_dual_mov_b32 v98, v122
.LBB232_77:
	s_or_b32 exec_lo, exec_lo, s2
	v_mov_b32_e32 v2, v47
	s_mov_b32 s2, exec_lo
	v_cmpx_lt_f32_e32 v1, v47
	s_cbranch_execz .LBB232_79
; %bb.78:
	v_dual_mov_b32 v83, v22 :: v_dual_mov_b32 v84, v24
	v_dual_mov_b32 v94, v9 :: v_dual_mov_b32 v95, v8
	;; [unrolled: 1-line block ×4, first 2 shown]
	v_mov_b32_e32 v86, v26
	v_dual_mov_b32 v46, v47 :: v_dual_mov_b32 v47, v1
	v_dual_mov_b32 v98, v12 :: v_dual_mov_b32 v63, v75
	;; [unrolled: 1-line block ×13, first 2 shown]
	v_mov_b32_e32 v62, v98
	v_mov_b32_e32 v2, v1
.LBB232_79:
	s_or_b32 exec_lo, exec_lo, s2
	s_delay_alu instid0(VALU_DEP_1)
	v_cmp_lt_f32_e32 vcc_lo, v2, v48
	v_dual_mov_b32 v1, v39 :: v_dual_mov_b32 v6, v44
	v_dual_mov_b32 v3, v41 :: v_dual_mov_b32 v8, v46
	s_waitcnt vmcnt(0)
	v_dual_cndmask_b32 v37, v72, v71 :: v_dual_mov_b32 v4, v42
	v_dual_cndmask_b32 v71, v71, v72 :: v_dual_cndmask_b32 v38, v60, v59
	v_dual_cndmask_b32 v59, v59, v60 :: v_dual_cndmask_b32 v10, v48, v2
	v_dual_cndmask_b32 v9, v47, v48 :: v_dual_mov_b32 v2, v40
	v_dual_mov_b32 v5, v43 :: v_dual_mov_b32 v12, v50
	v_mov_b32_e32 v7, v45
	v_mov_b32_e32 v11, v49
	s_mov_b32 s2, exec_lo
	v_cmpx_lt_f32_e32 v39, v40
	s_cbranch_execz .LBB232_81
; %bb.80:
	v_dual_mov_b32 v13, v2 :: v_dual_mov_b32 v14, v1
	v_dual_mov_b32 v15, v3 :: v_dual_mov_b32 v16, v4
	;; [unrolled: 1-line block ×6, first 2 shown]
	v_mov_b32_e32 v25, v63
	v_dual_mov_b32 v26, v51 :: v_dual_mov_b32 v1, v13
	v_swap_b32 v63, v64
	v_swap_b32 v51, v52
	v_dual_mov_b32 v2, v14 :: v_dual_mov_b32 v3, v15
	v_dual_mov_b32 v4, v16 :: v_dual_mov_b32 v5, v17
	;; [unrolled: 1-line block ×5, first 2 shown]
	v_mov_b32_e32 v12, v24
	v_mov_b32_e32 v40, v39
.LBB232_81:
	s_or_b32 exec_lo, exec_lo, s2
	v_mov_b32_e32 v60, v38
	v_dual_mov_b32 v72, v37 :: v_dual_mov_b32 v13, v51
	v_dual_mov_b32 v25, v63 :: v_dual_mov_b32 v98, v74
	;; [unrolled: 1-line block ×60, first 2 shown]
	s_mov_b32 s2, exec_lo
	v_dual_mov_b32 v96, v72 :: v_dual_mov_b32 v93, v69
	v_cmpx_lt_f32_e32 v40, v3
	s_cbranch_execz .LBB232_83
; %bb.82:
	v_dual_mov_b32 v134, v62 :: v_dual_mov_b32 v133, v61
	v_dual_mov_b32 v124, v52 :: v_dual_mov_b32 v123, v51
	v_mov_b32_e32 v124, v53
	v_dual_mov_b32 v128, v56 :: v_dual_mov_b32 v127, v55
	v_dual_mov_b32 v132, v60 :: v_dual_mov_b32 v131, v59
	;; [unrolled: 1-line block ×11, first 2 shown]
	v_mov_b32_e32 v141, v69
	v_dual_mov_b32 v136, v65 :: v_dual_mov_b32 v137, v64
	v_dual_mov_b32 v160, v124 :: v_dual_mov_b32 v159, v123
	;; [unrolled: 1-line block ×40, first 2 shown]
	v_mov_b32_e32 v22, v84
	v_dual_mov_b32 v22, v38 :: v_dual_mov_b32 v25, v87
	v_dual_mov_b32 v16, v78 :: v_dual_mov_b32 v19, v81
	;; [unrolled: 1-line block ×16, first 2 shown]
	v_mov_b32_e32 v35, v73
	v_dual_mov_b32 v34, v37 :: v_dual_mov_b32 v39, v40
	v_dual_mov_b32 v36, v74 :: v_dual_mov_b32 v65, v64
	v_mov_b32_e32 v53, v52
.LBB232_83:
	s_or_b32 exec_lo, exec_lo, s2
	v_mov_b32_e32 v40, v4
	s_mov_b32 s2, exec_lo
	v_cmpx_lt_f32_e32 v39, v4
	s_cbranch_execz .LBB232_85
; %bb.84:
	v_mov_b32_e32 v137, v66
	v_mov_b32_e32 v125, v54
	v_mov_b32_e32 v158, v146
	v_mov_b32_e32 v156, v144
	v_dual_mov_b32 v170, v134 :: v_dual_mov_b32 v169, v133
	v_dual_mov_b32 v168, v132 :: v_dual_mov_b32 v159, v123
	;; [unrolled: 1-line block ×9, first 2 shown]
	v_mov_b32_e32 v157, v145
	v_dual_mov_b32 v155, v143 :: v_dual_mov_b32 v152, v140
	v_mov_b32_e32 v162, v53
	v_mov_b32_e32 v149, v137
	v_dual_mov_b32 v150, v65 :: v_dual_mov_b32 v111, v159
	v_dual_mov_b32 v112, v160 :: v_dual_mov_b32 v99, v147
	;; [unrolled: 1-line block ×13, first 2 shown]
	v_mov_b32_e32 v115, v55
	v_dual_mov_b32 v87, v99 :: v_dual_mov_b32 v88, v100
	v_dual_mov_b32 v75, v111 :: v_dual_mov_b32 v78, v114
	;; [unrolled: 1-line block ×3, first 2 shown]
	s_delay_alu instid0(VALU_DEP_4)
	v_dual_mov_b32 v80, v116 :: v_dual_mov_b32 v79, v115
	v_dual_mov_b32 v82, v118 :: v_dual_mov_b32 v81, v117
	v_dual_mov_b32 v84, v120 :: v_dual_mov_b32 v83, v119
	v_dual_mov_b32 v86, v122 :: v_dual_mov_b32 v85, v121
	v_dual_mov_b32 v90, v102 :: v_dual_mov_b32 v89, v101
	v_dual_mov_b32 v94, v106 :: v_dual_mov_b32 v91, v103
	v_mov_b32_e32 v96, v108
	v_dual_mov_b32 v92, v104 :: v_dual_mov_b32 v93, v105
	v_dual_mov_b32 v98, v110 :: v_dual_mov_b32 v95, v107
	;; [unrolled: 1-line block ×21, first 2 shown]
	v_mov_b32_e32 v34, v37
	v_dual_mov_b32 v35, v73 :: v_dual_mov_b32 v36, v74
	v_mov_b32_e32 v40, v39
	v_mov_b32_e32 v66, v65
	;; [unrolled: 1-line block ×3, first 2 shown]
.LBB232_85:
	s_or_b32 exec_lo, exec_lo, s2
	v_mov_b32_e32 v39, v5
	s_mov_b32 s2, exec_lo
	v_cmpx_lt_f32_e32 v40, v5
	s_cbranch_execz .LBB232_87
; %bb.86:
	v_mov_b32_e32 v126, v55
	v_mov_b32_e32 v111, v123
	;; [unrolled: 1-line block ×3, first 2 shown]
	v_dual_mov_b32 v115, v54 :: v_dual_mov_b32 v116, v128
	v_dual_mov_b32 v138, v67 :: v_dual_mov_b32 v113, v125
	v_mov_b32_e32 v112, v124
	v_dual_mov_b32 v118, v130 :: v_dual_mov_b32 v119, v131
	v_dual_mov_b32 v120, v132 :: v_dual_mov_b32 v121, v133
	;; [unrolled: 1-line block ×24, first 2 shown]
	v_mov_b32_e32 v22, v84
	v_dual_mov_b32 v22, v38 :: v_dual_mov_b32 v25, v87
	v_dual_mov_b32 v16, v78 :: v_dual_mov_b32 v19, v81
	;; [unrolled: 1-line block ×18, first 2 shown]
	v_mov_b32_e32 v35, v73
	v_dual_mov_b32 v34, v37 :: v_dual_mov_b32 v155, v143
	v_dual_mov_b32 v36, v74 :: v_dual_mov_b32 v157, v145
	;; [unrolled: 1-line block ×12, first 2 shown]
	v_mov_b32_e32 v55, v54
.LBB232_87:
	s_or_b32 exec_lo, exec_lo, s2
	v_mov_b32_e32 v40, v6
	s_mov_b32 s2, exec_lo
	v_cmpx_lt_f32_e32 v39, v6
	s_cbranch_execz .LBB232_89
; %bb.88:
	v_mov_b32_e32 v163, v56
	v_dual_mov_b32 v75, v159 :: v_dual_mov_b32 v80, v164
	v_dual_mov_b32 v80, v55 :: v_dual_mov_b32 v81, v165
	;; [unrolled: 1-line block ×7, first 2 shown]
	v_mov_b32_e32 v85, v169
	v_dual_mov_b32 v89, v149 :: v_dual_mov_b32 v92, v152
	v_dual_mov_b32 v91, v151 :: v_dual_mov_b32 v94, v154
	;; [unrolled: 1-line block ×6, first 2 shown]
	v_mov_b32_e32 v88, v148
	v_mov_b32_e32 v6, v39
	s_delay_alu instid0(VALU_DEP_3) | instskip(NEXT) | instid1(VALU_DEP_3)
	v_dual_mov_b32 v13, v75 :: v_dual_mov_b32 v14, v76
	v_dual_mov_b32 v25, v87 :: v_dual_mov_b32 v26, v88
	;; [unrolled: 1-line block ×30, first 2 shown]
	v_mov_b32_e32 v40, v39
	v_mov_b32_e32 v68, v67
	;; [unrolled: 1-line block ×3, first 2 shown]
.LBB232_89:
	s_or_b32 exec_lo, exec_lo, s2
	v_mov_b32_e32 v39, v7
	s_mov_b32 s2, exec_lo
	v_cmpx_lt_f32_e32 v40, v7
	s_cbranch_execz .LBB232_91
; %bb.90:
	v_mov_b32_e32 v116, v57
	v_dual_mov_b32 v6, v7 :: v_dual_mov_b32 v7, v40
	v_dual_mov_b32 v104, v69 :: v_dual_mov_b32 v13, v111
	v_mov_b32_e32 v22, v120
	v_dual_mov_b32 v22, v38 :: v_dual_mov_b32 v25, v99
	v_mov_b32_e32 v34, v108
	v_dual_mov_b32 v34, v37 :: v_dual_mov_b32 v87, v99
	v_dual_mov_b32 v16, v114 :: v_dual_mov_b32 v19, v117
	;; [unrolled: 1-line block ×12, first 2 shown]
	v_mov_b32_e32 v23, v61
	v_dual_mov_b32 v21, v59 :: v_dual_mov_b32 v24, v62
	v_dual_mov_b32 v27, v101 :: v_dual_mov_b32 v26, v100
	;; [unrolled: 1-line block ×3, first 2 shown]
	v_mov_b32_e32 v35, v73
	v_dual_mov_b32 v33, v71 :: v_dual_mov_b32 v36, v74
	v_dual_mov_b32 v89, v101 :: v_dual_mov_b32 v88, v100
	;; [unrolled: 1-line block ×9, first 2 shown]
	v_mov_b32_e32 v39, v40
	v_mov_b32_e32 v69, v68
	v_dual_mov_b32 v57, v56 :: v_dual_mov_b32 v94, v106
	v_dual_mov_b32 v97, v109 :: v_dual_mov_b32 v82, v118
	;; [unrolled: 1-line block ×3, first 2 shown]
.LBB232_91:
	s_or_b32 exec_lo, exec_lo, s2
	v_mov_b32_e32 v40, v8
	s_mov_b32 s2, exec_lo
	v_cmpx_lt_f32_e32 v39, v8
	s_cbranch_execz .LBB232_93
; %bb.92:
	v_dual_mov_b32 v81, v58 :: v_dual_mov_b32 v82, v57
	v_dual_mov_b32 v83, v59 :: v_dual_mov_b32 v84, v38
	;; [unrolled: 1-line block ×19, first 2 shown]
	v_mov_b32_e32 v40, v39
.LBB232_93:
	s_or_b32 exec_lo, exec_lo, s2
	s_delay_alu instid0(VALU_DEP_1)
	v_cmp_lt_f32_e32 vcc_lo, v40, v9
	v_dual_mov_b32 v38, v2 :: v_dual_mov_b32 v41, v5
	v_dual_mov_b32 v42, v6 :: v_dual_mov_b32 v47, v11
	v_dual_cndmask_b32 v145, v33, v32 :: v_dual_cndmask_b32 v32, v32, v33
	v_dual_cndmask_b32 v146, v21, v20 :: v_dual_mov_b32 v39, v3
	v_dual_cndmask_b32 v20, v20, v21 :: v_dual_cndmask_b32 v45, v9, v40
	v_dual_cndmask_b32 v44, v8, v9 :: v_dual_mov_b32 v37, v1
	v_dual_mov_b32 v40, v4 :: v_dual_mov_b32 v43, v7
	v_mov_b32_e32 v46, v10
	v_mov_b32_e32 v48, v12
	s_mov_b32 s2, exec_lo
	v_cmpx_lt_f32_e32 v1, v2
	s_cbranch_execz .LBB232_95
; %bb.94:
	v_dual_mov_b32 v49, v38 :: v_dual_mov_b32 v50, v37
	v_dual_mov_b32 v51, v39 :: v_dual_mov_b32 v52, v40
	;; [unrolled: 1-line block ×6, first 2 shown]
	v_mov_b32_e32 v3, v25
	v_mov_b32_e32 v4, v13
	v_dual_mov_b32 v37, v49 :: v_dual_mov_b32 v40, v52
	v_swap_b32 v25, v26
	v_swap_b32 v13, v14
	v_dual_mov_b32 v38, v50 :: v_dual_mov_b32 v39, v51
	v_dual_mov_b32 v41, v53 :: v_dual_mov_b32 v42, v54
	;; [unrolled: 1-line block ×5, first 2 shown]
	v_mov_b32_e32 v2, v1
.LBB232_95:
	s_or_b32 exec_lo, exec_lo, s2
	v_mov_b32_e32 v21, v146
	v_dual_mov_b32 v33, v145 :: v_dual_mov_b32 v60, v24
	v_dual_mov_b32 v72, v36 :: v_dual_mov_b32 v61, v25
	;; [unrolled: 1-line block ×43, first 2 shown]
	v_mov_b32_e32 v97, v13
	v_mov_b32_e32 v1, v39
	s_mov_b32 s2, exec_lo
	v_dual_mov_b32 v95, v35 :: v_dual_mov_b32 v94, v34
	v_dual_mov_b32 v93, v33 :: v_dual_mov_b32 v92, v32
	;; [unrolled: 1-line block ×5, first 2 shown]
	v_cmpx_lt_f32_e32 v2, v39
	s_cbranch_execz .LBB232_97
; %bb.96:
	v_dual_mov_b32 v108, v24 :: v_dual_mov_b32 v107, v23
	v_dual_mov_b32 v98, v14 :: v_dual_mov_b32 v97, v13
	v_mov_b32_e32 v98, v15
	v_dual_mov_b32 v104, v20 :: v_dual_mov_b32 v103, v19
	v_dual_mov_b32 v100, v16 :: v_dual_mov_b32 v99, v15
	;; [unrolled: 1-line block ×26, first 2 shown]
	v_mov_b32_e32 v84, v144
	v_dual_mov_b32 v74, v134 :: v_dual_mov_b32 v77, v137
	v_mov_b32_e32 v75, v135
	v_dual_mov_b32 v38, v39 :: v_dual_mov_b32 v85, v121
	v_dual_mov_b32 v76, v136 :: v_dual_mov_b32 v79, v139
	;; [unrolled: 1-line block ×10, first 2 shown]
	v_mov_b32_e32 v39, v2
	v_dual_mov_b32 v49, v73 :: v_dual_mov_b32 v50, v74
	v_dual_mov_b32 v59, v83 :: v_dual_mov_b32 v60, v84
	;; [unrolled: 1-line block ×18, first 2 shown]
	v_mov_b32_e32 v70, v34
	v_dual_mov_b32 v72, v36 :: v_dual_mov_b32 v1, v2
	v_mov_b32_e32 v27, v26
	v_mov_b32_e32 v15, v14
.LBB232_97:
	s_or_b32 exec_lo, exec_lo, s2
	v_mov_b32_e32 v2, v40
	s_mov_b32 s2, exec_lo
	v_cmpx_lt_f32_e32 v1, v40
	s_cbranch_execz .LBB232_99
; %bb.98:
	v_mov_b32_e32 v99, v16
	v_mov_b32_e32 v144, v108
	;; [unrolled: 1-line block ×3, first 2 shown]
	v_dual_mov_b32 v136, v15 :: v_dual_mov_b32 v111, v28
	v_dual_mov_b32 v142, v106 :: v_dual_mov_b32 v133, v97
	;; [unrolled: 1-line block ×4, first 2 shown]
	v_mov_b32_e32 v135, v99
	v_dual_mov_b32 v125, v113 :: v_dual_mov_b32 v124, v112
	v_mov_b32_e32 v143, v107
	v_dual_mov_b32 v141, v105 :: v_dual_mov_b32 v140, v104
	v_dual_mov_b32 v139, v103 :: v_dual_mov_b32 v138, v102
	v_dual_mov_b32 v131, v119 :: v_dual_mov_b32 v130, v118
	v_dual_mov_b32 v129, v117 :: v_dual_mov_b32 v128, v116
	v_dual_mov_b32 v127, v115 :: v_dual_mov_b32 v126, v114
	v_dual_mov_b32 v123, v111 :: v_dual_mov_b32 v122, v110
	v_dual_mov_b32 v124, v27 :: v_dual_mov_b32 v73, v133
	v_dual_mov_b32 v74, v134 :: v_dual_mov_b32 v85, v121
	v_dual_mov_b32 v75, v135 :: v_dual_mov_b32 v76, v136
	v_dual_mov_b32 v77, v137 :: v_dual_mov_b32 v78, v138
	v_dual_mov_b32 v89, v125 :: v_dual_mov_b32 v92, v128
	v_dual_mov_b32 v79, v139 :: v_dual_mov_b32 v80, v140
	v_dual_mov_b32 v81, v141 :: v_dual_mov_b32 v82, v142
	v_dual_mov_b32 v83, v143 :: v_dual_mov_b32 v84, v144
	v_dual_mov_b32 v77, v17 :: v_dual_mov_b32 v86, v122
	v_dual_mov_b32 v87, v123 :: v_dual_mov_b32 v90, v126
	v_dual_mov_b32 v91, v127 :: v_dual_mov_b32 v94, v130
	v_dual_mov_b32 v93, v129 :: v_dual_mov_b32 v96, v132
	v_mov_b32_e32 v95, v131
	v_dual_mov_b32 v89, v29 :: v_dual_mov_b32 v88, v124
	v_dual_mov_b32 v49, v73 :: v_dual_mov_b32 v54, v78
	v_mov_b32_e32 v50, v74
	v_dual_mov_b32 v52, v76 :: v_dual_mov_b32 v61, v85
	s_delay_alu instid0(VALU_DEP_4)
	v_dual_mov_b32 v64, v88 :: v_dual_mov_b32 v51, v75
	v_dual_mov_b32 v56, v80 :: v_dual_mov_b32 v53, v77
	;; [unrolled: 1-line block ×12, first 2 shown]
	v_mov_b32_e32 v58, v22
	v_dual_mov_b32 v57, v146 :: v_dual_mov_b32 v60, v24
	v_dual_mov_b32 v59, v23 :: v_dual_mov_b32 v62, v86
	;; [unrolled: 1-line block ×5, first 2 shown]
	v_mov_b32_e32 v2, v1
	v_mov_b32_e32 v28, v27
	;; [unrolled: 1-line block ×3, first 2 shown]
.LBB232_99:
	s_or_b32 exec_lo, exec_lo, s2
	v_mov_b32_e32 v1, v41
	s_mov_b32 s2, exec_lo
	v_cmpx_lt_f32_e32 v2, v41
	s_cbranch_execz .LBB232_101
; %bb.100:
	v_mov_b32_e32 v100, v17
	v_mov_b32_e32 v73, v97
	;; [unrolled: 1-line block ×3, first 2 shown]
	v_dual_mov_b32 v77, v16 :: v_dual_mov_b32 v78, v102
	v_dual_mov_b32 v112, v29 :: v_dual_mov_b32 v75, v99
	;; [unrolled: 1-line block ×3, first 2 shown]
	v_mov_b32_e32 v84, v108
	v_dual_mov_b32 v74, v98 :: v_dual_mov_b32 v85, v109
	v_mov_b32_e32 v86, v110
	v_dual_mov_b32 v76, v100 :: v_dual_mov_b32 v79, v103
	v_dual_mov_b32 v80, v104 :: v_dual_mov_b32 v81, v105
	;; [unrolled: 1-line block ×8, first 2 shown]
	v_mov_b32_e32 v49, v73
	v_dual_mov_b32 v89, v28 :: v_dual_mov_b32 v50, v74
	v_dual_mov_b32 v59, v83 :: v_dual_mov_b32 v60, v84
	;; [unrolled: 1-line block ×32, first 2 shown]
	v_mov_b32_e32 v17, v16
.LBB232_101:
	s_or_b32 exec_lo, exec_lo, s2
	v_mov_b32_e32 v2, v42
	s_mov_b32 s2, exec_lo
	v_cmpx_lt_f32_e32 v1, v42
	s_cbranch_execz .LBB232_103
; %bb.102:
	v_mov_b32_e32 v137, v18
	v_mov_b32_e32 v125, v30
	v_dual_mov_b32 v41, v42 :: v_dual_mov_b32 v42, v1
	v_dual_mov_b32 v49, v133 :: v_dual_mov_b32 v50, v134
	;; [unrolled: 1-line block ×13, first 2 shown]
	v_mov_b32_e32 v66, v29
	v_dual_mov_b32 v85, v121 :: v_dual_mov_b32 v86, v122
	v_dual_mov_b32 v73, v133 :: v_dual_mov_b32 v74, v134
	;; [unrolled: 1-line block ×4, first 2 shown]
	v_mov_b32_e32 v64, v124
	v_dual_mov_b32 v58, v22 :: v_dual_mov_b32 v59, v23
	v_dual_mov_b32 v67, v31 :: v_dual_mov_b32 v68, v32
	;; [unrolled: 1-line block ×8, first 2 shown]
	v_mov_b32_e32 v2, v1
	v_mov_b32_e32 v30, v29
	v_dual_mov_b32 v18, v17 :: v_dual_mov_b32 v91, v127
	v_dual_mov_b32 v92, v128 :: v_dual_mov_b32 v93, v129
	;; [unrolled: 1-line block ×6, first 2 shown]
	v_mov_b32_e32 v84, v144
.LBB232_103:
	s_or_b32 exec_lo, exec_lo, s2
	v_mov_b32_e32 v1, v43
	s_mov_b32 s2, exec_lo
	v_cmpx_lt_f32_e32 v2, v43
	s_cbranch_execz .LBB232_105
; %bb.104:
	v_dual_mov_b32 v94, v34 :: v_dual_mov_b32 v95, v35
	v_dual_mov_b32 v78, v19 :: v_dual_mov_b32 v79, v18
	;; [unrolled: 1-line block ×6, first 2 shown]
	v_mov_b32_e32 v96, v36
	v_dual_mov_b32 v42, v43 :: v_dual_mov_b32 v43, v2
	v_dual_mov_b32 v84, v24 :: v_dual_mov_b32 v61, v85
	;; [unrolled: 1-line block ×14, first 2 shown]
.LBB232_105:
	s_or_b32 exec_lo, exec_lo, s2
	s_delay_alu instid0(VALU_DEP_1)
	v_cmp_lt_f32_e32 vcc_lo, v1, v44
	v_dual_mov_b32 v3, v39 :: v_dual_mov_b32 v10, v46
	v_dual_mov_b32 v5, v41 :: v_dual_mov_b32 v12, v48
	v_dual_cndmask_b32 v121, v68, v67 :: v_dual_mov_b32 v2, v38
	v_dual_cndmask_b32 v67, v67, v68 :: v_dual_cndmask_b32 v122, v56, v55
	v_dual_cndmask_b32 v55, v55, v56 :: v_dual_cndmask_b32 v8, v44, v1
	v_dual_cndmask_b32 v7, v43, v44 :: v_dual_mov_b32 v4, v40
	v_dual_mov_b32 v1, v37 :: v_dual_mov_b32 v6, v42
	v_mov_b32_e32 v9, v45
	v_mov_b32_e32 v11, v47
	s_mov_b32 s2, exec_lo
	v_cmpx_lt_f32_e32 v37, v38
	s_cbranch_execz .LBB232_107
; %bb.106:
	v_dual_mov_b32 v13, v2 :: v_dual_mov_b32 v14, v1
	v_dual_mov_b32 v15, v3 :: v_dual_mov_b32 v16, v4
	;; [unrolled: 1-line block ×6, first 2 shown]
	v_mov_b32_e32 v25, v61
	v_mov_b32_e32 v26, v49
	v_dual_mov_b32 v1, v13 :: v_dual_mov_b32 v4, v16
	v_swap_b32 v61, v62
	v_swap_b32 v49, v50
	v_dual_mov_b32 v2, v14 :: v_dual_mov_b32 v3, v15
	v_dual_mov_b32 v5, v17 :: v_dual_mov_b32 v6, v18
	;; [unrolled: 1-line block ×5, first 2 shown]
	v_mov_b32_e32 v38, v37
.LBB232_107:
	s_or_b32 exec_lo, exec_lo, s2
	v_mov_b32_e32 v56, v122
	v_mov_b32_e32 v68, v121
	;; [unrolled: 1-line block ×3, first 2 shown]
	v_dual_mov_b32 v27, v51 :: v_dual_mov_b32 v84, v72
	v_mov_b32_e32 v81, v69
	v_dual_mov_b32 v83, v71 :: v_dual_mov_b32 v96, v60
	v_dual_mov_b32 v91, v55 :: v_dual_mov_b32 v120, v72
	;; [unrolled: 1-line block ×31, first 2 shown]
	v_mov_b32_e32 v24, v60
	s_mov_b32 s2, exec_lo
	v_dual_mov_b32 v118, v70 :: v_dual_mov_b32 v115, v67
	v_dual_mov_b32 v116, v68 :: v_dual_mov_b32 v113, v65
	;; [unrolled: 1-line block ×3, first 2 shown]
	v_cmpx_lt_f32_e32 v38, v3
	s_cbranch_execz .LBB232_109
; %bb.108:
	v_dual_mov_b32 v13, v49 :: v_dual_mov_b32 v14, v50
	v_dual_mov_b32 v23, v59 :: v_dual_mov_b32 v24, v60
	;; [unrolled: 1-line block ×30, first 2 shown]
	v_mov_b32_e32 v112, v64
	v_dual_mov_b32 v34, v94 :: v_dual_mov_b32 v35, v95
	v_dual_mov_b32 v35, v59 :: v_dual_mov_b32 v34, v58
	v_dual_mov_b32 v73, v109 :: v_dual_mov_b32 v28, v88
	v_dual_mov_b32 v29, v89 :: v_dual_mov_b32 v30, v90
	v_dual_mov_b32 v31, v91 :: v_dual_mov_b32 v36, v96
	v_dual_mov_b32 v29, v53 :: v_dual_mov_b32 v74, v110
	v_dual_mov_b32 v77, v113 :: v_dual_mov_b32 v76, v112
	v_dual_mov_b32 v79, v115 :: v_dual_mov_b32 v78, v114
	v_dual_mov_b32 v81, v117 :: v_dual_mov_b32 v80, v116
	v_dual_mov_b32 v83, v119 :: v_dual_mov_b32 v82, v118
	v_dual_mov_b32 v77, v65 :: v_dual_mov_b32 v84, v120
	v_dual_mov_b32 v79, v67 :: v_dual_mov_b32 v26, v86
	v_dual_mov_b32 v27, v87 :: v_dual_mov_b32 v30, v54
	v_dual_mov_b32 v31, v55 :: v_dual_mov_b32 v36, v60
	v_dual_mov_b32 v75, v111 :: v_dual_mov_b32 v78, v66
	v_mov_b32_e32 v81, v69
	v_dual_mov_b32 v80, v121 :: v_dual_mov_b32 v83, v71
	v_mov_b32_e32 v82, v70
	v_dual_mov_b32 v84, v72 :: v_dual_mov_b32 v37, v38
	v_mov_b32_e32 v63, v62
	v_mov_b32_e32 v51, v50
.LBB232_109:
	s_or_b32 exec_lo, exec_lo, s2
	v_mov_b32_e32 v38, v4
	s_mov_b32 s2, exec_lo
	v_cmpx_lt_f32_e32 v37, v4
	s_cbranch_execz .LBB232_111
; %bb.110:
	v_mov_b32_e32 v15, v52
	v_mov_b32_e32 v96, v24
	v_mov_b32_e32 v88, v16
	v_dual_mov_b32 v88, v51 :: v_dual_mov_b32 v99, v64
	v_dual_mov_b32 v94, v22 :: v_dual_mov_b32 v85, v13
	;; [unrolled: 1-line block ×3, first 2 shown]
	v_mov_b32_e32 v95, v23
	v_dual_mov_b32 v93, v21 :: v_dual_mov_b32 v92, v20
	v_dual_mov_b32 v91, v19 :: v_dual_mov_b32 v90, v18
	;; [unrolled: 1-line block ×7, first 2 shown]
	v_mov_b32_e32 v87, v15
	v_dual_mov_b32 v111, v99 :: v_dual_mov_b32 v110, v98
	v_dual_mov_b32 v112, v63 :: v_dual_mov_b32 v25, v85
	;; [unrolled: 1-line block ×3, first 2 shown]
	s_delay_alu instid0(VALU_DEP_3)
	v_dual_mov_b32 v74, v110 :: v_dual_mov_b32 v29, v89
	v_dual_mov_b32 v30, v90 :: v_dual_mov_b32 v31, v91
	;; [unrolled: 1-line block ×8, first 2 shown]
	v_mov_b32_e32 v84, v120
	v_dual_mov_b32 v3, v4 :: v_dual_mov_b32 v4, v37
	v_dual_mov_b32 v27, v87 :: v_dual_mov_b32 v28, v88
	;; [unrolled: 1-line block ×11, first 2 shown]
	v_mov_b32_e32 v38, v37
	v_mov_b32_e32 v64, v63
	;; [unrolled: 1-line block ×3, first 2 shown]
.LBB232_111:
	s_or_b32 exec_lo, exec_lo, s2
	v_mov_b32_e32 v16, v5
	s_mov_b32 s2, exec_lo
	v_cmpx_lt_f32_e32 v38, v5
	s_cbranch_execz .LBB232_113
; %bb.112:
	v_mov_b32_e32 v100, v65
	v_mov_b32_e32 v16, v53
	v_dual_mov_b32 v4, v5 :: v_dual_mov_b32 v5, v38
	v_dual_mov_b32 v36, v24 :: v_dual_mov_b32 v33, v21
	;; [unrolled: 1-line block ×3, first 2 shown]
	v_mov_b32_e32 v31, v19
	v_dual_mov_b32 v35, v59 :: v_dual_mov_b32 v34, v58
	v_dual_mov_b32 v73, v97 :: v_dual_mov_b32 v32, v20
	;; [unrolled: 1-line block ×8, first 2 shown]
	v_mov_b32_e32 v77, v64
	v_dual_mov_b32 v84, v108 :: v_dual_mov_b32 v79, v67
	v_dual_mov_b32 v120, v108 :: v_dual_mov_b32 v115, v103
	;; [unrolled: 1-line block ×19, first 2 shown]
	v_mov_b32_e32 v88, v16
	v_dual_mov_b32 v86, v14 :: v_dual_mov_b32 v65, v64
	v_dual_mov_b32 v16, v38 :: v_dual_mov_b32 v53, v52
	v_dual_mov_b32 v118, v106 :: v_dual_mov_b32 v113, v101
.LBB232_113:
	s_or_b32 exec_lo, exec_lo, s2
	v_mov_b32_e32 v13, v6
	s_mov_b32 s2, exec_lo
	v_cmpx_lt_f32_e32 v16, v6
	s_cbranch_execz .LBB232_115
; %bb.114:
	v_dual_mov_b32 v89, v54 :: v_dual_mov_b32 v90, v53
	v_dual_mov_b32 v91, v55 :: v_dual_mov_b32 v92, v122
	;; [unrolled: 1-line block ×21, first 2 shown]
	v_mov_b32_e32 v13, v16
.LBB232_115:
	s_or_b32 exec_lo, exec_lo, s2
	s_delay_alu instid0(VALU_DEP_1)
	v_cmp_lt_f32_e32 vcc_lo, v13, v7
	v_dual_mov_b32 v14, v2 :: v_dual_mov_b32 v17, v5
	v_dual_mov_b32 v16, v4 :: v_dual_mov_b32 v21, v9
	v_dual_cndmask_b32 v37, v79, v78 :: v_dual_cndmask_b32 v78, v78, v79
	v_cndmask_b32_e32 v38, v31, v30, vcc_lo
	v_dual_cndmask_b32 v30, v30, v31 :: v_dual_cndmask_b32 v19, v7, v13
	v_dual_cndmask_b32 v18, v6, v7 :: v_dual_mov_b32 v15, v3
	v_dual_mov_b32 v13, v1 :: v_dual_mov_b32 v20, v8
	v_dual_mov_b32 v23, v11 :: v_dual_mov_b32 v22, v10
	v_mov_b32_e32 v24, v12
	s_mov_b32 s2, exec_lo
	v_cmpx_lt_f32_e32 v1, v2
	s_cbranch_execz .LBB232_117
; %bb.116:
	v_dual_mov_b32 v2, v14 :: v_dual_mov_b32 v3, v13
	v_dual_mov_b32 v12, v23 :: v_dual_mov_b32 v13, v24
	;; [unrolled: 1-line block ×6, first 2 shown]
	v_mov_b32_e32 v24, v13
	v_mov_b32_e32 v31, v73
	v_dual_mov_b32 v39, v25 :: v_dual_mov_b32 v18, v7
	v_swap_b32 v73, v74
	v_swap_b32 v25, v26
	v_dual_mov_b32 v23, v12 :: v_dual_mov_b32 v20, v9
	v_dual_mov_b32 v22, v11 :: v_dual_mov_b32 v21, v10
	;; [unrolled: 1-line block ×4, first 2 shown]
	v_mov_b32_e32 v15, v4
	v_dual_mov_b32 v13, v2 :: v_dual_mov_b32 v2, v1
.LBB232_117:
	s_or_b32 exec_lo, exec_lo, s2
	v_mov_b32_e32 v31, v38
	v_dual_mov_b32 v79, v37 :: v_dual_mov_b32 v50, v36
	v_dual_mov_b32 v51, v73 :: v_dual_mov_b32 v52, v74
	;; [unrolled: 1-line block ×24, first 2 shown]
	v_mov_b32_e32 v85, v25
	v_mov_b32_e32 v1, v15
	s_mov_b32 s2, exec_lo
	v_cmpx_lt_f32_e32 v2, v15
	s_cbranch_execz .LBB232_119
; %bb.118:
	v_dual_mov_b32 v96, v36 :: v_dual_mov_b32 v95, v35
	v_dual_mov_b32 v86, v26 :: v_dual_mov_b32 v85, v25
	;; [unrolled: 1-line block ×8, first 2 shown]
	v_mov_b32_e32 v105, v81
	v_dual_mov_b32 v43, v89 :: v_dual_mov_b32 v44, v90
	v_dual_mov_b32 v100, v76 :: v_dual_mov_b32 v97, v73
	;; [unrolled: 1-line block ×6, first 2 shown]
	v_mov_b32_e32 v98, v74
	v_dual_mov_b32 v98, v75 :: v_dual_mov_b32 v99, v74
	v_dual_mov_b32 v49, v95 :: v_dual_mov_b32 v50, v96
	;; [unrolled: 1-line block ×12, first 2 shown]
	v_mov_b32_e32 v40, v86
	v_dual_mov_b32 v42, v28 :: v_dual_mov_b32 v43, v29
	v_dual_mov_b32 v45, v38 :: v_dual_mov_b32 v46, v32
	;; [unrolled: 1-line block ×9, first 2 shown]
	v_mov_b32_e32 v75, v74
	v_mov_b32_e32 v27, v26
.LBB232_119:
	s_or_b32 exec_lo, exec_lo, s2
	v_mov_b32_e32 v2, v16
	s_mov_b32 s2, exec_lo
	v_cmpx_lt_f32_e32 v1, v16
	s_cbranch_execz .LBB232_121
; %bb.120:
	v_mov_b32_e32 v87, v28
	v_mov_b32_e32 v99, v76
	v_dual_mov_b32 v15, v16 :: v_dual_mov_b32 v16, v1
	v_dual_mov_b32 v39, v85 :: v_dual_mov_b32 v42, v88
	;; [unrolled: 1-line block ×13, first 2 shown]
	v_mov_b32_e32 v56, v78
	v_mov_b32_e32 v40, v86
	v_dual_mov_b32 v42, v27 :: v_dual_mov_b32 v43, v29
	v_dual_mov_b32 v45, v38 :: v_dual_mov_b32 v46, v32
	;; [unrolled: 1-line block ×8, first 2 shown]
	v_mov_b32_e32 v2, v1
	v_mov_b32_e32 v76, v75
	;; [unrolled: 1-line block ×3, first 2 shown]
.LBB232_121:
	s_or_b32 exec_lo, exec_lo, s2
	v_mov_b32_e32 v1, v17
	s_mov_b32 s2, exec_lo
	v_cmpx_lt_f32_e32 v2, v17
	s_cbranch_execz .LBB232_123
; %bb.122:
	v_dual_mov_b32 v106, v82 :: v_dual_mov_b32 v107, v83
	v_dual_mov_b32 v88, v29 :: v_dual_mov_b32 v89, v28
	;; [unrolled: 1-line block ×8, first 2 shown]
	v_mov_b32_e32 v108, v84
	v_dual_mov_b32 v16, v17 :: v_dual_mov_b32 v17, v2
	v_dual_mov_b32 v96, v36 :: v_dual_mov_b32 v51, v97
	;; [unrolled: 1-line block ×14, first 2 shown]
.LBB232_123:
	s_or_b32 exec_lo, exec_lo, s2
	s_delay_alu instid0(VALU_DEP_1)
	v_cmp_lt_f32_e32 vcc_lo, v1, v18
	v_dual_mov_b32 v27, v13 :: v_dual_mov_b32 v34, v20
	v_dual_mov_b32 v29, v15 :: v_dual_mov_b32 v36, v22
	v_dual_cndmask_b32 v63, v56, v55 :: v_dual_cndmask_b32 v32, v18, v1
	v_dual_cndmask_b32 v55, v55, v56 :: v_dual_cndmask_b32 v64, v44, v43
	v_dual_cndmask_b32 v43, v43, v44 :: v_dual_mov_b32 v28, v14
	v_dual_cndmask_b32 v31, v17, v18 :: v_dual_mov_b32 v30, v16
	v_dual_mov_b32 v33, v19 :: v_dual_mov_b32 v38, v24
	v_mov_b32_e32 v35, v21
	v_mov_b32_e32 v37, v23
	s_mov_b32 s2, exec_lo
	v_cmpx_lt_f32_e32 v13, v14
	s_cbranch_execz .LBB232_125
; %bb.124:
	s_delay_alu instid0(VALU_DEP_2)
	v_dual_mov_b32 v11, v37 :: v_dual_mov_b32 v12, v38
	v_dual_mov_b32 v1, v28 :: v_dual_mov_b32 v2, v27
	v_dual_mov_b32 v3, v29 :: v_dual_mov_b32 v4, v30
	v_dual_mov_b32 v5, v31 :: v_dual_mov_b32 v6, v32
	v_dual_mov_b32 v7, v33 :: v_dual_mov_b32 v8, v34
	v_dual_mov_b32 v9, v35 :: v_dual_mov_b32 v10, v36
	v_dual_mov_b32 v15, v51 :: v_dual_mov_b32 v38, v12
	s_delay_alu instid0(VALU_DEP_2)
	v_dual_mov_b32 v16, v39 :: v_dual_mov_b32 v35, v9
	v_swap_b32 v51, v52
	v_swap_b32 v39, v40
	v_dual_mov_b32 v37, v11 :: v_dual_mov_b32 v36, v10
	v_dual_mov_b32 v34, v8 :: v_dual_mov_b32 v33, v7
	;; [unrolled: 1-line block ×5, first 2 shown]
	v_mov_b32_e32 v14, v13
.LBB232_125:
	s_or_b32 exec_lo, exec_lo, s2
	v_mov_b32_e32 v44, v64
	v_mov_b32_e32 v56, v63
	;; [unrolled: 1-line block ×4, first 2 shown]
	v_dual_mov_b32 v15, v51 :: v_dual_mov_b32 v2, v40
	v_dual_mov_b32 v16, v52 :: v_dual_mov_b32 v17, v53
	;; [unrolled: 1-line block ×11, first 2 shown]
	v_mov_b32_e32 v12, v50
	s_mov_b32 s2, exec_lo
	v_cmpx_lt_f32_e32 v14, v29
	s_cbranch_execz .LBB232_127
; %bb.126:
	v_dual_mov_b32 v1, v39 :: v_dual_mov_b32 v2, v40
	v_dual_mov_b32 v11, v49 :: v_dual_mov_b32 v12, v50
	;; [unrolled: 1-line block ×25, first 2 shown]
	v_mov_b32_e32 v41, v40
.LBB232_127:
	s_or_b32 exec_lo, exec_lo, s2
	v_mov_b32_e32 v39, v30
	s_mov_b32 s2, exec_lo
	v_cmpx_lt_f32_e32 v13, v30
	s_cbranch_execz .LBB232_129
; %bb.128:
	v_dual_mov_b32 v29, v30 :: v_dual_mov_b32 v30, v13
	v_dual_mov_b32 v3, v42 :: v_dual_mov_b32 v4, v41
	;; [unrolled: 1-line block ×11, first 2 shown]
	v_mov_b32_e32 v39, v13
.LBB232_129:
	s_or_b32 exec_lo, exec_lo, s2
	s_delay_alu instid0(VALU_DEP_1)
	v_cmp_lt_f32_e32 vcc_lo, v39, v31
	v_dual_mov_b32 v40, v28 :: v_dual_mov_b32 v45, v33
	v_dual_mov_b32 v44, v32 :: v_dual_mov_b32 v47, v35
	v_dual_cndmask_b32 v13, v19, v18 :: v_dual_cndmask_b32 v18, v18, v19
	v_dual_cndmask_b32 v14, v5, v4 :: v_dual_cndmask_b32 v43, v31, v39
	v_dual_cndmask_b32 v4, v4, v5 :: v_dual_mov_b32 v39, v27
	v_dual_cndmask_b32 v42, v30, v31 :: v_dual_mov_b32 v41, v29
	v_dual_mov_b32 v46, v34 :: v_dual_mov_b32 v49, v37
	v_mov_b32_e32 v48, v36
	v_mov_b32_e32 v50, v38
	s_mov_b32 s2, exec_lo
	v_cmpx_lt_f32_e32 v27, v28
	s_cbranch_execz .LBB232_131
; %bb.130:
	v_dual_mov_b32 v28, v40 :: v_dual_mov_b32 v29, v39
	v_dual_mov_b32 v38, v49 :: v_dual_mov_b32 v39, v50
	;; [unrolled: 1-line block ×7, first 2 shown]
	v_mov_b32_e32 v5, v15
	v_swap_b32 v15, v16
	s_delay_alu instid0(VALU_DEP_4)
	v_mov_b32_e32 v48, v37
	v_swap_b32 v1, v2
	v_dual_mov_b32 v49, v38 :: v_dual_mov_b32 v46, v35
	v_dual_mov_b32 v47, v36 :: v_dual_mov_b32 v44, v33
	;; [unrolled: 1-line block ×4, first 2 shown]
	v_mov_b32_e32 v41, v30
	v_dual_mov_b32 v39, v28 :: v_dual_mov_b32 v28, v27
.LBB232_131:
	s_or_b32 exec_lo, exec_lo, s2
	v_mov_b32_e32 v5, v14
	v_mov_b32_e32 v19, v13
	;; [unrolled: 1-line block ×3, first 2 shown]
	s_mov_b32 s2, exec_lo
	v_cmpx_lt_f32_e32 v28, v41
	s_cbranch_execz .LBB232_133
; %bb.132:
	v_dual_mov_b32 v74, v26 :: v_dual_mov_b32 v73, v25
	v_dual_mov_b32 v62, v12 :: v_dual_mov_b32 v61, v11
	;; [unrolled: 1-line block ×22, first 2 shown]
	v_mov_b32_e32 v74, v26
	v_dual_mov_b32 v40, v41 :: v_dual_mov_b32 v41, v28
	v_dual_mov_b32 v62, v12 :: v_dual_mov_b32 v15, v63
	;; [unrolled: 1-line block ×14, first 2 shown]
.LBB232_133:
	s_or_b32 exec_lo, exec_lo, s2
	s_delay_alu instid0(VALU_DEP_1)
	v_cmp_lt_f32_e32 vcc_lo, v27, v42
	v_dual_mov_b32 v28, v23 :: v_dual_mov_b32 v29, v24
	v_dual_mov_b32 v30, v25 :: v_dual_mov_b32 v31, v26
	v_dual_cndmask_b32 v13, v18, v17 :: v_dual_cndmask_b32 v14, v4, v3
	v_dual_cndmask_b32 v51, v17, v18 :: v_dual_cndmask_b32 v56, v3, v4
	;; [unrolled: 1-line block ×3, first 2 shown]
	v_cmp_lt_f32_e32 vcc_lo, v39, v40
	v_dual_mov_b32 v4, v19 :: v_dual_mov_b32 v17, v20
	v_dual_mov_b32 v18, v21 :: v_dual_mov_b32 v27, v22
	;; [unrolled: 1-line block ×10, first 2 shown]
	v_mov_b32_e32 v59, v50
	s_and_saveexec_b32 s2, vcc_lo
	s_cbranch_execz .LBB232_135
; %bb.134:
	v_dual_mov_b32 v42, v40 :: v_dual_mov_b32 v27, v22
	v_dual_mov_b32 v4, v15 :: v_dual_mov_b32 v17, v20
	;; [unrolled: 1-line block ×3, first 2 shown]
	v_swap_b32 v15, v16
	v_swap_b32 v1, v2
	v_dual_mov_b32 v40, v39 :: v_dual_mov_b32 v29, v24
	v_dual_mov_b32 v4, v19 :: v_dual_mov_b32 v31, v26
	;; [unrolled: 1-line block ×11, first 2 shown]
	v_mov_b32_e32 v54, v46
	v_mov_b32_e32 v58, v49
.LBB232_135:
	s_or_b32 exec_lo, exec_lo, s2
	s_clause 0x1
	s_load_b32 s8, s[0:1], 0x28
	s_load_b128 s[4:7], s[0:1], 0x10
	s_waitcnt lgkmcnt(0)
	s_cmp_lt_i32 s8, 1
	s_cbranch_scc1 .LBB232_141
; %bb.136:
	v_cmp_lt_f32_e32 vcc_lo, v40, v60
	v_dual_mov_b32 v7, 0 :: v_dual_mov_b32 v6, 0
	s_mov_b32 s9, 0x76543210
	s_mov_b32 s10, s8
	v_dual_cndmask_b32 v5, v56, v2 :: v_dual_cndmask_b32 v12, v61, v60
	v_dual_cndmask_b32 v10, v2, v56 :: v_dual_cndmask_b32 v19, v16, v51
	v_cndmask_b32_e32 v2, v60, v40, vcc_lo
	v_cndmask_b32_e32 v8, v51, v16, vcc_lo
	s_delay_alu instid0(VALU_DEP_4) | instskip(NEXT) | instid1(VALU_DEP_1)
	v_cmp_lt_f32_e64 s2, v39, v12
	v_cndmask_b32_e64 v9, v10, v1, s2
	v_cndmask_b32_e64 v10, v1, v10, s2
	;; [unrolled: 1-line block ×6, first 2 shown]
	v_mov_b32_e32 v19, v0
	v_mov_b32_e32 v1, 0
.LBB232_137:                            ; =>This Inner Loop Header: Depth=1
	v_cmp_eq_u32_e32 vcc_lo, 1, v7
	v_cmp_eq_u32_e64 s2, 2, v7
	v_cmp_gt_u32_e64 s3, 12, v7
	v_dual_cndmask_b32 v20, v12, v11 :: v_dual_cndmask_b32 v21, v10, v9
	s_delay_alu instid0(VALU_DEP_1) | instskip(NEXT) | instid1(VALU_DEP_2)
	v_cndmask_b32_e64 v20, v20, v2, s2
	v_cndmask_b32_e64 v21, v21, v5, s2
	v_cndmask_b32_e32 v22, v15, v16, vcc_lo
	v_cmp_eq_u32_e32 vcc_lo, 3, v7
	s_delay_alu instid0(VALU_DEP_3) | instskip(NEXT) | instid1(VALU_DEP_3)
	v_cndmask_b32_e32 v21, v21, v14, vcc_lo
	v_cndmask_b32_e64 v22, v22, v8, s2
	v_cmp_eq_u32_e64 s2, 4, v7
	s_delay_alu instid0(VALU_DEP_2) | instskip(NEXT) | instid1(VALU_DEP_2)
	v_cndmask_b32_e32 v22, v22, v13, vcc_lo
	v_cndmask_b32_e64 v21, v21, v32, s2
	v_cndmask_b32_e32 v20, v20, v3, vcc_lo
	v_cmp_eq_u32_e32 vcc_lo, 5, v7
	s_delay_alu instid0(VALU_DEP_4) | instskip(NEXT) | instid1(VALU_DEP_4)
	v_cndmask_b32_e64 v22, v22, v4, s2
	v_cndmask_b32_e32 v21, v21, v33, vcc_lo
	s_delay_alu instid0(VALU_DEP_4) | instskip(SKIP_1) | instid1(VALU_DEP_4)
	v_cndmask_b32_e64 v20, v20, v42, s2
	v_cmp_eq_u32_e64 s2, 6, v7
	v_cndmask_b32_e32 v22, v22, v17, vcc_lo
	s_delay_alu instid0(VALU_DEP_3) | instskip(SKIP_1) | instid1(VALU_DEP_4)
	v_cndmask_b32_e32 v20, v20, v52, vcc_lo
	v_cmp_eq_u32_e32 vcc_lo, 7, v7
	v_cndmask_b32_e64 v21, v21, v34, s2
	s_delay_alu instid0(VALU_DEP_4) | instskip(NEXT) | instid1(VALU_DEP_4)
	v_cndmask_b32_e64 v22, v22, v18, s2
	v_cndmask_b32_e64 v20, v20, v53, s2
	v_cmp_eq_u32_e64 s2, 8, v7
	s_delay_alu instid0(VALU_DEP_4) | instskip(NEXT) | instid1(VALU_DEP_4)
	v_cndmask_b32_e32 v21, v21, v35, vcc_lo
	v_cndmask_b32_e32 v22, v22, v27, vcc_lo
	s_delay_alu instid0(VALU_DEP_4) | instskip(SKIP_1) | instid1(VALU_DEP_4)
	v_cndmask_b32_e32 v20, v20, v54, vcc_lo
	v_cmp_eq_u32_e32 vcc_lo, 9, v7
	v_cndmask_b32_e64 v21, v21, v36, s2
	s_delay_alu instid0(VALU_DEP_4) | instskip(NEXT) | instid1(VALU_DEP_4)
	v_cndmask_b32_e64 v22, v22, v28, s2
	v_cndmask_b32_e64 v20, v20, v55, s2
	v_cmp_eq_u32_e64 s2, 10, v7
	s_delay_alu instid0(VALU_DEP_4) | instskip(NEXT) | instid1(VALU_DEP_4)
	v_cndmask_b32_e32 v21, v21, v37, vcc_lo
	v_cndmask_b32_e32 v22, v22, v29, vcc_lo
	s_delay_alu instid0(VALU_DEP_4) | instskip(SKIP_1) | instid1(VALU_DEP_4)
	v_cndmask_b32_e32 v20, v20, v57, vcc_lo
	v_cmp_eq_u32_e32 vcc_lo, 11, v7
	v_cndmask_b32_e64 v21, v21, v38, s2
	s_delay_alu instid0(VALU_DEP_3) | instskip(NEXT) | instid1(VALU_DEP_1)
	v_cndmask_b32_e64 v20, v20, v58, s2
	v_dual_cndmask_b32 v21, v21, v41 :: v_dual_cndmask_b32 v20, v20, v59
	s_delay_alu instid0(VALU_DEP_1)
	v_cndmask_b32_e64 v20, 0xff800000, v20, s3
	;;#ASMSTART
	v_max_f32 v23, v20, v20 quad_perm:[1,0,3,2] row_mask:0xf bank_mask:0xf bound_ctrl:1
	;;#ASMEND
	;;#ASMSTART
	v_max_f32 v24, v23, v23 quad_perm:[2,3,0,1] row_mask:0xf bank_mask:0xf bound_ctrl:1
	;;#ASMEND
	;;#ASMSTART
	v_max_f32 v23, v24, v24 row_half_mirror row_mask:0xf bank_mask:0xf bound_ctrl:1
	;;#ASMEND
	;;#ASMSTART
	v_max_f32 v24, v23, v23 row_mirror row_mask:0xf bank_mask:0xf bound_ctrl:1
	;;#ASMEND
	v_permlanex16_b32 v23, v24, s9, 0xfedcba98 op_sel:[1,1]
	s_delay_alu instid0(VALU_DEP_1) | instskip(NEXT) | instid1(VALU_DEP_1)
	v_dual_max_f32 v24, v24, v24 :: v_dual_max_f32 v23, v23, v23
	v_max_f32_e32 v23, v24, v23
	v_cndmask_b32_e64 v22, v22, v30, s2
	s_delay_alu instid0(VALU_DEP_2) | instskip(SKIP_1) | instid1(VALU_DEP_2)
	v_cmp_eq_f32_e64 s2, v20, v23
	v_cndmask_b32_e64 v20, 0, v21, s3
	s_ctz_i32_b32 s11, s2
	s_cmp_lg_u32 s2, 0
	s_cselect_b32 s2, s11, 0
	s_add_i32 s10, s10, -1
	v_readlane_b32 s11, v20, s2
	v_cndmask_b32_e32 v20, v22, v31, vcc_lo
	s_delay_alu instid0(VALU_DEP_2)
	v_cmp_eq_u32_e32 vcc_lo, s11, v21
	s_and_b32 s2, s11, 31
	s_and_b32 vcc_lo, s3, vcc_lo
	s_cmp_eq_u32 s10, 0
	v_cndmask_b32_e32 v20, 0, v20, vcc_lo
	v_add_co_ci_u32_e32 v7, vcc_lo, 0, v7, vcc_lo
	s_delay_alu instid0(VALU_DEP_2) | instskip(SKIP_2) | instid1(VALU_DEP_2)
	v_readlane_b32 s3, v20, s2
	v_cmp_eq_u32_e64 s2, 0, v19
	v_add_nc_u32_e32 v19, -1, v19
	v_cndmask_b32_e64 v6, v6, s3, s2
	v_cndmask_b32_e64 v1, v1, s11, s2
	s_cbranch_scc0 .LBB232_137
; %bb.138:
	s_mov_b32 s2, exec_lo
	v_cmpx_gt_i32_e64 s8, v0
	s_cbranch_execz .LBB232_140
.LBB232_139:
	s_clause 0x1
	s_load_b64 s[2:3], s[0:1], 0x20
	s_load_b32 s8, s[0:1], 0x30
	s_ashr_i32 s0, s15, 31
	s_waitcnt lgkmcnt(0)
	s_mul_i32 s1, s15, s3
	s_mul_hi_u32 s3, s15, s2
	s_mul_i32 s0, s0, s2
	s_add_i32 s1, s3, s1
	v_mul_f32_e32 v0, s8, v6
	s_add_i32 s1, s1, s0
	s_mul_i32 s0, s15, s2
	s_delay_alu instid0(SALU_CYCLE_1) | instskip(NEXT) | instid1(SALU_CYCLE_1)
	s_lshl_b64 s[0:1], s[0:1], 2
	s_add_u32 s2, s4, s0
	s_addc_u32 s3, s5, s1
	s_add_u32 s0, s6, s0
	s_addc_u32 s1, s7, s1
	s_clause 0x1
	global_store_b32 v183, v0, s[2:3]
	global_store_b32 v183, v1, s[0:1]
.LBB232_140:
	s_endpgm
.LBB232_141:
	v_dual_mov_b32 v1, 0 :: v_dual_mov_b32 v6, 0
	s_mov_b32 s2, exec_lo
	v_cmpx_gt_i32_e64 s8, v0
	s_cbranch_execnz .LBB232_139
	s_branch .LBB232_140
	.section	.rodata,"a",@progbits
	.p2align	6, 0x0
	.amdhsa_kernel _ZN5aiter24topk_softplus_kernel_optI12hip_bfloat16fLi384ELb0ELi0EEEvPKT_PKT0_PfPimiif
		.amdhsa_group_segment_fixed_size 0
		.amdhsa_private_segment_fixed_size 196
		.amdhsa_kernarg_size 52
		.amdhsa_user_sgpr_count 15
		.amdhsa_user_sgpr_dispatch_ptr 0
		.amdhsa_user_sgpr_queue_ptr 0
		.amdhsa_user_sgpr_kernarg_segment_ptr 1
		.amdhsa_user_sgpr_dispatch_id 0
		.amdhsa_user_sgpr_private_segment_size 0
		.amdhsa_wavefront_size32 1
		.amdhsa_uses_dynamic_stack 0
		.amdhsa_enable_private_segment 1
		.amdhsa_system_sgpr_workgroup_id_x 1
		.amdhsa_system_sgpr_workgroup_id_y 0
		.amdhsa_system_sgpr_workgroup_id_z 0
		.amdhsa_system_sgpr_workgroup_info 0
		.amdhsa_system_vgpr_workitem_id 0
		.amdhsa_next_free_vgpr 184
		.amdhsa_next_free_sgpr 16
		.amdhsa_reserve_vcc 1
		.amdhsa_float_round_mode_32 0
		.amdhsa_float_round_mode_16_64 0
		.amdhsa_float_denorm_mode_32 3
		.amdhsa_float_denorm_mode_16_64 3
		.amdhsa_dx10_clamp 1
		.amdhsa_ieee_mode 1
		.amdhsa_fp16_overflow 0
		.amdhsa_workgroup_processor_mode 1
		.amdhsa_memory_ordered 1
		.amdhsa_forward_progress 0
		.amdhsa_shared_vgpr_count 0
		.amdhsa_exception_fp_ieee_invalid_op 0
		.amdhsa_exception_fp_denorm_src 0
		.amdhsa_exception_fp_ieee_div_zero 0
		.amdhsa_exception_fp_ieee_overflow 0
		.amdhsa_exception_fp_ieee_underflow 0
		.amdhsa_exception_fp_ieee_inexact 0
		.amdhsa_exception_int_div_zero 0
	.end_amdhsa_kernel
	.section	.text._ZN5aiter24topk_softplus_kernel_optI12hip_bfloat16fLi384ELb0ELi0EEEvPKT_PKT0_PfPimiif,"axG",@progbits,_ZN5aiter24topk_softplus_kernel_optI12hip_bfloat16fLi384ELb0ELi0EEEvPKT_PKT0_PfPimiif,comdat
.Lfunc_end232:
	.size	_ZN5aiter24topk_softplus_kernel_optI12hip_bfloat16fLi384ELb0ELi0EEEvPKT_PKT0_PfPimiif, .Lfunc_end232-_ZN5aiter24topk_softplus_kernel_optI12hip_bfloat16fLi384ELb0ELi0EEEvPKT_PKT0_PfPimiif
                                        ; -- End function
	.section	.AMDGPU.csdata,"",@progbits
; Kernel info:
; codeLenInByte = 30340
; NumSgprs: 18
; NumVgprs: 184
; ScratchSize: 196
; MemoryBound: 0
; FloatMode: 240
; IeeeMode: 1
; LDSByteSize: 0 bytes/workgroup (compile time only)
; SGPRBlocks: 2
; VGPRBlocks: 22
; NumSGPRsForWavesPerEU: 18
; NumVGPRsForWavesPerEU: 184
; Occupancy: 8
; WaveLimiterHint : 0
; COMPUTE_PGM_RSRC2:SCRATCH_EN: 1
; COMPUTE_PGM_RSRC2:USER_SGPR: 15
; COMPUTE_PGM_RSRC2:TRAP_HANDLER: 0
; COMPUTE_PGM_RSRC2:TGID_X_EN: 1
; COMPUTE_PGM_RSRC2:TGID_Y_EN: 0
; COMPUTE_PGM_RSRC2:TGID_Z_EN: 0
; COMPUTE_PGM_RSRC2:TIDIG_COMP_CNT: 0
	.section	.text._ZN5aiter20topk_softplus_kernelI12hip_bfloat16fDv4_fLb1ELi0EEEvPKT_PKT0_PfPimiiif,"axG",@progbits,_ZN5aiter20topk_softplus_kernelI12hip_bfloat16fDv4_fLb1ELi0EEEvPKT_PKT0_PfPimiiif,comdat
	.protected	_ZN5aiter20topk_softplus_kernelI12hip_bfloat16fDv4_fLb1ELi0EEEvPKT_PKT0_PfPimiiif ; -- Begin function _ZN5aiter20topk_softplus_kernelI12hip_bfloat16fDv4_fLb1ELi0EEEvPKT_PKT0_PfPimiiif
	.globl	_ZN5aiter20topk_softplus_kernelI12hip_bfloat16fDv4_fLb1ELi0EEEvPKT_PKT0_PfPimiiif
	.p2align	8
	.type	_ZN5aiter20topk_softplus_kernelI12hip_bfloat16fDv4_fLb1ELi0EEEvPKT_PKT0_PfPimiiif,@function
_ZN5aiter20topk_softplus_kernelI12hip_bfloat16fDv4_fLb1ELi0EEEvPKT_PKT0_PfPimiiif: ; @_ZN5aiter20topk_softplus_kernelI12hip_bfloat16fDv4_fLb1ELi0EEEvPKT_PKT0_PfPimiiif
; %bb.0:
	s_clause 0x1
	s_load_b64 s[12:13], s[0:1], 0x28
	s_load_b256 s[4:11], s[0:1], 0x0
	v_lshlrev_b32_e32 v11, 2, v0
	v_lshl_add_u32 v12, v0, 4, 0
	s_waitcnt lgkmcnt(0)
	s_ashr_i32 s2, s12, 31
	s_mul_i32 s16, s15, s12
	s_lshr_b32 s2, s2, 30
	s_ashr_i32 s17, s16, 31
	s_add_i32 s2, s12, s2
	s_delay_alu instid0(SALU_CYCLE_1) | instskip(NEXT) | instid1(SALU_CYCLE_1)
	s_ashr_i32 s14, s2, 2
	v_cmp_gt_i32_e64 s2, s14, v0
	s_delay_alu instid0(VALU_DEP_1)
	s_and_saveexec_b32 s18, s2
	s_cbranch_execz .LBB233_11
; %bb.1:
	s_load_b32 s3, s[0:1], 0x44
	s_cmp_lg_u64 s[6:7], 0
	v_dual_mov_b32 v6, 0 :: v_dual_lshlrev_b32 v1, 3, v0
	s_cselect_b32 s20, -1, 0
	v_dual_mov_b32 v14, v0 :: v_dual_lshlrev_b32 v5, 2, v0
	v_lshl_add_u32 v13, v0, 4, 0
	s_mov_b32 s19, 0
	s_waitcnt lgkmcnt(0)
	s_and_b32 s21, s3, 0xffff
	s_add_u32 s22, s6, 4
	s_addc_u32 s23, s7, 0
	s_add_u32 s24, s6, 8
	s_addc_u32 s25, s7, 0
	;; [unrolled: 2-line block ×3, first 2 shown]
	s_lshl_b64 s[28:29], s[16:17], 1
	s_delay_alu instid0(SALU_CYCLE_1) | instskip(SKIP_2) | instid1(VALU_DEP_1)
	s_add_u32 s3, s4, s28
	s_addc_u32 s28, s5, s29
	v_add_co_u32 v7, s3, s3, v1
	v_add_co_ci_u32_e64 v8, null, s28, 0, s3
	s_lshl_b32 s28, s21, 3
	s_lshl_b32 s29, s21, 2
	;; [unrolled: 1-line block ×3, first 2 shown]
	s_branch .LBB233_3
.LBB233_2:                              ;   in Loop: Header=BB233_3 Depth=1
	v_add_nc_u32_e32 v14, s21, v14
	v_add_co_u32 v7, s3, v7, s28
	ds_store_b128 v13, v[1:4]
	v_add_co_ci_u32_e64 v8, s3, 0, v8, s3
	v_cmp_le_i32_e32 vcc_lo, s14, v14
	v_add_nc_u32_e32 v5, s29, v5
	v_add_nc_u32_e32 v13, s30, v13
	s_or_b32 s19, vcc_lo, s19
	s_delay_alu instid0(SALU_CYCLE_1)
	s_and_not1_b32 exec_lo, exec_lo, s19
	s_cbranch_execz .LBB233_11
.LBB233_3:                              ; =>This Inner Loop Header: Depth=1
	global_load_b64 v[3:4], v[7:8], off
	s_waitcnt vmcnt(0)
	v_and_b32_e32 v1, 0xffff, v3
	s_delay_alu instid0(VALU_DEP_1) | instskip(NEXT) | instid1(VALU_DEP_1)
	v_cvt_f32_u32_e32 v1, v1
	v_mul_f32_e32 v2, 0x3fb8aa3b, v1
	s_delay_alu instid0(VALU_DEP_1) | instskip(SKIP_2) | instid1(VALU_DEP_2)
	v_cmp_gt_f32_e32 vcc_lo, 0xc2fc0000, v2
	v_cndmask_b32_e64 v2, 0, 0x42800000, vcc_lo
	v_cndmask_b32_e64 v9, 1.0, 0x1f800000, vcc_lo
	v_fmac_f32_e32 v2, 0x3fb8aa3b, v1
	s_delay_alu instid0(VALU_DEP_1) | instskip(SKIP_2) | instid1(VALU_DEP_1)
	v_exp_f32_e32 v2, v2
	s_waitcnt_depctr 0xfff
	v_fma_f32 v2, v2, v9, 1.0
	v_cmp_gt_f32_e32 vcc_lo, 0x800000, v2
	v_cndmask_b32_e64 v9, 1.0, 0x4f800000, vcc_lo
	s_delay_alu instid0(VALU_DEP_1) | instskip(SKIP_2) | instid1(VALU_DEP_3)
	v_mul_f32_e32 v2, v2, v9
	v_cndmask_b32_e64 v9, 0, 0x42000000, vcc_lo
	v_cmp_lt_u16_e32 vcc_lo, 20, v3
	v_log_f32_e32 v2, v2
	s_waitcnt_depctr 0xfff
	v_sub_f32_e32 v2, v2, v9
	s_delay_alu instid0(VALU_DEP_1) | instskip(NEXT) | instid1(VALU_DEP_1)
	v_mul_f32_e32 v2, 0x3f317218, v2
	v_cndmask_b32_e32 v1, v2, v1, vcc_lo
	s_delay_alu instid0(VALU_DEP_1) | instskip(SKIP_1) | instid1(VALU_DEP_2)
	v_mul_f32_e32 v2, 0x4f800000, v1
	v_cmp_gt_f32_e32 vcc_lo, 0xf800000, v1
	v_cndmask_b32_e32 v1, v1, v2, vcc_lo
	s_delay_alu instid0(VALU_DEP_1) | instskip(SKIP_3) | instid1(VALU_DEP_2)
	v_sqrt_f32_e32 v2, v1
	s_waitcnt_depctr 0xfff
	v_add_nc_u32_e32 v9, -1, v2
	v_add_nc_u32_e32 v10, 1, v2
	v_fma_f32 v15, -v9, v2, v1
	s_delay_alu instid0(VALU_DEP_2) | instskip(NEXT) | instid1(VALU_DEP_2)
	v_fma_f32 v16, -v10, v2, v1
	v_cmp_ge_f32_e64 s3, 0, v15
	s_delay_alu instid0(VALU_DEP_1) | instskip(NEXT) | instid1(VALU_DEP_3)
	v_cndmask_b32_e64 v2, v2, v9, s3
	v_cmp_lt_f32_e64 s3, 0, v16
	s_delay_alu instid0(VALU_DEP_1) | instskip(NEXT) | instid1(VALU_DEP_1)
	v_cndmask_b32_e64 v2, v2, v10, s3
	v_mul_f32_e32 v9, 0x37800000, v2
	s_delay_alu instid0(VALU_DEP_1) | instskip(SKIP_2) | instid1(VALU_DEP_3)
	v_cndmask_b32_e32 v2, v2, v9, vcc_lo
	v_cmp_class_f32_e64 vcc_lo, v1, 0x260
	v_lshlrev_b64 v[9:10], 2, v[5:6]
	v_cndmask_b32_e32 v1, v2, v1, vcc_lo
	s_and_not1_b32 vcc_lo, exec_lo, s20
	s_cbranch_vccnz .LBB233_5
; %bb.4:                                ;   in Loop: Header=BB233_3 Depth=1
	s_delay_alu instid0(VALU_DEP_2) | instskip(NEXT) | instid1(VALU_DEP_3)
	v_add_co_u32 v15, vcc_lo, s6, v9
	v_add_co_ci_u32_e32 v16, vcc_lo, s7, v10, vcc_lo
	global_load_b32 v2, v[15:16], off
	s_waitcnt vmcnt(0)
	v_add_f32_e32 v1, v1, v2
.LBB233_5:                              ;   in Loop: Header=BB233_3 Depth=1
	v_lshrrev_b32_e32 v2, 16, v3
	s_delay_alu instid0(VALU_DEP_1) | instskip(NEXT) | instid1(VALU_DEP_1)
	v_cvt_f32_u32_e32 v3, v2
	v_mul_f32_e32 v15, 0x3fb8aa3b, v3
	s_delay_alu instid0(VALU_DEP_1) | instskip(SKIP_2) | instid1(VALU_DEP_2)
	v_cmp_gt_f32_e32 vcc_lo, 0xc2fc0000, v15
	v_cndmask_b32_e64 v15, 0, 0x42800000, vcc_lo
	v_cndmask_b32_e64 v16, 1.0, 0x1f800000, vcc_lo
	v_fmac_f32_e32 v15, 0x3fb8aa3b, v3
	s_delay_alu instid0(VALU_DEP_1) | instskip(SKIP_2) | instid1(VALU_DEP_1)
	v_exp_f32_e32 v15, v15
	s_waitcnt_depctr 0xfff
	v_fma_f32 v15, v15, v16, 1.0
	v_cmp_gt_f32_e32 vcc_lo, 0x800000, v15
	v_cndmask_b32_e64 v16, 1.0, 0x4f800000, vcc_lo
	s_delay_alu instid0(VALU_DEP_1) | instskip(SKIP_2) | instid1(VALU_DEP_3)
	v_mul_f32_e32 v15, v15, v16
	v_cndmask_b32_e64 v16, 0, 0x42000000, vcc_lo
	v_cmp_lt_u16_e32 vcc_lo, 20, v2
	v_log_f32_e32 v15, v15
	s_waitcnt_depctr 0xfff
	v_sub_f32_e32 v15, v15, v16
	s_delay_alu instid0(VALU_DEP_1) | instskip(NEXT) | instid1(VALU_DEP_1)
	v_mul_f32_e32 v15, 0x3f317218, v15
	v_cndmask_b32_e32 v2, v15, v3, vcc_lo
	s_delay_alu instid0(VALU_DEP_1) | instskip(SKIP_1) | instid1(VALU_DEP_2)
	v_mul_f32_e32 v3, 0x4f800000, v2
	v_cmp_gt_f32_e32 vcc_lo, 0xf800000, v2
	v_cndmask_b32_e32 v2, v2, v3, vcc_lo
	s_delay_alu instid0(VALU_DEP_1) | instskip(SKIP_3) | instid1(VALU_DEP_2)
	v_sqrt_f32_e32 v3, v2
	s_waitcnt_depctr 0xfff
	v_add_nc_u32_e32 v16, 1, v3
	v_add_nc_u32_e32 v15, -1, v3
	v_fma_f32 v18, -v16, v3, v2
	s_delay_alu instid0(VALU_DEP_2) | instskip(NEXT) | instid1(VALU_DEP_1)
	v_fma_f32 v17, -v15, v3, v2
	v_cmp_ge_f32_e64 s3, 0, v17
	s_delay_alu instid0(VALU_DEP_1) | instskip(NEXT) | instid1(VALU_DEP_4)
	v_cndmask_b32_e64 v3, v3, v15, s3
	v_cmp_lt_f32_e64 s3, 0, v18
	s_delay_alu instid0(VALU_DEP_1) | instskip(NEXT) | instid1(VALU_DEP_1)
	v_cndmask_b32_e64 v3, v3, v16, s3
	v_mul_f32_e32 v15, 0x37800000, v3
	s_delay_alu instid0(VALU_DEP_1) | instskip(SKIP_1) | instid1(VALU_DEP_2)
	v_cndmask_b32_e32 v3, v3, v15, vcc_lo
	v_cmp_class_f32_e64 vcc_lo, v2, 0x260
	v_cndmask_b32_e32 v2, v3, v2, vcc_lo
	s_and_not1_b32 vcc_lo, exec_lo, s20
	s_cbranch_vccnz .LBB233_7
; %bb.6:                                ;   in Loop: Header=BB233_3 Depth=1
	v_add_co_u32 v15, vcc_lo, s22, v9
	v_add_co_ci_u32_e32 v16, vcc_lo, s23, v10, vcc_lo
	global_load_b32 v3, v[15:16], off
	s_waitcnt vmcnt(0)
	v_add_f32_e32 v2, v2, v3
.LBB233_7:                              ;   in Loop: Header=BB233_3 Depth=1
	v_and_b32_e32 v3, 0xffff, v4
	s_delay_alu instid0(VALU_DEP_1) | instskip(NEXT) | instid1(VALU_DEP_1)
	v_cvt_f32_u32_e32 v3, v3
	v_mul_f32_e32 v15, 0x3fb8aa3b, v3
	s_delay_alu instid0(VALU_DEP_1) | instskip(SKIP_2) | instid1(VALU_DEP_2)
	v_cmp_gt_f32_e32 vcc_lo, 0xc2fc0000, v15
	v_cndmask_b32_e64 v15, 0, 0x42800000, vcc_lo
	v_cndmask_b32_e64 v16, 1.0, 0x1f800000, vcc_lo
	v_fmac_f32_e32 v15, 0x3fb8aa3b, v3
	s_delay_alu instid0(VALU_DEP_1) | instskip(SKIP_2) | instid1(VALU_DEP_1)
	v_exp_f32_e32 v15, v15
	s_waitcnt_depctr 0xfff
	v_fma_f32 v15, v15, v16, 1.0
	v_cmp_gt_f32_e32 vcc_lo, 0x800000, v15
	v_cndmask_b32_e64 v16, 1.0, 0x4f800000, vcc_lo
	s_delay_alu instid0(VALU_DEP_1) | instskip(SKIP_2) | instid1(VALU_DEP_3)
	v_mul_f32_e32 v15, v15, v16
	v_cndmask_b32_e64 v16, 0, 0x42000000, vcc_lo
	v_cmp_lt_u16_e32 vcc_lo, 20, v4
	v_log_f32_e32 v15, v15
	s_waitcnt_depctr 0xfff
	v_sub_f32_e32 v15, v15, v16
	s_delay_alu instid0(VALU_DEP_1) | instskip(NEXT) | instid1(VALU_DEP_1)
	v_mul_f32_e32 v15, 0x3f317218, v15
	v_cndmask_b32_e32 v3, v15, v3, vcc_lo
	s_delay_alu instid0(VALU_DEP_1) | instskip(SKIP_1) | instid1(VALU_DEP_2)
	v_mul_f32_e32 v15, 0x4f800000, v3
	v_cmp_gt_f32_e32 vcc_lo, 0xf800000, v3
	v_cndmask_b32_e32 v3, v3, v15, vcc_lo
	s_delay_alu instid0(VALU_DEP_1) | instskip(SKIP_3) | instid1(VALU_DEP_2)
	v_sqrt_f32_e32 v15, v3
	s_waitcnt_depctr 0xfff
	v_add_nc_u32_e32 v16, -1, v15
	v_add_nc_u32_e32 v17, 1, v15
	v_fma_f32 v18, -v16, v15, v3
	s_delay_alu instid0(VALU_DEP_2) | instskip(NEXT) | instid1(VALU_DEP_2)
	v_fma_f32 v19, -v17, v15, v3
	v_cmp_ge_f32_e64 s3, 0, v18
	s_delay_alu instid0(VALU_DEP_1) | instskip(NEXT) | instid1(VALU_DEP_3)
	v_cndmask_b32_e64 v15, v15, v16, s3
	v_cmp_lt_f32_e64 s3, 0, v19
	s_delay_alu instid0(VALU_DEP_1) | instskip(NEXT) | instid1(VALU_DEP_1)
	v_cndmask_b32_e64 v15, v15, v17, s3
	v_mul_f32_e32 v16, 0x37800000, v15
	s_delay_alu instid0(VALU_DEP_1) | instskip(SKIP_1) | instid1(VALU_DEP_2)
	v_cndmask_b32_e32 v15, v15, v16, vcc_lo
	v_cmp_class_f32_e64 vcc_lo, v3, 0x260
	v_cndmask_b32_e32 v3, v15, v3, vcc_lo
	s_and_not1_b32 vcc_lo, exec_lo, s20
	s_cbranch_vccnz .LBB233_9
; %bb.8:                                ;   in Loop: Header=BB233_3 Depth=1
	v_add_co_u32 v15, vcc_lo, s24, v9
	v_add_co_ci_u32_e32 v16, vcc_lo, s25, v10, vcc_lo
	global_load_b32 v15, v[15:16], off
	s_waitcnt vmcnt(0)
	v_add_f32_e32 v3, v3, v15
.LBB233_9:                              ;   in Loop: Header=BB233_3 Depth=1
	v_lshrrev_b32_e32 v4, 16, v4
	s_delay_alu instid0(VALU_DEP_1) | instskip(NEXT) | instid1(VALU_DEP_1)
	v_cvt_f32_u32_e32 v15, v4
	v_mul_f32_e32 v16, 0x3fb8aa3b, v15
	s_delay_alu instid0(VALU_DEP_1) | instskip(SKIP_2) | instid1(VALU_DEP_2)
	v_cmp_gt_f32_e32 vcc_lo, 0xc2fc0000, v16
	v_cndmask_b32_e64 v16, 0, 0x42800000, vcc_lo
	v_cndmask_b32_e64 v17, 1.0, 0x1f800000, vcc_lo
	v_fmac_f32_e32 v16, 0x3fb8aa3b, v15
	s_delay_alu instid0(VALU_DEP_1) | instskip(SKIP_2) | instid1(VALU_DEP_1)
	v_exp_f32_e32 v16, v16
	s_waitcnt_depctr 0xfff
	v_fma_f32 v16, v16, v17, 1.0
	v_cmp_gt_f32_e32 vcc_lo, 0x800000, v16
	v_cndmask_b32_e64 v17, 1.0, 0x4f800000, vcc_lo
	s_delay_alu instid0(VALU_DEP_1) | instskip(SKIP_2) | instid1(VALU_DEP_3)
	v_mul_f32_e32 v16, v16, v17
	v_cndmask_b32_e64 v17, 0, 0x42000000, vcc_lo
	v_cmp_lt_u16_e32 vcc_lo, 20, v4
	v_log_f32_e32 v16, v16
	s_waitcnt_depctr 0xfff
	v_sub_f32_e32 v16, v16, v17
	s_delay_alu instid0(VALU_DEP_1) | instskip(NEXT) | instid1(VALU_DEP_1)
	v_mul_f32_e32 v16, 0x3f317218, v16
	v_cndmask_b32_e32 v4, v16, v15, vcc_lo
	s_delay_alu instid0(VALU_DEP_1) | instskip(SKIP_1) | instid1(VALU_DEP_2)
	v_mul_f32_e32 v15, 0x4f800000, v4
	v_cmp_gt_f32_e32 vcc_lo, 0xf800000, v4
	v_cndmask_b32_e32 v4, v4, v15, vcc_lo
	s_delay_alu instid0(VALU_DEP_1) | instskip(SKIP_3) | instid1(VALU_DEP_2)
	v_sqrt_f32_e32 v15, v4
	s_waitcnt_depctr 0xfff
	v_add_nc_u32_e32 v16, -1, v15
	v_add_nc_u32_e32 v17, 1, v15
	v_fma_f32 v18, -v16, v15, v4
	s_delay_alu instid0(VALU_DEP_2) | instskip(NEXT) | instid1(VALU_DEP_2)
	v_fma_f32 v19, -v17, v15, v4
	v_cmp_ge_f32_e64 s3, 0, v18
	s_delay_alu instid0(VALU_DEP_1) | instskip(NEXT) | instid1(VALU_DEP_3)
	v_cndmask_b32_e64 v15, v15, v16, s3
	v_cmp_lt_f32_e64 s3, 0, v19
	s_delay_alu instid0(VALU_DEP_1) | instskip(NEXT) | instid1(VALU_DEP_1)
	v_cndmask_b32_e64 v15, v15, v17, s3
	v_mul_f32_e32 v16, 0x37800000, v15
	s_delay_alu instid0(VALU_DEP_1) | instskip(SKIP_1) | instid1(VALU_DEP_2)
	v_cndmask_b32_e32 v15, v15, v16, vcc_lo
	v_cmp_class_f32_e64 vcc_lo, v4, 0x260
	v_cndmask_b32_e32 v4, v15, v4, vcc_lo
	s_and_not1_b32 vcc_lo, exec_lo, s20
	s_cbranch_vccnz .LBB233_2
; %bb.10:                               ;   in Loop: Header=BB233_3 Depth=1
	v_add_co_u32 v9, vcc_lo, s26, v9
	v_add_co_ci_u32_e32 v10, vcc_lo, s27, v10, vcc_lo
	global_load_b32 v9, v[9:10], off
	s_waitcnt vmcnt(0)
	v_add_f32_e32 v4, v4, v9
	s_branch .LBB233_2
.LBB233_11:
	s_or_b32 exec_lo, exec_lo, s18
	v_lshl_add_u32 v1, s14, 2, v0
	s_mov_b32 s18, exec_lo
	s_delay_alu instid0(VALU_DEP_1)
	v_cmpx_gt_i32_e64 s12, v1
	s_cbranch_execz .LBB233_16
; %bb.12:
	s_load_b32 s3, s[0:1], 0x44
	s_lshl_b64 s[16:17], s[16:17], 1
	v_lshlrev_b32_e32 v2, 2, v0
	s_add_u32 s4, s4, s16
	s_addc_u32 s5, s5, s17
	s_cmp_lg_u64 s[6:7], 0
	s_mov_b32 s19, 0
	s_cselect_b32 s16, -1, 0
	s_lshl_b32 s17, s14, 4
	s_delay_alu instid0(SALU_CYCLE_1) | instskip(SKIP_2) | instid1(SALU_CYCLE_1)
	v_add3_u32 v3, 0, s17, v2
	s_waitcnt lgkmcnt(0)
	s_and_b32 s17, s3, 0xffff
	s_lshl_b32 s20, s17, 2
	s_branch .LBB233_14
.LBB233_13:                             ;   in Loop: Header=BB233_14 Depth=1
	v_add_nc_u32_e32 v1, s17, v1
	v_add_nc_u32_e32 v3, s20, v3
	s_delay_alu instid0(VALU_DEP_2) | instskip(SKIP_1) | instid1(SALU_CYCLE_1)
	v_cmp_le_i32_e32 vcc_lo, s12, v1
	s_or_b32 s19, vcc_lo, s19
	s_and_not1_b32 exec_lo, exec_lo, s19
	s_cbranch_execz .LBB233_16
.LBB233_14:                             ; =>This Inner Loop Header: Depth=1
	v_ashrrev_i32_e32 v2, 31, v1
	s_delay_alu instid0(VALU_DEP_1) | instskip(NEXT) | instid1(VALU_DEP_1)
	v_lshlrev_b64 v[4:5], 1, v[1:2]
	v_add_co_u32 v4, vcc_lo, s4, v4
	s_delay_alu instid0(VALU_DEP_2) | instskip(SKIP_3) | instid1(VALU_DEP_1)
	v_add_co_ci_u32_e32 v5, vcc_lo, s5, v5, vcc_lo
	global_load_u16 v4, v[4:5], off
	s_waitcnt vmcnt(0)
	v_lshlrev_b32_e32 v4, 16, v4
	v_mul_f32_e32 v5, 0x3fb8aa3b, v4
	s_delay_alu instid0(VALU_DEP_1) | instskip(SKIP_2) | instid1(VALU_DEP_2)
	v_cmp_gt_f32_e32 vcc_lo, 0xc2fc0000, v5
	v_cndmask_b32_e64 v5, 0, 0x42800000, vcc_lo
	v_cndmask_b32_e64 v6, 1.0, 0x1f800000, vcc_lo
	v_fmac_f32_e32 v5, 0x3fb8aa3b, v4
	s_delay_alu instid0(VALU_DEP_1) | instskip(SKIP_2) | instid1(VALU_DEP_1)
	v_exp_f32_e32 v5, v5
	s_waitcnt_depctr 0xfff
	v_fma_f32 v5, v5, v6, 1.0
	v_cmp_gt_f32_e32 vcc_lo, 0x800000, v5
	v_cndmask_b32_e64 v6, 1.0, 0x4f800000, vcc_lo
	s_delay_alu instid0(VALU_DEP_1) | instskip(SKIP_2) | instid1(VALU_DEP_3)
	v_mul_f32_e32 v5, v5, v6
	v_cndmask_b32_e64 v6, 0, 0x42000000, vcc_lo
	v_cmp_lt_f32_e32 vcc_lo, 0x41a00000, v4
	v_log_f32_e32 v5, v5
	s_waitcnt_depctr 0xfff
	v_sub_f32_e32 v5, v5, v6
	s_delay_alu instid0(VALU_DEP_1) | instskip(NEXT) | instid1(VALU_DEP_1)
	v_mul_f32_e32 v5, 0x3f317218, v5
	v_cndmask_b32_e32 v4, v5, v4, vcc_lo
	s_delay_alu instid0(VALU_DEP_1) | instskip(SKIP_1) | instid1(VALU_DEP_2)
	v_mul_f32_e32 v5, 0x4f800000, v4
	v_cmp_gt_f32_e32 vcc_lo, 0xf800000, v4
	v_cndmask_b32_e32 v4, v4, v5, vcc_lo
	s_delay_alu instid0(VALU_DEP_1) | instskip(SKIP_3) | instid1(VALU_DEP_2)
	v_sqrt_f32_e32 v5, v4
	s_waitcnt_depctr 0xfff
	v_add_nc_u32_e32 v6, -1, v5
	v_add_nc_u32_e32 v7, 1, v5
	v_fma_f32 v8, -v6, v5, v4
	s_delay_alu instid0(VALU_DEP_2) | instskip(NEXT) | instid1(VALU_DEP_2)
	v_fma_f32 v9, -v7, v5, v4
	v_cmp_ge_f32_e64 s3, 0, v8
	s_delay_alu instid0(VALU_DEP_1) | instskip(NEXT) | instid1(VALU_DEP_3)
	v_cndmask_b32_e64 v5, v5, v6, s3
	v_cmp_lt_f32_e64 s3, 0, v9
	s_delay_alu instid0(VALU_DEP_1) | instskip(NEXT) | instid1(VALU_DEP_1)
	v_cndmask_b32_e64 v5, v5, v7, s3
	v_mul_f32_e32 v6, 0x37800000, v5
	s_delay_alu instid0(VALU_DEP_1) | instskip(SKIP_1) | instid1(VALU_DEP_2)
	v_cndmask_b32_e32 v5, v5, v6, vcc_lo
	v_cmp_class_f32_e64 vcc_lo, v4, 0x260
	v_cndmask_b32_e32 v4, v5, v4, vcc_lo
	s_and_not1_b32 vcc_lo, exec_lo, s16
	ds_store_b32 v3, v4
	s_cbranch_vccnz .LBB233_13
; %bb.15:                               ;   in Loop: Header=BB233_14 Depth=1
	v_lshlrev_b64 v[5:6], 2, v[1:2]
	s_delay_alu instid0(VALU_DEP_1) | instskip(NEXT) | instid1(VALU_DEP_2)
	v_add_co_u32 v5, vcc_lo, s6, v5
	v_add_co_ci_u32_e32 v6, vcc_lo, s7, v6, vcc_lo
	global_load_b32 v2, v[5:6], off
	s_waitcnt vmcnt(0)
	v_add_f32_e32 v2, v4, v2
	ds_store_b32 v3, v2
	s_branch .LBB233_13
.LBB233_16:
	s_or_b32 exec_lo, exec_lo, s18
	v_mov_b32_e32 v2, 0
	s_cmp_lt_i32 s13, 1
	s_waitcnt lgkmcnt(0)
	s_barrier
	buffer_gl0_inv
	s_cbranch_scc1 .LBB233_25
; %bb.17:
	s_add_u32 s4, s0, 56
	s_addc_u32 s5, s1, 0
	v_dual_mov_b32 v2, 0 :: v_dual_mov_b32 v1, 0
	v_dual_mov_b32 v4, 0xff800000 :: v_dual_mov_b32 v3, 0
	s_cmp_lg_u64 s[6:7], 0
	s_mov_b32 s18, 0
	s_cselect_b32 s12, -1, 0
	s_mov_b32 s19, 0x76543210
	s_branch .LBB233_19
.LBB233_18:                             ;   in Loop: Header=BB233_19 Depth=1
	v_cmp_eq_u32_e32 vcc_lo, s18, v0
	s_delay_alu instid0(VALU_DEP_2) | instskip(NEXT) | instid1(VALU_DEP_2)
	s_lshl_b32 s3, s16, 2
	v_add_f32_e32 v3, v3, v7
	s_add_i32 s3, s3, 0
	s_add_i32 s18, s18, 1
	v_cndmask_b32_e64 v1, v1, s16, vcc_lo
	v_dual_mov_b32 v5, s3 :: v_dual_cndmask_b32 v2, v2, v7
	s_cmp_eq_u32 s18, s13
	ds_store_b32 v5, v4
	s_cbranch_scc1 .LBB233_26
.LBB233_19:                             ; =>This Loop Header: Depth=1
                                        ;     Child Loop BB233_21 Depth 2
	v_dual_mov_b32 v5, s18 :: v_dual_mov_b32 v6, 0xff800000
	s_and_saveexec_b32 s16, s2
	s_cbranch_execz .LBB233_23
; %bb.20:                               ;   in Loop: Header=BB233_19 Depth=1
	s_load_b32 s3, s[4:5], 0xc
	v_dual_mov_b32 v5, s18 :: v_dual_mov_b32 v6, 0xff800000
	v_dual_mov_b32 v7, v12 :: v_dual_mov_b32 v8, v11
	v_mov_b32_e32 v9, v0
	s_mov_b32 s21, 0
	s_waitcnt lgkmcnt(0)
	s_and_b32 s17, s3, 0xffff
	s_delay_alu instid0(SALU_CYCLE_1)
	s_lshl_b32 s20, s17, 2
	s_lshl_b32 s22, s17, 4
	.p2align	6
.LBB233_21:                             ;   Parent Loop BB233_19 Depth=1
                                        ; =>  This Inner Loop Header: Depth=2
	ds_load_b128 v[13:16], v7
	v_add_nc_u32_e32 v7, s22, v7
	s_waitcnt lgkmcnt(0)
	v_cmp_gt_f32_e32 vcc_lo, v13, v6
	v_dual_cndmask_b32 v6, v6, v13 :: v_dual_cndmask_b32 v5, v5, v8
	v_add_nc_u32_e32 v13, 2, v8
	v_add_nc_u32_e32 v10, 1, v8
	s_delay_alu instid0(VALU_DEP_3) | instskip(SKIP_1) | instid1(VALU_DEP_3)
	v_cmp_gt_f32_e32 vcc_lo, v14, v6
	v_cndmask_b32_e32 v6, v6, v14, vcc_lo
	v_dual_cndmask_b32 v5, v5, v10 :: v_dual_add_nc_u32 v10, 3, v8
	s_delay_alu instid0(VALU_DEP_2) | instskip(NEXT) | instid1(VALU_DEP_2)
	v_cmp_gt_f32_e32 vcc_lo, v15, v6
	v_dual_cndmask_b32 v6, v6, v15 :: v_dual_cndmask_b32 v5, v5, v13
	s_delay_alu instid0(VALU_DEP_1) | instskip(SKIP_1) | instid1(VALU_DEP_3)
	v_cmp_gt_f32_e32 vcc_lo, v16, v6
	v_add_nc_u32_e32 v9, s17, v9
	v_dual_cndmask_b32 v5, v5, v10 :: v_dual_add_nc_u32 v8, s20, v8
	v_cndmask_b32_e32 v6, v6, v16, vcc_lo
	s_delay_alu instid0(VALU_DEP_3) | instskip(NEXT) | instid1(VALU_DEP_1)
	v_cmp_le_i32_e64 s3, s14, v9
	s_or_b32 s21, s3, s21
	s_delay_alu instid0(SALU_CYCLE_1)
	s_and_not1_b32 exec_lo, exec_lo, s21
	s_cbranch_execnz .LBB233_21
; %bb.22:                               ;   in Loop: Header=BB233_19 Depth=1
	s_or_b32 exec_lo, exec_lo, s21
.LBB233_23:                             ;   in Loop: Header=BB233_19 Depth=1
	s_delay_alu instid0(SALU_CYCLE_1)
	s_or_b32 exec_lo, exec_lo, s16
	;;#ASMSTART
	v_max_f32 v7, v6, v6 quad_perm:[1,0,3,2] row_mask:0xf bank_mask:0xf bound_ctrl:1
	;;#ASMEND
	;;#ASMSTART
	v_max_f32 v8, v7, v7 quad_perm:[2,3,0,1] row_mask:0xf bank_mask:0xf bound_ctrl:1
	;;#ASMEND
	;;#ASMSTART
	v_max_f32 v7, v8, v8 row_half_mirror row_mask:0xf bank_mask:0xf bound_ctrl:1
	;;#ASMEND
	;;#ASMSTART
	v_max_f32 v8, v7, v7 row_mirror row_mask:0xf bank_mask:0xf bound_ctrl:1
	;;#ASMEND
	v_permlanex16_b32 v7, v8, s19, 0xfedcba98 op_sel:[1,1]
	s_delay_alu instid0(VALU_DEP_1) | instskip(NEXT) | instid1(VALU_DEP_1)
	v_dual_max_f32 v8, v8, v8 :: v_dual_max_f32 v7, v7, v7
	v_max_f32_e32 v7, v8, v7
	s_delay_alu instid0(VALU_DEP_1)
	v_cmp_eq_f32_e32 vcc_lo, v6, v7
	s_ctz_i32_b32 s3, vcc_lo
	s_cmp_lg_u32 vcc_lo, 0
	s_cselect_b32 s3, s3, 0
	s_and_b32 vcc_lo, exec_lo, s12
	v_readlane_b32 s16, v5, s3
	s_cbranch_vccz .LBB233_18
; %bb.24:                               ;   in Loop: Header=BB233_19 Depth=1
	s_delay_alu instid0(VALU_DEP_1) | instskip(NEXT) | instid1(SALU_CYCLE_1)
	s_ashr_i32 s17, s16, 31
	s_lshl_b64 s[20:21], s[16:17], 2
	s_delay_alu instid0(SALU_CYCLE_1)
	s_add_u32 s20, s6, s20
	s_addc_u32 s21, s7, s21
	s_load_b32 s3, s[20:21], 0x0
	s_waitcnt lgkmcnt(0)
	v_subrev_f32_e32 v7, s3, v7
	s_branch .LBB233_18
.LBB233_25:
	v_mov_b32_e32 v1, 0
	v_mov_b32_e32 v3, 0
.LBB233_26:
	s_mov_b32 s2, exec_lo
	v_cmpx_gt_i32_e64 s13, v0
	s_cbranch_execz .LBB233_29
; %bb.27:
	s_clause 0x1
	s_load_b32 s2, s[0:1], 0x34
	s_load_b32 s3, s[0:1], 0x44
	v_max_f32_e32 v3, v3, v3
	s_load_b64 s[0:1], s[0:1], 0x20
	s_ashr_i32 s4, s15, 31
	s_delay_alu instid0(VALU_DEP_1) | instskip(SKIP_1) | instid1(VALU_DEP_1)
	v_max_f32_e32 v3, 0x1e3ce508, v3
	s_waitcnt lgkmcnt(0)
	v_div_scale_f32 v4, null, v3, v3, s2
	v_div_scale_f32 v7, vcc_lo, s2, v3, s2
	s_mul_i32 s1, s15, s1
	s_delay_alu instid0(VALU_DEP_2) | instskip(SKIP_4) | instid1(VALU_DEP_1)
	v_rcp_f32_e32 v5, v4
	s_mul_i32 s4, s4, s0
	s_and_b32 s3, s3, 0xffff
	s_waitcnt_depctr 0xfff
	v_fma_f32 v6, -v4, v5, 1.0
	v_fmac_f32_e32 v5, v6, v5
	s_delay_alu instid0(VALU_DEP_1) | instskip(NEXT) | instid1(VALU_DEP_1)
	v_mul_f32_e32 v6, v7, v5
	v_fma_f32 v8, -v4, v6, v7
	s_delay_alu instid0(VALU_DEP_1) | instskip(NEXT) | instid1(VALU_DEP_1)
	v_fmac_f32_e32 v6, v8, v5
	v_fma_f32 v4, -v4, v6, v7
	s_delay_alu instid0(VALU_DEP_1) | instskip(NEXT) | instid1(VALU_DEP_1)
	v_div_fmas_f32 v4, v4, v5, v6
	v_div_fixup_f32 v3, v4, v3, s2
	s_mul_hi_u32 s2, s15, s0
	s_delay_alu instid0(SALU_CYCLE_1) | instskip(SKIP_1) | instid1(VALU_DEP_1)
	s_add_i32 s1, s2, s1
	s_mul_i32 s2, s15, s0
	v_mul_f32_e32 v2, v2, v3
	s_add_i32 s1, s1, s4
	s_mov_b32 s4, 0
	.p2align	6
.LBB233_28:                             ; =>This Inner Loop Header: Depth=1
	v_ashrrev_i32_e32 v4, 31, v0
	v_add_co_u32 v3, vcc_lo, s2, v0
	v_add_nc_u32_e32 v0, s3, v0
	s_delay_alu instid0(VALU_DEP_3) | instskip(NEXT) | instid1(VALU_DEP_2)
	v_add_co_ci_u32_e32 v4, vcc_lo, s1, v4, vcc_lo
	v_cmp_le_i32_e32 vcc_lo, s13, v0
	s_delay_alu instid0(VALU_DEP_2) | instskip(SKIP_1) | instid1(VALU_DEP_1)
	v_lshlrev_b64 v[3:4], 2, v[3:4]
	s_or_b32 s4, vcc_lo, s4
	v_add_co_u32 v5, s0, s8, v3
	s_delay_alu instid0(VALU_DEP_1) | instskip(SKIP_1) | instid1(VALU_DEP_1)
	v_add_co_ci_u32_e64 v6, s0, s9, v4, s0
	v_add_co_u32 v3, s0, s10, v3
	v_add_co_ci_u32_e64 v4, s0, s11, v4, s0
	global_store_b32 v[5:6], v2, off
	global_store_b32 v[3:4], v1, off
	s_and_not1_b32 exec_lo, exec_lo, s4
	s_cbranch_execnz .LBB233_28
.LBB233_29:
	s_nop 0
	s_sendmsg sendmsg(MSG_DEALLOC_VGPRS)
	s_endpgm
	.section	.rodata,"a",@progbits
	.p2align	6, 0x0
	.amdhsa_kernel _ZN5aiter20topk_softplus_kernelI12hip_bfloat16fDv4_fLb1ELi0EEEvPKT_PKT0_PfPimiiif
		.amdhsa_group_segment_fixed_size 0
		.amdhsa_private_segment_fixed_size 0
		.amdhsa_kernarg_size 312
		.amdhsa_user_sgpr_count 15
		.amdhsa_user_sgpr_dispatch_ptr 0
		.amdhsa_user_sgpr_queue_ptr 0
		.amdhsa_user_sgpr_kernarg_segment_ptr 1
		.amdhsa_user_sgpr_dispatch_id 0
		.amdhsa_user_sgpr_private_segment_size 0
		.amdhsa_wavefront_size32 1
		.amdhsa_uses_dynamic_stack 0
		.amdhsa_enable_private_segment 0
		.amdhsa_system_sgpr_workgroup_id_x 1
		.amdhsa_system_sgpr_workgroup_id_y 0
		.amdhsa_system_sgpr_workgroup_id_z 0
		.amdhsa_system_sgpr_workgroup_info 0
		.amdhsa_system_vgpr_workitem_id 0
		.amdhsa_next_free_vgpr 20
		.amdhsa_next_free_sgpr 31
		.amdhsa_reserve_vcc 1
		.amdhsa_float_round_mode_32 0
		.amdhsa_float_round_mode_16_64 0
		.amdhsa_float_denorm_mode_32 3
		.amdhsa_float_denorm_mode_16_64 3
		.amdhsa_dx10_clamp 1
		.amdhsa_ieee_mode 1
		.amdhsa_fp16_overflow 0
		.amdhsa_workgroup_processor_mode 1
		.amdhsa_memory_ordered 1
		.amdhsa_forward_progress 0
		.amdhsa_shared_vgpr_count 0
		.amdhsa_exception_fp_ieee_invalid_op 0
		.amdhsa_exception_fp_denorm_src 0
		.amdhsa_exception_fp_ieee_div_zero 0
		.amdhsa_exception_fp_ieee_overflow 0
		.amdhsa_exception_fp_ieee_underflow 0
		.amdhsa_exception_fp_ieee_inexact 0
		.amdhsa_exception_int_div_zero 0
	.end_amdhsa_kernel
	.section	.text._ZN5aiter20topk_softplus_kernelI12hip_bfloat16fDv4_fLb1ELi0EEEvPKT_PKT0_PfPimiiif,"axG",@progbits,_ZN5aiter20topk_softplus_kernelI12hip_bfloat16fDv4_fLb1ELi0EEEvPKT_PKT0_PfPimiiif,comdat
.Lfunc_end233:
	.size	_ZN5aiter20topk_softplus_kernelI12hip_bfloat16fDv4_fLb1ELi0EEEvPKT_PKT0_PfPimiiif, .Lfunc_end233-_ZN5aiter20topk_softplus_kernelI12hip_bfloat16fDv4_fLb1ELi0EEEvPKT_PKT0_PfPimiiif
                                        ; -- End function
	.section	.AMDGPU.csdata,"",@progbits
; Kernel info:
; codeLenInByte = 3020
; NumSgprs: 33
; NumVgprs: 20
; ScratchSize: 0
; MemoryBound: 0
; FloatMode: 240
; IeeeMode: 1
; LDSByteSize: 0 bytes/workgroup (compile time only)
; SGPRBlocks: 4
; VGPRBlocks: 2
; NumSGPRsForWavesPerEU: 33
; NumVGPRsForWavesPerEU: 20
; Occupancy: 16
; WaveLimiterHint : 0
; COMPUTE_PGM_RSRC2:SCRATCH_EN: 0
; COMPUTE_PGM_RSRC2:USER_SGPR: 15
; COMPUTE_PGM_RSRC2:TRAP_HANDLER: 0
; COMPUTE_PGM_RSRC2:TGID_X_EN: 1
; COMPUTE_PGM_RSRC2:TGID_Y_EN: 0
; COMPUTE_PGM_RSRC2:TGID_Z_EN: 0
; COMPUTE_PGM_RSRC2:TIDIG_COMP_CNT: 0
	.section	.text._ZN5aiter20topk_softplus_kernelI12hip_bfloat16fDv4_fLb0ELi0EEEvPKT_PKT0_PfPimiiif,"axG",@progbits,_ZN5aiter20topk_softplus_kernelI12hip_bfloat16fDv4_fLb0ELi0EEEvPKT_PKT0_PfPimiiif,comdat
	.protected	_ZN5aiter20topk_softplus_kernelI12hip_bfloat16fDv4_fLb0ELi0EEEvPKT_PKT0_PfPimiiif ; -- Begin function _ZN5aiter20topk_softplus_kernelI12hip_bfloat16fDv4_fLb0ELi0EEEvPKT_PKT0_PfPimiiif
	.globl	_ZN5aiter20topk_softplus_kernelI12hip_bfloat16fDv4_fLb0ELi0EEEvPKT_PKT0_PfPimiiif
	.p2align	8
	.type	_ZN5aiter20topk_softplus_kernelI12hip_bfloat16fDv4_fLb0ELi0EEEvPKT_PKT0_PfPimiiif,@function
_ZN5aiter20topk_softplus_kernelI12hip_bfloat16fDv4_fLb0ELi0EEEvPKT_PKT0_PfPimiiif: ; @_ZN5aiter20topk_softplus_kernelI12hip_bfloat16fDv4_fLb0ELi0EEEvPKT_PKT0_PfPimiiif
; %bb.0:
	s_clause 0x1
	s_load_b64 s[12:13], s[0:1], 0x28
	s_load_b256 s[4:11], s[0:1], 0x0
	v_lshlrev_b32_e32 v11, 2, v0
	v_lshl_add_u32 v12, v0, 4, 0
	s_waitcnt lgkmcnt(0)
	s_ashr_i32 s2, s12, 31
	s_mul_i32 s16, s15, s12
	s_lshr_b32 s2, s2, 30
	s_ashr_i32 s17, s16, 31
	s_add_i32 s2, s12, s2
	s_delay_alu instid0(SALU_CYCLE_1) | instskip(NEXT) | instid1(SALU_CYCLE_1)
	s_ashr_i32 s14, s2, 2
	v_cmp_gt_i32_e64 s2, s14, v0
	s_delay_alu instid0(VALU_DEP_1)
	s_and_saveexec_b32 s18, s2
	s_cbranch_execz .LBB234_11
; %bb.1:
	s_load_b32 s3, s[0:1], 0x44
	s_cmp_lg_u64 s[6:7], 0
	v_dual_mov_b32 v6, 0 :: v_dual_lshlrev_b32 v1, 3, v0
	s_cselect_b32 s20, -1, 0
	v_dual_mov_b32 v14, v0 :: v_dual_lshlrev_b32 v5, 2, v0
	v_lshl_add_u32 v13, v0, 4, 0
	s_mov_b32 s19, 0
	s_waitcnt lgkmcnt(0)
	s_and_b32 s21, s3, 0xffff
	s_add_u32 s22, s6, 4
	s_addc_u32 s23, s7, 0
	s_add_u32 s24, s6, 8
	s_addc_u32 s25, s7, 0
	;; [unrolled: 2-line block ×3, first 2 shown]
	s_lshl_b64 s[28:29], s[16:17], 1
	s_delay_alu instid0(SALU_CYCLE_1) | instskip(SKIP_2) | instid1(VALU_DEP_1)
	s_add_u32 s3, s4, s28
	s_addc_u32 s28, s5, s29
	v_add_co_u32 v7, s3, s3, v1
	v_add_co_ci_u32_e64 v8, null, s28, 0, s3
	s_lshl_b32 s28, s21, 3
	s_lshl_b32 s29, s21, 2
	;; [unrolled: 1-line block ×3, first 2 shown]
	s_branch .LBB234_3
.LBB234_2:                              ;   in Loop: Header=BB234_3 Depth=1
	v_add_nc_u32_e32 v14, s21, v14
	v_add_co_u32 v7, s3, v7, s28
	ds_store_b128 v13, v[1:4]
	v_add_co_ci_u32_e64 v8, s3, 0, v8, s3
	v_cmp_le_i32_e32 vcc_lo, s14, v14
	v_add_nc_u32_e32 v5, s29, v5
	v_add_nc_u32_e32 v13, s30, v13
	s_or_b32 s19, vcc_lo, s19
	s_delay_alu instid0(SALU_CYCLE_1)
	s_and_not1_b32 exec_lo, exec_lo, s19
	s_cbranch_execz .LBB234_11
.LBB234_3:                              ; =>This Inner Loop Header: Depth=1
	global_load_b64 v[3:4], v[7:8], off
	s_waitcnt vmcnt(0)
	v_and_b32_e32 v1, 0xffff, v3
	s_delay_alu instid0(VALU_DEP_1) | instskip(NEXT) | instid1(VALU_DEP_1)
	v_cvt_f32_u32_e32 v1, v1
	v_mul_f32_e32 v2, 0x3fb8aa3b, v1
	s_delay_alu instid0(VALU_DEP_1) | instskip(SKIP_2) | instid1(VALU_DEP_2)
	v_cmp_gt_f32_e32 vcc_lo, 0xc2fc0000, v2
	v_cndmask_b32_e64 v2, 0, 0x42800000, vcc_lo
	v_cndmask_b32_e64 v9, 1.0, 0x1f800000, vcc_lo
	v_fmac_f32_e32 v2, 0x3fb8aa3b, v1
	s_delay_alu instid0(VALU_DEP_1) | instskip(SKIP_2) | instid1(VALU_DEP_1)
	v_exp_f32_e32 v2, v2
	s_waitcnt_depctr 0xfff
	v_fma_f32 v2, v2, v9, 1.0
	v_cmp_gt_f32_e32 vcc_lo, 0x800000, v2
	v_cndmask_b32_e64 v9, 1.0, 0x4f800000, vcc_lo
	s_delay_alu instid0(VALU_DEP_1) | instskip(SKIP_2) | instid1(VALU_DEP_3)
	v_mul_f32_e32 v2, v2, v9
	v_cndmask_b32_e64 v9, 0, 0x42000000, vcc_lo
	v_cmp_lt_u16_e32 vcc_lo, 20, v3
	v_log_f32_e32 v2, v2
	s_waitcnt_depctr 0xfff
	v_sub_f32_e32 v2, v2, v9
	s_delay_alu instid0(VALU_DEP_1) | instskip(NEXT) | instid1(VALU_DEP_1)
	v_mul_f32_e32 v2, 0x3f317218, v2
	v_cndmask_b32_e32 v1, v2, v1, vcc_lo
	s_delay_alu instid0(VALU_DEP_1) | instskip(SKIP_1) | instid1(VALU_DEP_2)
	v_mul_f32_e32 v2, 0x4f800000, v1
	v_cmp_gt_f32_e32 vcc_lo, 0xf800000, v1
	v_cndmask_b32_e32 v1, v1, v2, vcc_lo
	s_delay_alu instid0(VALU_DEP_1) | instskip(SKIP_3) | instid1(VALU_DEP_2)
	v_sqrt_f32_e32 v2, v1
	s_waitcnt_depctr 0xfff
	v_add_nc_u32_e32 v9, -1, v2
	v_add_nc_u32_e32 v10, 1, v2
	v_fma_f32 v15, -v9, v2, v1
	s_delay_alu instid0(VALU_DEP_2) | instskip(NEXT) | instid1(VALU_DEP_2)
	v_fma_f32 v16, -v10, v2, v1
	v_cmp_ge_f32_e64 s3, 0, v15
	s_delay_alu instid0(VALU_DEP_1) | instskip(NEXT) | instid1(VALU_DEP_3)
	v_cndmask_b32_e64 v2, v2, v9, s3
	v_cmp_lt_f32_e64 s3, 0, v16
	s_delay_alu instid0(VALU_DEP_1) | instskip(NEXT) | instid1(VALU_DEP_1)
	v_cndmask_b32_e64 v2, v2, v10, s3
	v_mul_f32_e32 v9, 0x37800000, v2
	s_delay_alu instid0(VALU_DEP_1) | instskip(SKIP_2) | instid1(VALU_DEP_3)
	v_cndmask_b32_e32 v2, v2, v9, vcc_lo
	v_cmp_class_f32_e64 vcc_lo, v1, 0x260
	v_lshlrev_b64 v[9:10], 2, v[5:6]
	v_cndmask_b32_e32 v1, v2, v1, vcc_lo
	s_and_not1_b32 vcc_lo, exec_lo, s20
	s_cbranch_vccnz .LBB234_5
; %bb.4:                                ;   in Loop: Header=BB234_3 Depth=1
	s_delay_alu instid0(VALU_DEP_2) | instskip(NEXT) | instid1(VALU_DEP_3)
	v_add_co_u32 v15, vcc_lo, s6, v9
	v_add_co_ci_u32_e32 v16, vcc_lo, s7, v10, vcc_lo
	global_load_b32 v2, v[15:16], off
	s_waitcnt vmcnt(0)
	v_add_f32_e32 v1, v1, v2
.LBB234_5:                              ;   in Loop: Header=BB234_3 Depth=1
	v_lshrrev_b32_e32 v2, 16, v3
	s_delay_alu instid0(VALU_DEP_1) | instskip(NEXT) | instid1(VALU_DEP_1)
	v_cvt_f32_u32_e32 v3, v2
	v_mul_f32_e32 v15, 0x3fb8aa3b, v3
	s_delay_alu instid0(VALU_DEP_1) | instskip(SKIP_2) | instid1(VALU_DEP_2)
	v_cmp_gt_f32_e32 vcc_lo, 0xc2fc0000, v15
	v_cndmask_b32_e64 v15, 0, 0x42800000, vcc_lo
	v_cndmask_b32_e64 v16, 1.0, 0x1f800000, vcc_lo
	v_fmac_f32_e32 v15, 0x3fb8aa3b, v3
	s_delay_alu instid0(VALU_DEP_1) | instskip(SKIP_2) | instid1(VALU_DEP_1)
	v_exp_f32_e32 v15, v15
	s_waitcnt_depctr 0xfff
	v_fma_f32 v15, v15, v16, 1.0
	v_cmp_gt_f32_e32 vcc_lo, 0x800000, v15
	v_cndmask_b32_e64 v16, 1.0, 0x4f800000, vcc_lo
	s_delay_alu instid0(VALU_DEP_1) | instskip(SKIP_2) | instid1(VALU_DEP_3)
	v_mul_f32_e32 v15, v15, v16
	v_cndmask_b32_e64 v16, 0, 0x42000000, vcc_lo
	v_cmp_lt_u16_e32 vcc_lo, 20, v2
	v_log_f32_e32 v15, v15
	s_waitcnt_depctr 0xfff
	v_sub_f32_e32 v15, v15, v16
	s_delay_alu instid0(VALU_DEP_1) | instskip(NEXT) | instid1(VALU_DEP_1)
	v_mul_f32_e32 v15, 0x3f317218, v15
	v_cndmask_b32_e32 v2, v15, v3, vcc_lo
	s_delay_alu instid0(VALU_DEP_1) | instskip(SKIP_1) | instid1(VALU_DEP_2)
	v_mul_f32_e32 v3, 0x4f800000, v2
	v_cmp_gt_f32_e32 vcc_lo, 0xf800000, v2
	v_cndmask_b32_e32 v2, v2, v3, vcc_lo
	s_delay_alu instid0(VALU_DEP_1) | instskip(SKIP_3) | instid1(VALU_DEP_2)
	v_sqrt_f32_e32 v3, v2
	s_waitcnt_depctr 0xfff
	v_add_nc_u32_e32 v16, 1, v3
	v_add_nc_u32_e32 v15, -1, v3
	v_fma_f32 v18, -v16, v3, v2
	s_delay_alu instid0(VALU_DEP_2) | instskip(NEXT) | instid1(VALU_DEP_1)
	v_fma_f32 v17, -v15, v3, v2
	v_cmp_ge_f32_e64 s3, 0, v17
	s_delay_alu instid0(VALU_DEP_1) | instskip(NEXT) | instid1(VALU_DEP_4)
	v_cndmask_b32_e64 v3, v3, v15, s3
	v_cmp_lt_f32_e64 s3, 0, v18
	s_delay_alu instid0(VALU_DEP_1) | instskip(NEXT) | instid1(VALU_DEP_1)
	v_cndmask_b32_e64 v3, v3, v16, s3
	v_mul_f32_e32 v15, 0x37800000, v3
	s_delay_alu instid0(VALU_DEP_1) | instskip(SKIP_1) | instid1(VALU_DEP_2)
	v_cndmask_b32_e32 v3, v3, v15, vcc_lo
	v_cmp_class_f32_e64 vcc_lo, v2, 0x260
	v_cndmask_b32_e32 v2, v3, v2, vcc_lo
	s_and_not1_b32 vcc_lo, exec_lo, s20
	s_cbranch_vccnz .LBB234_7
; %bb.6:                                ;   in Loop: Header=BB234_3 Depth=1
	v_add_co_u32 v15, vcc_lo, s22, v9
	v_add_co_ci_u32_e32 v16, vcc_lo, s23, v10, vcc_lo
	global_load_b32 v3, v[15:16], off
	s_waitcnt vmcnt(0)
	v_add_f32_e32 v2, v2, v3
.LBB234_7:                              ;   in Loop: Header=BB234_3 Depth=1
	v_and_b32_e32 v3, 0xffff, v4
	s_delay_alu instid0(VALU_DEP_1) | instskip(NEXT) | instid1(VALU_DEP_1)
	v_cvt_f32_u32_e32 v3, v3
	v_mul_f32_e32 v15, 0x3fb8aa3b, v3
	s_delay_alu instid0(VALU_DEP_1) | instskip(SKIP_2) | instid1(VALU_DEP_2)
	v_cmp_gt_f32_e32 vcc_lo, 0xc2fc0000, v15
	v_cndmask_b32_e64 v15, 0, 0x42800000, vcc_lo
	v_cndmask_b32_e64 v16, 1.0, 0x1f800000, vcc_lo
	v_fmac_f32_e32 v15, 0x3fb8aa3b, v3
	s_delay_alu instid0(VALU_DEP_1) | instskip(SKIP_2) | instid1(VALU_DEP_1)
	v_exp_f32_e32 v15, v15
	s_waitcnt_depctr 0xfff
	v_fma_f32 v15, v15, v16, 1.0
	v_cmp_gt_f32_e32 vcc_lo, 0x800000, v15
	v_cndmask_b32_e64 v16, 1.0, 0x4f800000, vcc_lo
	s_delay_alu instid0(VALU_DEP_1) | instskip(SKIP_2) | instid1(VALU_DEP_3)
	v_mul_f32_e32 v15, v15, v16
	v_cndmask_b32_e64 v16, 0, 0x42000000, vcc_lo
	v_cmp_lt_u16_e32 vcc_lo, 20, v4
	v_log_f32_e32 v15, v15
	s_waitcnt_depctr 0xfff
	v_sub_f32_e32 v15, v15, v16
	s_delay_alu instid0(VALU_DEP_1) | instskip(NEXT) | instid1(VALU_DEP_1)
	v_mul_f32_e32 v15, 0x3f317218, v15
	v_cndmask_b32_e32 v3, v15, v3, vcc_lo
	s_delay_alu instid0(VALU_DEP_1) | instskip(SKIP_1) | instid1(VALU_DEP_2)
	v_mul_f32_e32 v15, 0x4f800000, v3
	v_cmp_gt_f32_e32 vcc_lo, 0xf800000, v3
	v_cndmask_b32_e32 v3, v3, v15, vcc_lo
	s_delay_alu instid0(VALU_DEP_1) | instskip(SKIP_3) | instid1(VALU_DEP_2)
	v_sqrt_f32_e32 v15, v3
	s_waitcnt_depctr 0xfff
	v_add_nc_u32_e32 v16, -1, v15
	v_add_nc_u32_e32 v17, 1, v15
	v_fma_f32 v18, -v16, v15, v3
	s_delay_alu instid0(VALU_DEP_2) | instskip(NEXT) | instid1(VALU_DEP_2)
	v_fma_f32 v19, -v17, v15, v3
	v_cmp_ge_f32_e64 s3, 0, v18
	s_delay_alu instid0(VALU_DEP_1) | instskip(NEXT) | instid1(VALU_DEP_3)
	v_cndmask_b32_e64 v15, v15, v16, s3
	v_cmp_lt_f32_e64 s3, 0, v19
	s_delay_alu instid0(VALU_DEP_1) | instskip(NEXT) | instid1(VALU_DEP_1)
	v_cndmask_b32_e64 v15, v15, v17, s3
	v_mul_f32_e32 v16, 0x37800000, v15
	s_delay_alu instid0(VALU_DEP_1) | instskip(SKIP_1) | instid1(VALU_DEP_2)
	v_cndmask_b32_e32 v15, v15, v16, vcc_lo
	v_cmp_class_f32_e64 vcc_lo, v3, 0x260
	v_cndmask_b32_e32 v3, v15, v3, vcc_lo
	s_and_not1_b32 vcc_lo, exec_lo, s20
	s_cbranch_vccnz .LBB234_9
; %bb.8:                                ;   in Loop: Header=BB234_3 Depth=1
	v_add_co_u32 v15, vcc_lo, s24, v9
	v_add_co_ci_u32_e32 v16, vcc_lo, s25, v10, vcc_lo
	global_load_b32 v15, v[15:16], off
	s_waitcnt vmcnt(0)
	v_add_f32_e32 v3, v3, v15
.LBB234_9:                              ;   in Loop: Header=BB234_3 Depth=1
	v_lshrrev_b32_e32 v4, 16, v4
	s_delay_alu instid0(VALU_DEP_1) | instskip(NEXT) | instid1(VALU_DEP_1)
	v_cvt_f32_u32_e32 v15, v4
	v_mul_f32_e32 v16, 0x3fb8aa3b, v15
	s_delay_alu instid0(VALU_DEP_1) | instskip(SKIP_2) | instid1(VALU_DEP_2)
	v_cmp_gt_f32_e32 vcc_lo, 0xc2fc0000, v16
	v_cndmask_b32_e64 v16, 0, 0x42800000, vcc_lo
	v_cndmask_b32_e64 v17, 1.0, 0x1f800000, vcc_lo
	v_fmac_f32_e32 v16, 0x3fb8aa3b, v15
	s_delay_alu instid0(VALU_DEP_1) | instskip(SKIP_2) | instid1(VALU_DEP_1)
	v_exp_f32_e32 v16, v16
	s_waitcnt_depctr 0xfff
	v_fma_f32 v16, v16, v17, 1.0
	v_cmp_gt_f32_e32 vcc_lo, 0x800000, v16
	v_cndmask_b32_e64 v17, 1.0, 0x4f800000, vcc_lo
	s_delay_alu instid0(VALU_DEP_1) | instskip(SKIP_2) | instid1(VALU_DEP_3)
	v_mul_f32_e32 v16, v16, v17
	v_cndmask_b32_e64 v17, 0, 0x42000000, vcc_lo
	v_cmp_lt_u16_e32 vcc_lo, 20, v4
	v_log_f32_e32 v16, v16
	s_waitcnt_depctr 0xfff
	v_sub_f32_e32 v16, v16, v17
	s_delay_alu instid0(VALU_DEP_1) | instskip(NEXT) | instid1(VALU_DEP_1)
	v_mul_f32_e32 v16, 0x3f317218, v16
	v_cndmask_b32_e32 v4, v16, v15, vcc_lo
	s_delay_alu instid0(VALU_DEP_1) | instskip(SKIP_1) | instid1(VALU_DEP_2)
	v_mul_f32_e32 v15, 0x4f800000, v4
	v_cmp_gt_f32_e32 vcc_lo, 0xf800000, v4
	v_cndmask_b32_e32 v4, v4, v15, vcc_lo
	s_delay_alu instid0(VALU_DEP_1) | instskip(SKIP_3) | instid1(VALU_DEP_2)
	v_sqrt_f32_e32 v15, v4
	s_waitcnt_depctr 0xfff
	v_add_nc_u32_e32 v16, -1, v15
	v_add_nc_u32_e32 v17, 1, v15
	v_fma_f32 v18, -v16, v15, v4
	s_delay_alu instid0(VALU_DEP_2) | instskip(NEXT) | instid1(VALU_DEP_2)
	v_fma_f32 v19, -v17, v15, v4
	v_cmp_ge_f32_e64 s3, 0, v18
	s_delay_alu instid0(VALU_DEP_1) | instskip(NEXT) | instid1(VALU_DEP_3)
	v_cndmask_b32_e64 v15, v15, v16, s3
	v_cmp_lt_f32_e64 s3, 0, v19
	s_delay_alu instid0(VALU_DEP_1) | instskip(NEXT) | instid1(VALU_DEP_1)
	v_cndmask_b32_e64 v15, v15, v17, s3
	v_mul_f32_e32 v16, 0x37800000, v15
	s_delay_alu instid0(VALU_DEP_1) | instskip(SKIP_1) | instid1(VALU_DEP_2)
	v_cndmask_b32_e32 v15, v15, v16, vcc_lo
	v_cmp_class_f32_e64 vcc_lo, v4, 0x260
	v_cndmask_b32_e32 v4, v15, v4, vcc_lo
	s_and_not1_b32 vcc_lo, exec_lo, s20
	s_cbranch_vccnz .LBB234_2
; %bb.10:                               ;   in Loop: Header=BB234_3 Depth=1
	v_add_co_u32 v9, vcc_lo, s26, v9
	v_add_co_ci_u32_e32 v10, vcc_lo, s27, v10, vcc_lo
	global_load_b32 v9, v[9:10], off
	s_waitcnt vmcnt(0)
	v_add_f32_e32 v4, v4, v9
	s_branch .LBB234_2
.LBB234_11:
	s_or_b32 exec_lo, exec_lo, s18
	v_lshl_add_u32 v1, s14, 2, v0
	s_mov_b32 s18, exec_lo
	s_delay_alu instid0(VALU_DEP_1)
	v_cmpx_gt_i32_e64 s12, v1
	s_cbranch_execz .LBB234_16
; %bb.12:
	s_load_b32 s3, s[0:1], 0x44
	s_lshl_b64 s[16:17], s[16:17], 1
	v_lshlrev_b32_e32 v2, 2, v0
	s_add_u32 s4, s4, s16
	s_addc_u32 s5, s5, s17
	s_cmp_lg_u64 s[6:7], 0
	s_mov_b32 s19, 0
	s_cselect_b32 s16, -1, 0
	s_lshl_b32 s17, s14, 4
	s_delay_alu instid0(SALU_CYCLE_1) | instskip(SKIP_2) | instid1(SALU_CYCLE_1)
	v_add3_u32 v3, 0, s17, v2
	s_waitcnt lgkmcnt(0)
	s_and_b32 s17, s3, 0xffff
	s_lshl_b32 s20, s17, 2
	s_branch .LBB234_14
.LBB234_13:                             ;   in Loop: Header=BB234_14 Depth=1
	v_add_nc_u32_e32 v1, s17, v1
	v_add_nc_u32_e32 v3, s20, v3
	s_delay_alu instid0(VALU_DEP_2) | instskip(SKIP_1) | instid1(SALU_CYCLE_1)
	v_cmp_le_i32_e32 vcc_lo, s12, v1
	s_or_b32 s19, vcc_lo, s19
	s_and_not1_b32 exec_lo, exec_lo, s19
	s_cbranch_execz .LBB234_16
.LBB234_14:                             ; =>This Inner Loop Header: Depth=1
	v_ashrrev_i32_e32 v2, 31, v1
	s_delay_alu instid0(VALU_DEP_1) | instskip(NEXT) | instid1(VALU_DEP_1)
	v_lshlrev_b64 v[4:5], 1, v[1:2]
	v_add_co_u32 v4, vcc_lo, s4, v4
	s_delay_alu instid0(VALU_DEP_2) | instskip(SKIP_3) | instid1(VALU_DEP_1)
	v_add_co_ci_u32_e32 v5, vcc_lo, s5, v5, vcc_lo
	global_load_u16 v4, v[4:5], off
	s_waitcnt vmcnt(0)
	v_lshlrev_b32_e32 v4, 16, v4
	v_mul_f32_e32 v5, 0x3fb8aa3b, v4
	s_delay_alu instid0(VALU_DEP_1) | instskip(SKIP_2) | instid1(VALU_DEP_2)
	v_cmp_gt_f32_e32 vcc_lo, 0xc2fc0000, v5
	v_cndmask_b32_e64 v5, 0, 0x42800000, vcc_lo
	v_cndmask_b32_e64 v6, 1.0, 0x1f800000, vcc_lo
	v_fmac_f32_e32 v5, 0x3fb8aa3b, v4
	s_delay_alu instid0(VALU_DEP_1) | instskip(SKIP_2) | instid1(VALU_DEP_1)
	v_exp_f32_e32 v5, v5
	s_waitcnt_depctr 0xfff
	v_fma_f32 v5, v5, v6, 1.0
	v_cmp_gt_f32_e32 vcc_lo, 0x800000, v5
	v_cndmask_b32_e64 v6, 1.0, 0x4f800000, vcc_lo
	s_delay_alu instid0(VALU_DEP_1) | instskip(SKIP_2) | instid1(VALU_DEP_3)
	v_mul_f32_e32 v5, v5, v6
	v_cndmask_b32_e64 v6, 0, 0x42000000, vcc_lo
	v_cmp_lt_f32_e32 vcc_lo, 0x41a00000, v4
	v_log_f32_e32 v5, v5
	s_waitcnt_depctr 0xfff
	v_sub_f32_e32 v5, v5, v6
	s_delay_alu instid0(VALU_DEP_1) | instskip(NEXT) | instid1(VALU_DEP_1)
	v_mul_f32_e32 v5, 0x3f317218, v5
	v_cndmask_b32_e32 v4, v5, v4, vcc_lo
	s_delay_alu instid0(VALU_DEP_1) | instskip(SKIP_1) | instid1(VALU_DEP_2)
	v_mul_f32_e32 v5, 0x4f800000, v4
	v_cmp_gt_f32_e32 vcc_lo, 0xf800000, v4
	v_cndmask_b32_e32 v4, v4, v5, vcc_lo
	s_delay_alu instid0(VALU_DEP_1) | instskip(SKIP_3) | instid1(VALU_DEP_2)
	v_sqrt_f32_e32 v5, v4
	s_waitcnt_depctr 0xfff
	v_add_nc_u32_e32 v6, -1, v5
	v_add_nc_u32_e32 v7, 1, v5
	v_fma_f32 v8, -v6, v5, v4
	s_delay_alu instid0(VALU_DEP_2) | instskip(NEXT) | instid1(VALU_DEP_2)
	v_fma_f32 v9, -v7, v5, v4
	v_cmp_ge_f32_e64 s3, 0, v8
	s_delay_alu instid0(VALU_DEP_1) | instskip(NEXT) | instid1(VALU_DEP_3)
	v_cndmask_b32_e64 v5, v5, v6, s3
	v_cmp_lt_f32_e64 s3, 0, v9
	s_delay_alu instid0(VALU_DEP_1) | instskip(NEXT) | instid1(VALU_DEP_1)
	v_cndmask_b32_e64 v5, v5, v7, s3
	v_mul_f32_e32 v6, 0x37800000, v5
	s_delay_alu instid0(VALU_DEP_1) | instskip(SKIP_1) | instid1(VALU_DEP_2)
	v_cndmask_b32_e32 v5, v5, v6, vcc_lo
	v_cmp_class_f32_e64 vcc_lo, v4, 0x260
	v_cndmask_b32_e32 v4, v5, v4, vcc_lo
	s_and_not1_b32 vcc_lo, exec_lo, s16
	ds_store_b32 v3, v4
	s_cbranch_vccnz .LBB234_13
; %bb.15:                               ;   in Loop: Header=BB234_14 Depth=1
	v_lshlrev_b64 v[5:6], 2, v[1:2]
	s_delay_alu instid0(VALU_DEP_1) | instskip(NEXT) | instid1(VALU_DEP_2)
	v_add_co_u32 v5, vcc_lo, s6, v5
	v_add_co_ci_u32_e32 v6, vcc_lo, s7, v6, vcc_lo
	global_load_b32 v2, v[5:6], off
	s_waitcnt vmcnt(0)
	v_add_f32_e32 v2, v4, v2
	ds_store_b32 v3, v2
	s_branch .LBB234_13
.LBB234_16:
	s_or_b32 exec_lo, exec_lo, s18
	s_cmp_lt_i32 s13, 1
	s_waitcnt lgkmcnt(0)
	s_barrier
	buffer_gl0_inv
	s_cbranch_scc1 .LBB234_25
; %bb.17:
	s_add_u32 s4, s0, 56
	s_addc_u32 s5, s1, 0
	v_dual_mov_b32 v2, 0 :: v_dual_mov_b32 v1, 0
	v_mov_b32_e32 v3, 0xff800000
	s_cmp_lg_u64 s[6:7], 0
	s_mov_b32 s18, 0
	s_cselect_b32 s12, -1, 0
	s_mov_b32 s19, 0x76543210
	s_branch .LBB234_19
.LBB234_18:                             ;   in Loop: Header=BB234_19 Depth=1
	v_cmp_eq_u32_e32 vcc_lo, s18, v0
	s_delay_alu instid0(VALU_DEP_2)
	s_lshl_b32 s3, s16, 2
	s_add_i32 s18, s18, 1
	s_add_i32 s3, s3, 0
	s_cmp_eq_u32 s18, s13
	v_cndmask_b32_e64 v1, v1, s16, vcc_lo
	v_mov_b32_e32 v4, s3
	v_cndmask_b32_e32 v2, v2, v6, vcc_lo
	ds_store_b32 v4, v3
	s_cbranch_scc1 .LBB234_26
.LBB234_19:                             ; =>This Loop Header: Depth=1
                                        ;     Child Loop BB234_21 Depth 2
	v_dual_mov_b32 v4, s18 :: v_dual_mov_b32 v5, 0xff800000
	s_and_saveexec_b32 s16, s2
	s_cbranch_execz .LBB234_23
; %bb.20:                               ;   in Loop: Header=BB234_19 Depth=1
	s_load_b32 s3, s[4:5], 0xc
	v_dual_mov_b32 v4, s18 :: v_dual_mov_b32 v5, 0xff800000
	v_dual_mov_b32 v6, v12 :: v_dual_mov_b32 v7, v11
	v_mov_b32_e32 v8, v0
	s_mov_b32 s21, 0
	s_waitcnt lgkmcnt(0)
	s_and_b32 s17, s3, 0xffff
	s_delay_alu instid0(SALU_CYCLE_1)
	s_lshl_b32 s20, s17, 2
	s_lshl_b32 s22, s17, 4
	.p2align	6
.LBB234_21:                             ;   Parent Loop BB234_19 Depth=1
                                        ; =>  This Inner Loop Header: Depth=2
	ds_load_b128 v[13:16], v6
	v_add_nc_u32_e32 v8, s17, v8
	v_add_nc_u32_e32 v10, 2, v7
	;; [unrolled: 1-line block ×3, first 2 shown]
	s_delay_alu instid0(VALU_DEP_3) | instskip(NEXT) | instid1(VALU_DEP_1)
	v_cmp_le_i32_e64 s3, s14, v8
	s_or_b32 s21, s3, s21
	s_waitcnt lgkmcnt(0)
	v_cmp_gt_f32_e32 vcc_lo, v13, v5
	v_dual_cndmask_b32 v5, v5, v13 :: v_dual_cndmask_b32 v4, v4, v7
	s_delay_alu instid0(VALU_DEP_1) | instskip(NEXT) | instid1(VALU_DEP_2)
	v_cmp_gt_f32_e32 vcc_lo, v14, v5
	v_dual_cndmask_b32 v5, v5, v14 :: v_dual_cndmask_b32 v4, v4, v9
	v_add_nc_u32_e32 v9, 3, v7
	s_delay_alu instid0(VALU_DEP_2) | instskip(NEXT) | instid1(VALU_DEP_3)
	v_cmp_gt_f32_e32 vcc_lo, v15, v5
	v_dual_cndmask_b32 v5, v5, v15 :: v_dual_cndmask_b32 v4, v4, v10
	s_delay_alu instid0(VALU_DEP_1) | instskip(SKIP_1) | instid1(VALU_DEP_3)
	v_cmp_gt_f32_e32 vcc_lo, v16, v5
	v_add_nc_u32_e32 v6, s22, v6
	v_dual_cndmask_b32 v4, v4, v9 :: v_dual_add_nc_u32 v7, s20, v7
	v_cndmask_b32_e32 v5, v5, v16, vcc_lo
	s_and_not1_b32 exec_lo, exec_lo, s21
	s_cbranch_execnz .LBB234_21
; %bb.22:                               ;   in Loop: Header=BB234_19 Depth=1
	s_or_b32 exec_lo, exec_lo, s21
.LBB234_23:                             ;   in Loop: Header=BB234_19 Depth=1
	s_delay_alu instid0(SALU_CYCLE_1)
	s_or_b32 exec_lo, exec_lo, s16
	;;#ASMSTART
	v_max_f32 v6, v5, v5 quad_perm:[1,0,3,2] row_mask:0xf bank_mask:0xf bound_ctrl:1
	;;#ASMEND
	;;#ASMSTART
	v_max_f32 v7, v6, v6 quad_perm:[2,3,0,1] row_mask:0xf bank_mask:0xf bound_ctrl:1
	;;#ASMEND
	;;#ASMSTART
	v_max_f32 v6, v7, v7 row_half_mirror row_mask:0xf bank_mask:0xf bound_ctrl:1
	;;#ASMEND
	;;#ASMSTART
	v_max_f32 v7, v6, v6 row_mirror row_mask:0xf bank_mask:0xf bound_ctrl:1
	;;#ASMEND
	v_permlanex16_b32 v6, v7, s19, 0xfedcba98 op_sel:[1,1]
	s_delay_alu instid0(VALU_DEP_1) | instskip(NEXT) | instid1(VALU_DEP_1)
	v_dual_max_f32 v7, v7, v7 :: v_dual_max_f32 v6, v6, v6
	v_max_f32_e32 v6, v7, v6
	s_delay_alu instid0(VALU_DEP_1)
	v_cmp_eq_f32_e32 vcc_lo, v5, v6
	s_ctz_i32_b32 s3, vcc_lo
	s_cmp_lg_u32 vcc_lo, 0
	s_cselect_b32 s3, s3, 0
	s_and_b32 vcc_lo, exec_lo, s12
	v_readlane_b32 s16, v4, s3
	s_cbranch_vccz .LBB234_18
; %bb.24:                               ;   in Loop: Header=BB234_19 Depth=1
	s_delay_alu instid0(VALU_DEP_1) | instskip(NEXT) | instid1(SALU_CYCLE_1)
	s_ashr_i32 s17, s16, 31
	s_lshl_b64 s[20:21], s[16:17], 2
	s_delay_alu instid0(SALU_CYCLE_1)
	s_add_u32 s20, s6, s20
	s_addc_u32 s21, s7, s21
	s_load_b32 s3, s[20:21], 0x0
	s_waitcnt lgkmcnt(0)
	v_subrev_f32_e32 v6, s3, v6
	s_branch .LBB234_18
.LBB234_25:
	v_dual_mov_b32 v2, 0 :: v_dual_mov_b32 v1, 0
.LBB234_26:
	s_mov_b32 s2, exec_lo
	v_cmpx_gt_i32_e64 s13, v0
	s_cbranch_execz .LBB234_29
; %bb.27:
	s_clause 0x2
	s_load_b32 s4, s[0:1], 0x34
	s_load_b64 s[2:3], s[0:1], 0x20
	s_load_b32 s0, s[0:1], 0x44
	s_ashr_i32 s1, s15, 31
	s_waitcnt lgkmcnt(0)
	v_mul_f32_e32 v2, s4, v2
	s_mul_i32 s3, s15, s3
	s_mul_hi_u32 s4, s15, s2
	s_mul_i32 s5, s1, s2
	s_add_i32 s3, s4, s3
	s_mul_i32 s1, s15, s2
	s_and_b32 s2, s0, 0xffff
	s_add_i32 s3, s3, s5
	s_mov_b32 s4, 0
	.p2align	6
.LBB234_28:                             ; =>This Inner Loop Header: Depth=1
	v_ashrrev_i32_e32 v4, 31, v0
	v_add_co_u32 v3, vcc_lo, s1, v0
	v_add_nc_u32_e32 v0, s2, v0
	s_delay_alu instid0(VALU_DEP_3) | instskip(NEXT) | instid1(VALU_DEP_2)
	v_add_co_ci_u32_e32 v4, vcc_lo, s3, v4, vcc_lo
	v_cmp_le_i32_e32 vcc_lo, s13, v0
	s_delay_alu instid0(VALU_DEP_2) | instskip(SKIP_1) | instid1(VALU_DEP_1)
	v_lshlrev_b64 v[3:4], 2, v[3:4]
	s_or_b32 s4, vcc_lo, s4
	v_add_co_u32 v5, s0, s8, v3
	s_delay_alu instid0(VALU_DEP_1) | instskip(SKIP_1) | instid1(VALU_DEP_1)
	v_add_co_ci_u32_e64 v6, s0, s9, v4, s0
	v_add_co_u32 v3, s0, s10, v3
	v_add_co_ci_u32_e64 v4, s0, s11, v4, s0
	global_store_b32 v[5:6], v2, off
	global_store_b32 v[3:4], v1, off
	s_and_not1_b32 exec_lo, exec_lo, s4
	s_cbranch_execnz .LBB234_28
.LBB234_29:
	s_nop 0
	s_sendmsg sendmsg(MSG_DEALLOC_VGPRS)
	s_endpgm
	.section	.rodata,"a",@progbits
	.p2align	6, 0x0
	.amdhsa_kernel _ZN5aiter20topk_softplus_kernelI12hip_bfloat16fDv4_fLb0ELi0EEEvPKT_PKT0_PfPimiiif
		.amdhsa_group_segment_fixed_size 0
		.amdhsa_private_segment_fixed_size 0
		.amdhsa_kernarg_size 312
		.amdhsa_user_sgpr_count 15
		.amdhsa_user_sgpr_dispatch_ptr 0
		.amdhsa_user_sgpr_queue_ptr 0
		.amdhsa_user_sgpr_kernarg_segment_ptr 1
		.amdhsa_user_sgpr_dispatch_id 0
		.amdhsa_user_sgpr_private_segment_size 0
		.amdhsa_wavefront_size32 1
		.amdhsa_uses_dynamic_stack 0
		.amdhsa_enable_private_segment 0
		.amdhsa_system_sgpr_workgroup_id_x 1
		.amdhsa_system_sgpr_workgroup_id_y 0
		.amdhsa_system_sgpr_workgroup_id_z 0
		.amdhsa_system_sgpr_workgroup_info 0
		.amdhsa_system_vgpr_workitem_id 0
		.amdhsa_next_free_vgpr 20
		.amdhsa_next_free_sgpr 31
		.amdhsa_reserve_vcc 1
		.amdhsa_float_round_mode_32 0
		.amdhsa_float_round_mode_16_64 0
		.amdhsa_float_denorm_mode_32 3
		.amdhsa_float_denorm_mode_16_64 3
		.amdhsa_dx10_clamp 1
		.amdhsa_ieee_mode 1
		.amdhsa_fp16_overflow 0
		.amdhsa_workgroup_processor_mode 1
		.amdhsa_memory_ordered 1
		.amdhsa_forward_progress 0
		.amdhsa_shared_vgpr_count 0
		.amdhsa_exception_fp_ieee_invalid_op 0
		.amdhsa_exception_fp_denorm_src 0
		.amdhsa_exception_fp_ieee_div_zero 0
		.amdhsa_exception_fp_ieee_overflow 0
		.amdhsa_exception_fp_ieee_underflow 0
		.amdhsa_exception_fp_ieee_inexact 0
		.amdhsa_exception_int_div_zero 0
	.end_amdhsa_kernel
	.section	.text._ZN5aiter20topk_softplus_kernelI12hip_bfloat16fDv4_fLb0ELi0EEEvPKT_PKT0_PfPimiiif,"axG",@progbits,_ZN5aiter20topk_softplus_kernelI12hip_bfloat16fDv4_fLb0ELi0EEEvPKT_PKT0_PfPimiiif,comdat
.Lfunc_end234:
	.size	_ZN5aiter20topk_softplus_kernelI12hip_bfloat16fDv4_fLb0ELi0EEEvPKT_PKT0_PfPimiiif, .Lfunc_end234-_ZN5aiter20topk_softplus_kernelI12hip_bfloat16fDv4_fLb0ELi0EEEvPKT_PKT0_PfPimiiif
                                        ; -- End function
	.section	.AMDGPU.csdata,"",@progbits
; Kernel info:
; codeLenInByte = 2892
; NumSgprs: 33
; NumVgprs: 20
; ScratchSize: 0
; MemoryBound: 0
; FloatMode: 240
; IeeeMode: 1
; LDSByteSize: 0 bytes/workgroup (compile time only)
; SGPRBlocks: 4
; VGPRBlocks: 2
; NumSGPRsForWavesPerEU: 33
; NumVGPRsForWavesPerEU: 20
; Occupancy: 16
; WaveLimiterHint : 0
; COMPUTE_PGM_RSRC2:SCRATCH_EN: 0
; COMPUTE_PGM_RSRC2:USER_SGPR: 15
; COMPUTE_PGM_RSRC2:TRAP_HANDLER: 0
; COMPUTE_PGM_RSRC2:TGID_X_EN: 1
; COMPUTE_PGM_RSRC2:TGID_Y_EN: 0
; COMPUTE_PGM_RSRC2:TGID_Z_EN: 0
; COMPUTE_PGM_RSRC2:TIDIG_COMP_CNT: 0
	.section	.text._ZN5aiter20topk_softplus_kernelI12hip_bfloat16fDv2_fLb1ELi0EEEvPKT_PKT0_PfPimiiif,"axG",@progbits,_ZN5aiter20topk_softplus_kernelI12hip_bfloat16fDv2_fLb1ELi0EEEvPKT_PKT0_PfPimiiif,comdat
	.protected	_ZN5aiter20topk_softplus_kernelI12hip_bfloat16fDv2_fLb1ELi0EEEvPKT_PKT0_PfPimiiif ; -- Begin function _ZN5aiter20topk_softplus_kernelI12hip_bfloat16fDv2_fLb1ELi0EEEvPKT_PKT0_PfPimiiif
	.globl	_ZN5aiter20topk_softplus_kernelI12hip_bfloat16fDv2_fLb1ELi0EEEvPKT_PKT0_PfPimiiif
	.p2align	8
	.type	_ZN5aiter20topk_softplus_kernelI12hip_bfloat16fDv2_fLb1ELi0EEEvPKT_PKT0_PfPimiiif,@function
_ZN5aiter20topk_softplus_kernelI12hip_bfloat16fDv2_fLb1ELi0EEEvPKT_PKT0_PfPimiiif: ; @_ZN5aiter20topk_softplus_kernelI12hip_bfloat16fDv2_fLb1ELi0EEEvPKT_PKT0_PfPimiiif
; %bb.0:
	s_clause 0x1
	s_load_b64 s[12:13], s[0:1], 0x28
	s_load_b256 s[4:11], s[0:1], 0x0
	s_waitcnt lgkmcnt(0)
	s_lshr_b32 s2, s12, 31
	s_mul_i32 s16, s15, s12
	s_add_i32 s2, s12, s2
	s_ashr_i32 s17, s16, 31
	s_ashr_i32 s14, s2, 1
	s_delay_alu instid0(SALU_CYCLE_1) | instskip(NEXT) | instid1(VALU_DEP_1)
	v_cmp_gt_i32_e64 s2, s14, v0
	s_and_saveexec_b32 s18, s2
	s_cbranch_execz .LBB235_7
; %bb.1:
	s_load_b32 s3, s[0:1], 0x44
	v_lshlrev_b32_e32 v1, 3, v0
	s_cmp_lg_u64 s[6:7], 0
	v_dual_mov_b32 v8, v0 :: v_dual_lshlrev_b32 v3, 2, v0
	s_cselect_b32 s19, -1, 0
	s_delay_alu instid0(VALU_DEP_2) | instskip(SKIP_3) | instid1(VALU_DEP_3)
	v_add_co_u32 v2, s20, v1, s6
	s_lshl_b64 s[22:23], s[16:17], 1
	v_add_co_ci_u32_e64 v4, null, 0, s7, s20
	v_add_nc_u32_e32 v7, 0, v1
	v_add_co_u32 v1, vcc_lo, v2, 4
	s_delay_alu instid0(VALU_DEP_3)
	v_add_co_ci_u32_e32 v2, vcc_lo, 0, v4, vcc_lo
	s_waitcnt lgkmcnt(0)
	s_and_b32 s20, s3, 0xffff
	s_add_u32 s3, s4, s22
	s_addc_u32 s21, s5, s23
	v_add_co_u32 v3, s3, s3, v3
	s_delay_alu instid0(VALU_DEP_1)
	v_add_co_ci_u32_e64 v4, null, s21, 0, s3
	s_mov_b32 s21, 0
	s_lshl_b32 s22, s20, 2
	s_lshl_b32 s23, s20, 3
	s_branch .LBB235_3
.LBB235_2:                              ;   in Loop: Header=BB235_3 Depth=1
	v_add_nc_u32_e32 v8, s20, v8
	v_add_co_u32 v3, vcc_lo, v3, s22
	v_add_co_ci_u32_e32 v4, vcc_lo, 0, v4, vcc_lo
	s_delay_alu instid0(VALU_DEP_3)
	v_cmp_le_i32_e32 vcc_lo, s14, v8
	v_add_co_u32 v1, s3, v1, s23
	ds_store_b64 v7, v[5:6]
	v_add_co_ci_u32_e64 v2, s3, 0, v2, s3
	v_add_nc_u32_e32 v7, s23, v7
	s_or_b32 s21, vcc_lo, s21
	s_delay_alu instid0(SALU_CYCLE_1)
	s_and_not1_b32 exec_lo, exec_lo, s21
	s_cbranch_execz .LBB235_7
.LBB235_3:                              ; =>This Inner Loop Header: Depth=1
	global_load_b32 v6, v[3:4], off
	s_waitcnt vmcnt(0)
	v_and_b32_e32 v5, 0xffff, v6
	s_delay_alu instid0(VALU_DEP_1) | instskip(NEXT) | instid1(VALU_DEP_1)
	v_cvt_f32_u32_e32 v5, v5
	v_mul_f32_e32 v9, 0x3fb8aa3b, v5
	s_delay_alu instid0(VALU_DEP_1) | instskip(SKIP_2) | instid1(VALU_DEP_2)
	v_cmp_gt_f32_e32 vcc_lo, 0xc2fc0000, v9
	v_cndmask_b32_e64 v9, 0, 0x42800000, vcc_lo
	v_cndmask_b32_e64 v10, 1.0, 0x1f800000, vcc_lo
	v_fmac_f32_e32 v9, 0x3fb8aa3b, v5
	s_delay_alu instid0(VALU_DEP_1) | instskip(SKIP_2) | instid1(VALU_DEP_1)
	v_exp_f32_e32 v9, v9
	s_waitcnt_depctr 0xfff
	v_fma_f32 v9, v9, v10, 1.0
	v_cmp_gt_f32_e32 vcc_lo, 0x800000, v9
	v_cndmask_b32_e64 v10, 1.0, 0x4f800000, vcc_lo
	s_delay_alu instid0(VALU_DEP_1) | instskip(SKIP_2) | instid1(VALU_DEP_3)
	v_mul_f32_e32 v9, v9, v10
	v_cndmask_b32_e64 v10, 0, 0x42000000, vcc_lo
	v_cmp_lt_u16_e32 vcc_lo, 20, v6
	v_log_f32_e32 v9, v9
	s_waitcnt_depctr 0xfff
	v_sub_f32_e32 v9, v9, v10
	s_delay_alu instid0(VALU_DEP_1) | instskip(NEXT) | instid1(VALU_DEP_1)
	v_mul_f32_e32 v9, 0x3f317218, v9
	v_cndmask_b32_e32 v5, v9, v5, vcc_lo
	s_delay_alu instid0(VALU_DEP_1) | instskip(SKIP_1) | instid1(VALU_DEP_2)
	v_mul_f32_e32 v9, 0x4f800000, v5
	v_cmp_gt_f32_e32 vcc_lo, 0xf800000, v5
	v_cndmask_b32_e32 v5, v5, v9, vcc_lo
	s_delay_alu instid0(VALU_DEP_1) | instskip(SKIP_3) | instid1(VALU_DEP_2)
	v_sqrt_f32_e32 v9, v5
	s_waitcnt_depctr 0xfff
	v_add_nc_u32_e32 v10, -1, v9
	v_add_nc_u32_e32 v11, 1, v9
	v_fma_f32 v12, -v10, v9, v5
	s_delay_alu instid0(VALU_DEP_2) | instskip(NEXT) | instid1(VALU_DEP_2)
	v_fma_f32 v13, -v11, v9, v5
	v_cmp_ge_f32_e64 s3, 0, v12
	s_delay_alu instid0(VALU_DEP_1) | instskip(NEXT) | instid1(VALU_DEP_3)
	v_cndmask_b32_e64 v9, v9, v10, s3
	v_cmp_lt_f32_e64 s3, 0, v13
	s_delay_alu instid0(VALU_DEP_1) | instskip(NEXT) | instid1(VALU_DEP_1)
	v_cndmask_b32_e64 v9, v9, v11, s3
	v_mul_f32_e32 v10, 0x37800000, v9
	s_delay_alu instid0(VALU_DEP_1) | instskip(SKIP_1) | instid1(VALU_DEP_2)
	v_cndmask_b32_e32 v9, v9, v10, vcc_lo
	v_cmp_class_f32_e64 vcc_lo, v5, 0x260
	v_cndmask_b32_e32 v5, v9, v5, vcc_lo
	s_and_not1_b32 vcc_lo, exec_lo, s19
	s_cbranch_vccnz .LBB235_5
; %bb.4:                                ;   in Loop: Header=BB235_3 Depth=1
	global_load_b32 v9, v[1:2], off offset:-4
	s_waitcnt vmcnt(0)
	v_add_f32_e32 v5, v5, v9
.LBB235_5:                              ;   in Loop: Header=BB235_3 Depth=1
	v_lshrrev_b32_e32 v6, 16, v6
	s_delay_alu instid0(VALU_DEP_1) | instskip(NEXT) | instid1(VALU_DEP_1)
	v_cvt_f32_u32_e32 v9, v6
	v_mul_f32_e32 v10, 0x3fb8aa3b, v9
	s_delay_alu instid0(VALU_DEP_1) | instskip(SKIP_2) | instid1(VALU_DEP_2)
	v_cmp_gt_f32_e32 vcc_lo, 0xc2fc0000, v10
	v_cndmask_b32_e64 v10, 0, 0x42800000, vcc_lo
	v_cndmask_b32_e64 v11, 1.0, 0x1f800000, vcc_lo
	v_fmac_f32_e32 v10, 0x3fb8aa3b, v9
	s_delay_alu instid0(VALU_DEP_1) | instskip(SKIP_2) | instid1(VALU_DEP_1)
	v_exp_f32_e32 v10, v10
	s_waitcnt_depctr 0xfff
	v_fma_f32 v10, v10, v11, 1.0
	v_cmp_gt_f32_e32 vcc_lo, 0x800000, v10
	v_cndmask_b32_e64 v11, 1.0, 0x4f800000, vcc_lo
	s_delay_alu instid0(VALU_DEP_1) | instskip(SKIP_2) | instid1(VALU_DEP_3)
	v_mul_f32_e32 v10, v10, v11
	v_cndmask_b32_e64 v11, 0, 0x42000000, vcc_lo
	v_cmp_lt_u16_e32 vcc_lo, 20, v6
	v_log_f32_e32 v10, v10
	s_waitcnt_depctr 0xfff
	v_sub_f32_e32 v10, v10, v11
	s_delay_alu instid0(VALU_DEP_1) | instskip(NEXT) | instid1(VALU_DEP_1)
	v_mul_f32_e32 v10, 0x3f317218, v10
	v_cndmask_b32_e32 v6, v10, v9, vcc_lo
	s_delay_alu instid0(VALU_DEP_1) | instskip(SKIP_1) | instid1(VALU_DEP_2)
	v_mul_f32_e32 v9, 0x4f800000, v6
	v_cmp_gt_f32_e32 vcc_lo, 0xf800000, v6
	v_cndmask_b32_e32 v6, v6, v9, vcc_lo
	s_delay_alu instid0(VALU_DEP_1) | instskip(SKIP_3) | instid1(VALU_DEP_2)
	v_sqrt_f32_e32 v9, v6
	s_waitcnt_depctr 0xfff
	v_add_nc_u32_e32 v10, -1, v9
	v_add_nc_u32_e32 v11, 1, v9
	v_fma_f32 v12, -v10, v9, v6
	s_delay_alu instid0(VALU_DEP_2) | instskip(NEXT) | instid1(VALU_DEP_2)
	v_fma_f32 v13, -v11, v9, v6
	v_cmp_ge_f32_e64 s3, 0, v12
	s_delay_alu instid0(VALU_DEP_1) | instskip(NEXT) | instid1(VALU_DEP_3)
	v_cndmask_b32_e64 v9, v9, v10, s3
	v_cmp_lt_f32_e64 s3, 0, v13
	s_delay_alu instid0(VALU_DEP_1) | instskip(NEXT) | instid1(VALU_DEP_1)
	v_cndmask_b32_e64 v9, v9, v11, s3
	v_mul_f32_e32 v10, 0x37800000, v9
	s_delay_alu instid0(VALU_DEP_1) | instskip(SKIP_1) | instid1(VALU_DEP_2)
	v_cndmask_b32_e32 v9, v9, v10, vcc_lo
	v_cmp_class_f32_e64 vcc_lo, v6, 0x260
	v_cndmask_b32_e32 v6, v9, v6, vcc_lo
	s_and_not1_b32 vcc_lo, exec_lo, s19
	s_cbranch_vccnz .LBB235_2
; %bb.6:                                ;   in Loop: Header=BB235_3 Depth=1
	global_load_b32 v9, v[1:2], off
	s_waitcnt vmcnt(0)
	v_add_f32_e32 v6, v6, v9
	s_branch .LBB235_2
.LBB235_7:
	s_or_b32 exec_lo, exec_lo, s18
	v_lshl_add_u32 v1, s14, 1, v0
	s_mov_b32 s18, exec_lo
	s_delay_alu instid0(VALU_DEP_1)
	v_cmpx_gt_i32_e64 s12, v1
	s_cbranch_execz .LBB235_12
; %bb.8:
	s_load_b32 s3, s[0:1], 0x44
	s_lshl_b64 s[16:17], s[16:17], 1
	v_lshlrev_b32_e32 v2, 2, v0
	s_add_u32 s4, s4, s16
	s_addc_u32 s5, s5, s17
	s_cmp_lg_u64 s[6:7], 0
	s_mov_b32 s19, 0
	s_cselect_b32 s16, -1, 0
	s_lshl_b32 s17, s14, 3
	s_delay_alu instid0(SALU_CYCLE_1) | instskip(SKIP_2) | instid1(SALU_CYCLE_1)
	v_add3_u32 v3, 0, s17, v2
	s_waitcnt lgkmcnt(0)
	s_and_b32 s17, s3, 0xffff
	s_lshl_b32 s20, s17, 2
	s_branch .LBB235_10
.LBB235_9:                              ;   in Loop: Header=BB235_10 Depth=1
	v_add_nc_u32_e32 v1, s17, v1
	v_add_nc_u32_e32 v3, s20, v3
	s_delay_alu instid0(VALU_DEP_2) | instskip(SKIP_1) | instid1(SALU_CYCLE_1)
	v_cmp_le_i32_e32 vcc_lo, s12, v1
	s_or_b32 s19, vcc_lo, s19
	s_and_not1_b32 exec_lo, exec_lo, s19
	s_cbranch_execz .LBB235_12
.LBB235_10:                             ; =>This Inner Loop Header: Depth=1
	v_ashrrev_i32_e32 v2, 31, v1
	s_delay_alu instid0(VALU_DEP_1) | instskip(NEXT) | instid1(VALU_DEP_1)
	v_lshlrev_b64 v[4:5], 1, v[1:2]
	v_add_co_u32 v4, vcc_lo, s4, v4
	s_delay_alu instid0(VALU_DEP_2) | instskip(SKIP_3) | instid1(VALU_DEP_1)
	v_add_co_ci_u32_e32 v5, vcc_lo, s5, v5, vcc_lo
	global_load_u16 v4, v[4:5], off
	s_waitcnt vmcnt(0)
	v_lshlrev_b32_e32 v4, 16, v4
	v_mul_f32_e32 v5, 0x3fb8aa3b, v4
	s_delay_alu instid0(VALU_DEP_1) | instskip(SKIP_2) | instid1(VALU_DEP_2)
	v_cmp_gt_f32_e32 vcc_lo, 0xc2fc0000, v5
	v_cndmask_b32_e64 v5, 0, 0x42800000, vcc_lo
	v_cndmask_b32_e64 v6, 1.0, 0x1f800000, vcc_lo
	v_fmac_f32_e32 v5, 0x3fb8aa3b, v4
	s_delay_alu instid0(VALU_DEP_1) | instskip(SKIP_2) | instid1(VALU_DEP_1)
	v_exp_f32_e32 v5, v5
	s_waitcnt_depctr 0xfff
	v_fma_f32 v5, v5, v6, 1.0
	v_cmp_gt_f32_e32 vcc_lo, 0x800000, v5
	v_cndmask_b32_e64 v6, 1.0, 0x4f800000, vcc_lo
	s_delay_alu instid0(VALU_DEP_1) | instskip(SKIP_2) | instid1(VALU_DEP_3)
	v_mul_f32_e32 v5, v5, v6
	v_cndmask_b32_e64 v6, 0, 0x42000000, vcc_lo
	v_cmp_lt_f32_e32 vcc_lo, 0x41a00000, v4
	v_log_f32_e32 v5, v5
	s_waitcnt_depctr 0xfff
	v_sub_f32_e32 v5, v5, v6
	s_delay_alu instid0(VALU_DEP_1) | instskip(NEXT) | instid1(VALU_DEP_1)
	v_mul_f32_e32 v5, 0x3f317218, v5
	v_cndmask_b32_e32 v4, v5, v4, vcc_lo
	s_delay_alu instid0(VALU_DEP_1) | instskip(SKIP_1) | instid1(VALU_DEP_2)
	v_mul_f32_e32 v5, 0x4f800000, v4
	v_cmp_gt_f32_e32 vcc_lo, 0xf800000, v4
	v_cndmask_b32_e32 v4, v4, v5, vcc_lo
	s_delay_alu instid0(VALU_DEP_1) | instskip(SKIP_3) | instid1(VALU_DEP_2)
	v_sqrt_f32_e32 v5, v4
	s_waitcnt_depctr 0xfff
	v_add_nc_u32_e32 v6, -1, v5
	v_add_nc_u32_e32 v7, 1, v5
	v_fma_f32 v8, -v6, v5, v4
	s_delay_alu instid0(VALU_DEP_2) | instskip(NEXT) | instid1(VALU_DEP_2)
	v_fma_f32 v9, -v7, v5, v4
	v_cmp_ge_f32_e64 s3, 0, v8
	s_delay_alu instid0(VALU_DEP_1) | instskip(NEXT) | instid1(VALU_DEP_3)
	v_cndmask_b32_e64 v5, v5, v6, s3
	v_cmp_lt_f32_e64 s3, 0, v9
	s_delay_alu instid0(VALU_DEP_1) | instskip(NEXT) | instid1(VALU_DEP_1)
	v_cndmask_b32_e64 v5, v5, v7, s3
	v_mul_f32_e32 v6, 0x37800000, v5
	s_delay_alu instid0(VALU_DEP_1) | instskip(SKIP_1) | instid1(VALU_DEP_2)
	v_cndmask_b32_e32 v5, v5, v6, vcc_lo
	v_cmp_class_f32_e64 vcc_lo, v4, 0x260
	v_cndmask_b32_e32 v4, v5, v4, vcc_lo
	s_and_not1_b32 vcc_lo, exec_lo, s16
	ds_store_b32 v3, v4
	s_cbranch_vccnz .LBB235_9
; %bb.11:                               ;   in Loop: Header=BB235_10 Depth=1
	v_lshlrev_b64 v[5:6], 2, v[1:2]
	s_delay_alu instid0(VALU_DEP_1) | instskip(NEXT) | instid1(VALU_DEP_2)
	v_add_co_u32 v5, vcc_lo, s6, v5
	v_add_co_ci_u32_e32 v6, vcc_lo, s7, v6, vcc_lo
	global_load_b32 v2, v[5:6], off
	s_waitcnt vmcnt(0)
	v_add_f32_e32 v2, v4, v2
	ds_store_b32 v3, v2
	s_branch .LBB235_9
.LBB235_12:
	s_or_b32 exec_lo, exec_lo, s18
	v_mov_b32_e32 v2, 0
	s_cmp_lt_i32 s13, 1
	s_waitcnt lgkmcnt(0)
	s_barrier
	buffer_gl0_inv
	s_cbranch_scc1 .LBB235_21
; %bb.13:
	s_add_u32 s4, s0, 56
	s_addc_u32 s5, s1, 0
	v_dual_mov_b32 v1, 0 :: v_dual_lshlrev_b32 v4, 1, v0
	v_lshl_add_u32 v5, v0, 3, 0
	v_dual_mov_b32 v2, 0 :: v_dual_mov_b32 v3, 0
	v_mov_b32_e32 v6, 0xff800000
	s_cmp_lg_u64 s[6:7], 0
	s_mov_b32 s18, 0
	s_cselect_b32 s12, -1, 0
	s_mov_b32 s19, 0x76543210
	s_branch .LBB235_15
.LBB235_14:                             ;   in Loop: Header=BB235_15 Depth=1
	v_cmp_eq_u32_e32 vcc_lo, s18, v0
	s_delay_alu instid0(VALU_DEP_2) | instskip(NEXT) | instid1(VALU_DEP_2)
	s_lshl_b32 s3, s16, 2
	v_add_f32_e32 v3, v3, v9
	s_add_i32 s3, s3, 0
	s_add_i32 s18, s18, 1
	v_cndmask_b32_e64 v1, v1, s16, vcc_lo
	v_dual_mov_b32 v7, s3 :: v_dual_cndmask_b32 v2, v2, v9
	s_cmp_eq_u32 s18, s13
	ds_store_b32 v7, v6
	s_cbranch_scc1 .LBB235_22
.LBB235_15:                             ; =>This Loop Header: Depth=1
                                        ;     Child Loop BB235_17 Depth 2
	v_dual_mov_b32 v7, s18 :: v_dual_mov_b32 v8, 0xff800000
	s_and_saveexec_b32 s16, s2
	s_cbranch_execz .LBB235_19
; %bb.16:                               ;   in Loop: Header=BB235_15 Depth=1
	s_load_b32 s3, s[4:5], 0xc
	v_dual_mov_b32 v7, s18 :: v_dual_mov_b32 v8, 0xff800000
	v_dual_mov_b32 v9, v5 :: v_dual_mov_b32 v10, v4
	v_mov_b32_e32 v11, v0
	s_mov_b32 s21, 0
	s_waitcnt lgkmcnt(0)
	s_and_b32 s17, s3, 0xffff
	s_delay_alu instid0(SALU_CYCLE_1)
	s_lshl_b32 s20, s17, 1
	s_lshl_b32 s22, s17, 3
	.p2align	6
.LBB235_17:                             ;   Parent Loop BB235_15 Depth=1
                                        ; =>  This Inner Loop Header: Depth=2
	ds_load_b64 v[12:13], v9
	v_add_nc_u32_e32 v9, s22, v9
	v_add_nc_u32_e32 v11, s17, v11
	s_delay_alu instid0(VALU_DEP_1) | instskip(NEXT) | instid1(VALU_DEP_1)
	v_cmp_le_i32_e64 s3, s14, v11
	s_or_b32 s21, s3, s21
	s_waitcnt lgkmcnt(0)
	v_cmp_gt_f32_e32 vcc_lo, v12, v8
	v_cndmask_b32_e32 v8, v8, v12, vcc_lo
	v_add_nc_u32_e32 v12, 1, v10
	v_cndmask_b32_e32 v7, v7, v10, vcc_lo
	s_delay_alu instid0(VALU_DEP_3) | instskip(SKIP_1) | instid1(VALU_DEP_3)
	v_cmp_gt_f32_e32 vcc_lo, v13, v8
	v_cndmask_b32_e32 v8, v8, v13, vcc_lo
	v_dual_cndmask_b32 v7, v7, v12 :: v_dual_add_nc_u32 v10, s20, v10
	s_and_not1_b32 exec_lo, exec_lo, s21
	s_cbranch_execnz .LBB235_17
; %bb.18:                               ;   in Loop: Header=BB235_15 Depth=1
	s_or_b32 exec_lo, exec_lo, s21
.LBB235_19:                             ;   in Loop: Header=BB235_15 Depth=1
	s_delay_alu instid0(SALU_CYCLE_1)
	s_or_b32 exec_lo, exec_lo, s16
	;;#ASMSTART
	v_max_f32 v9, v8, v8 quad_perm:[1,0,3,2] row_mask:0xf bank_mask:0xf bound_ctrl:1
	;;#ASMEND
	;;#ASMSTART
	v_max_f32 v10, v9, v9 quad_perm:[2,3,0,1] row_mask:0xf bank_mask:0xf bound_ctrl:1
	;;#ASMEND
	;;#ASMSTART
	v_max_f32 v9, v10, v10 row_half_mirror row_mask:0xf bank_mask:0xf bound_ctrl:1
	;;#ASMEND
	;;#ASMSTART
	v_max_f32 v10, v9, v9 row_mirror row_mask:0xf bank_mask:0xf bound_ctrl:1
	;;#ASMEND
	v_permlanex16_b32 v9, v10, s19, 0xfedcba98 op_sel:[1,1]
	s_delay_alu instid0(VALU_DEP_1) | instskip(NEXT) | instid1(VALU_DEP_1)
	v_dual_max_f32 v10, v10, v10 :: v_dual_max_f32 v9, v9, v9
	v_max_f32_e32 v9, v10, v9
	s_delay_alu instid0(VALU_DEP_1)
	v_cmp_eq_f32_e32 vcc_lo, v8, v9
	s_ctz_i32_b32 s3, vcc_lo
	s_cmp_lg_u32 vcc_lo, 0
	s_cselect_b32 s3, s3, 0
	s_and_b32 vcc_lo, exec_lo, s12
	v_readlane_b32 s16, v7, s3
	s_cbranch_vccz .LBB235_14
; %bb.20:                               ;   in Loop: Header=BB235_15 Depth=1
	s_delay_alu instid0(VALU_DEP_1) | instskip(NEXT) | instid1(SALU_CYCLE_1)
	s_ashr_i32 s17, s16, 31
	s_lshl_b64 s[20:21], s[16:17], 2
	s_delay_alu instid0(SALU_CYCLE_1)
	s_add_u32 s20, s6, s20
	s_addc_u32 s21, s7, s21
	s_load_b32 s3, s[20:21], 0x0
	s_waitcnt lgkmcnt(0)
	v_subrev_f32_e32 v9, s3, v9
	s_branch .LBB235_14
.LBB235_21:
	v_mov_b32_e32 v1, 0
	v_mov_b32_e32 v3, 0
.LBB235_22:
	s_mov_b32 s2, exec_lo
	v_cmpx_gt_i32_e64 s13, v0
	s_cbranch_execz .LBB235_25
; %bb.23:
	s_clause 0x1
	s_load_b32 s2, s[0:1], 0x34
	s_load_b32 s3, s[0:1], 0x44
	v_max_f32_e32 v3, v3, v3
	s_load_b64 s[0:1], s[0:1], 0x20
	s_ashr_i32 s4, s15, 31
	s_delay_alu instid0(VALU_DEP_1) | instskip(SKIP_1) | instid1(VALU_DEP_1)
	v_max_f32_e32 v3, 0x1e3ce508, v3
	s_waitcnt lgkmcnt(0)
	v_div_scale_f32 v4, null, v3, v3, s2
	v_div_scale_f32 v7, vcc_lo, s2, v3, s2
	s_mul_i32 s1, s15, s1
	s_delay_alu instid0(VALU_DEP_2) | instskip(SKIP_4) | instid1(VALU_DEP_1)
	v_rcp_f32_e32 v5, v4
	s_mul_i32 s4, s4, s0
	s_and_b32 s3, s3, 0xffff
	s_waitcnt_depctr 0xfff
	v_fma_f32 v6, -v4, v5, 1.0
	v_fmac_f32_e32 v5, v6, v5
	s_delay_alu instid0(VALU_DEP_1) | instskip(NEXT) | instid1(VALU_DEP_1)
	v_mul_f32_e32 v6, v7, v5
	v_fma_f32 v8, -v4, v6, v7
	s_delay_alu instid0(VALU_DEP_1) | instskip(NEXT) | instid1(VALU_DEP_1)
	v_fmac_f32_e32 v6, v8, v5
	v_fma_f32 v4, -v4, v6, v7
	s_delay_alu instid0(VALU_DEP_1) | instskip(NEXT) | instid1(VALU_DEP_1)
	v_div_fmas_f32 v4, v4, v5, v6
	v_div_fixup_f32 v3, v4, v3, s2
	s_mul_hi_u32 s2, s15, s0
	s_delay_alu instid0(SALU_CYCLE_1) | instskip(SKIP_1) | instid1(VALU_DEP_1)
	s_add_i32 s1, s2, s1
	s_mul_i32 s2, s15, s0
	v_mul_f32_e32 v2, v2, v3
	s_add_i32 s1, s1, s4
	s_mov_b32 s4, 0
	.p2align	6
.LBB235_24:                             ; =>This Inner Loop Header: Depth=1
	v_ashrrev_i32_e32 v4, 31, v0
	v_add_co_u32 v3, vcc_lo, s2, v0
	v_add_nc_u32_e32 v0, s3, v0
	s_delay_alu instid0(VALU_DEP_3) | instskip(NEXT) | instid1(VALU_DEP_2)
	v_add_co_ci_u32_e32 v4, vcc_lo, s1, v4, vcc_lo
	v_cmp_le_i32_e32 vcc_lo, s13, v0
	s_delay_alu instid0(VALU_DEP_2) | instskip(SKIP_1) | instid1(VALU_DEP_1)
	v_lshlrev_b64 v[3:4], 2, v[3:4]
	s_or_b32 s4, vcc_lo, s4
	v_add_co_u32 v5, s0, s8, v3
	s_delay_alu instid0(VALU_DEP_1) | instskip(SKIP_1) | instid1(VALU_DEP_1)
	v_add_co_ci_u32_e64 v6, s0, s9, v4, s0
	v_add_co_u32 v3, s0, s10, v3
	v_add_co_ci_u32_e64 v4, s0, s11, v4, s0
	global_store_b32 v[5:6], v2, off
	global_store_b32 v[3:4], v1, off
	s_and_not1_b32 exec_lo, exec_lo, s4
	s_cbranch_execnz .LBB235_24
.LBB235_25:
	s_nop 0
	s_sendmsg sendmsg(MSG_DEALLOC_VGPRS)
	s_endpgm
	.section	.rodata,"a",@progbits
	.p2align	6, 0x0
	.amdhsa_kernel _ZN5aiter20topk_softplus_kernelI12hip_bfloat16fDv2_fLb1ELi0EEEvPKT_PKT0_PfPimiiif
		.amdhsa_group_segment_fixed_size 0
		.amdhsa_private_segment_fixed_size 0
		.amdhsa_kernarg_size 312
		.amdhsa_user_sgpr_count 15
		.amdhsa_user_sgpr_dispatch_ptr 0
		.amdhsa_user_sgpr_queue_ptr 0
		.amdhsa_user_sgpr_kernarg_segment_ptr 1
		.amdhsa_user_sgpr_dispatch_id 0
		.amdhsa_user_sgpr_private_segment_size 0
		.amdhsa_wavefront_size32 1
		.amdhsa_uses_dynamic_stack 0
		.amdhsa_enable_private_segment 0
		.amdhsa_system_sgpr_workgroup_id_x 1
		.amdhsa_system_sgpr_workgroup_id_y 0
		.amdhsa_system_sgpr_workgroup_id_z 0
		.amdhsa_system_sgpr_workgroup_info 0
		.amdhsa_system_vgpr_workitem_id 0
		.amdhsa_next_free_vgpr 14
		.amdhsa_next_free_sgpr 24
		.amdhsa_reserve_vcc 1
		.amdhsa_float_round_mode_32 0
		.amdhsa_float_round_mode_16_64 0
		.amdhsa_float_denorm_mode_32 3
		.amdhsa_float_denorm_mode_16_64 3
		.amdhsa_dx10_clamp 1
		.amdhsa_ieee_mode 1
		.amdhsa_fp16_overflow 0
		.amdhsa_workgroup_processor_mode 1
		.amdhsa_memory_ordered 1
		.amdhsa_forward_progress 0
		.amdhsa_shared_vgpr_count 0
		.amdhsa_exception_fp_ieee_invalid_op 0
		.amdhsa_exception_fp_denorm_src 0
		.amdhsa_exception_fp_ieee_div_zero 0
		.amdhsa_exception_fp_ieee_overflow 0
		.amdhsa_exception_fp_ieee_underflow 0
		.amdhsa_exception_fp_ieee_inexact 0
		.amdhsa_exception_int_div_zero 0
	.end_amdhsa_kernel
	.section	.text._ZN5aiter20topk_softplus_kernelI12hip_bfloat16fDv2_fLb1ELi0EEEvPKT_PKT0_PfPimiiif,"axG",@progbits,_ZN5aiter20topk_softplus_kernelI12hip_bfloat16fDv2_fLb1ELi0EEEvPKT_PKT0_PfPimiiif,comdat
.Lfunc_end235:
	.size	_ZN5aiter20topk_softplus_kernelI12hip_bfloat16fDv2_fLb1ELi0EEEvPKT_PKT0_PfPimiiif, .Lfunc_end235-_ZN5aiter20topk_softplus_kernelI12hip_bfloat16fDv2_fLb1ELi0EEEvPKT_PKT0_PfPimiiif
                                        ; -- End function
	.section	.AMDGPU.csdata,"",@progbits
; Kernel info:
; codeLenInByte = 2284
; NumSgprs: 26
; NumVgprs: 14
; ScratchSize: 0
; MemoryBound: 0
; FloatMode: 240
; IeeeMode: 1
; LDSByteSize: 0 bytes/workgroup (compile time only)
; SGPRBlocks: 3
; VGPRBlocks: 1
; NumSGPRsForWavesPerEU: 26
; NumVGPRsForWavesPerEU: 14
; Occupancy: 16
; WaveLimiterHint : 0
; COMPUTE_PGM_RSRC2:SCRATCH_EN: 0
; COMPUTE_PGM_RSRC2:USER_SGPR: 15
; COMPUTE_PGM_RSRC2:TRAP_HANDLER: 0
; COMPUTE_PGM_RSRC2:TGID_X_EN: 1
; COMPUTE_PGM_RSRC2:TGID_Y_EN: 0
; COMPUTE_PGM_RSRC2:TGID_Z_EN: 0
; COMPUTE_PGM_RSRC2:TIDIG_COMP_CNT: 0
	.section	.text._ZN5aiter20topk_softplus_kernelI12hip_bfloat16fDv2_fLb0ELi0EEEvPKT_PKT0_PfPimiiif,"axG",@progbits,_ZN5aiter20topk_softplus_kernelI12hip_bfloat16fDv2_fLb0ELi0EEEvPKT_PKT0_PfPimiiif,comdat
	.protected	_ZN5aiter20topk_softplus_kernelI12hip_bfloat16fDv2_fLb0ELi0EEEvPKT_PKT0_PfPimiiif ; -- Begin function _ZN5aiter20topk_softplus_kernelI12hip_bfloat16fDv2_fLb0ELi0EEEvPKT_PKT0_PfPimiiif
	.globl	_ZN5aiter20topk_softplus_kernelI12hip_bfloat16fDv2_fLb0ELi0EEEvPKT_PKT0_PfPimiiif
	.p2align	8
	.type	_ZN5aiter20topk_softplus_kernelI12hip_bfloat16fDv2_fLb0ELi0EEEvPKT_PKT0_PfPimiiif,@function
_ZN5aiter20topk_softplus_kernelI12hip_bfloat16fDv2_fLb0ELi0EEEvPKT_PKT0_PfPimiiif: ; @_ZN5aiter20topk_softplus_kernelI12hip_bfloat16fDv2_fLb0ELi0EEEvPKT_PKT0_PfPimiiif
; %bb.0:
	s_clause 0x1
	s_load_b64 s[12:13], s[0:1], 0x28
	s_load_b256 s[4:11], s[0:1], 0x0
	s_waitcnt lgkmcnt(0)
	s_lshr_b32 s2, s12, 31
	s_mul_i32 s16, s15, s12
	s_add_i32 s2, s12, s2
	s_ashr_i32 s17, s16, 31
	s_ashr_i32 s14, s2, 1
	s_delay_alu instid0(SALU_CYCLE_1) | instskip(NEXT) | instid1(VALU_DEP_1)
	v_cmp_gt_i32_e64 s2, s14, v0
	s_and_saveexec_b32 s18, s2
	s_cbranch_execz .LBB236_7
; %bb.1:
	s_load_b32 s3, s[0:1], 0x44
	v_lshlrev_b32_e32 v1, 3, v0
	s_cmp_lg_u64 s[6:7], 0
	v_dual_mov_b32 v8, v0 :: v_dual_lshlrev_b32 v3, 2, v0
	s_cselect_b32 s19, -1, 0
	s_delay_alu instid0(VALU_DEP_2) | instskip(SKIP_3) | instid1(VALU_DEP_3)
	v_add_co_u32 v2, s20, v1, s6
	s_lshl_b64 s[22:23], s[16:17], 1
	v_add_co_ci_u32_e64 v4, null, 0, s7, s20
	v_add_nc_u32_e32 v7, 0, v1
	v_add_co_u32 v1, vcc_lo, v2, 4
	s_delay_alu instid0(VALU_DEP_3)
	v_add_co_ci_u32_e32 v2, vcc_lo, 0, v4, vcc_lo
	s_waitcnt lgkmcnt(0)
	s_and_b32 s20, s3, 0xffff
	s_add_u32 s3, s4, s22
	s_addc_u32 s21, s5, s23
	v_add_co_u32 v3, s3, s3, v3
	s_delay_alu instid0(VALU_DEP_1)
	v_add_co_ci_u32_e64 v4, null, s21, 0, s3
	s_mov_b32 s21, 0
	s_lshl_b32 s22, s20, 2
	s_lshl_b32 s23, s20, 3
	s_branch .LBB236_3
.LBB236_2:                              ;   in Loop: Header=BB236_3 Depth=1
	v_add_nc_u32_e32 v8, s20, v8
	v_add_co_u32 v3, vcc_lo, v3, s22
	v_add_co_ci_u32_e32 v4, vcc_lo, 0, v4, vcc_lo
	s_delay_alu instid0(VALU_DEP_3)
	v_cmp_le_i32_e32 vcc_lo, s14, v8
	v_add_co_u32 v1, s3, v1, s23
	ds_store_b64 v7, v[5:6]
	v_add_co_ci_u32_e64 v2, s3, 0, v2, s3
	v_add_nc_u32_e32 v7, s23, v7
	s_or_b32 s21, vcc_lo, s21
	s_delay_alu instid0(SALU_CYCLE_1)
	s_and_not1_b32 exec_lo, exec_lo, s21
	s_cbranch_execz .LBB236_7
.LBB236_3:                              ; =>This Inner Loop Header: Depth=1
	global_load_b32 v6, v[3:4], off
	s_waitcnt vmcnt(0)
	v_and_b32_e32 v5, 0xffff, v6
	s_delay_alu instid0(VALU_DEP_1) | instskip(NEXT) | instid1(VALU_DEP_1)
	v_cvt_f32_u32_e32 v5, v5
	v_mul_f32_e32 v9, 0x3fb8aa3b, v5
	s_delay_alu instid0(VALU_DEP_1) | instskip(SKIP_2) | instid1(VALU_DEP_2)
	v_cmp_gt_f32_e32 vcc_lo, 0xc2fc0000, v9
	v_cndmask_b32_e64 v9, 0, 0x42800000, vcc_lo
	v_cndmask_b32_e64 v10, 1.0, 0x1f800000, vcc_lo
	v_fmac_f32_e32 v9, 0x3fb8aa3b, v5
	s_delay_alu instid0(VALU_DEP_1) | instskip(SKIP_2) | instid1(VALU_DEP_1)
	v_exp_f32_e32 v9, v9
	s_waitcnt_depctr 0xfff
	v_fma_f32 v9, v9, v10, 1.0
	v_cmp_gt_f32_e32 vcc_lo, 0x800000, v9
	v_cndmask_b32_e64 v10, 1.0, 0x4f800000, vcc_lo
	s_delay_alu instid0(VALU_DEP_1) | instskip(SKIP_2) | instid1(VALU_DEP_3)
	v_mul_f32_e32 v9, v9, v10
	v_cndmask_b32_e64 v10, 0, 0x42000000, vcc_lo
	v_cmp_lt_u16_e32 vcc_lo, 20, v6
	v_log_f32_e32 v9, v9
	s_waitcnt_depctr 0xfff
	v_sub_f32_e32 v9, v9, v10
	s_delay_alu instid0(VALU_DEP_1) | instskip(NEXT) | instid1(VALU_DEP_1)
	v_mul_f32_e32 v9, 0x3f317218, v9
	v_cndmask_b32_e32 v5, v9, v5, vcc_lo
	s_delay_alu instid0(VALU_DEP_1) | instskip(SKIP_1) | instid1(VALU_DEP_2)
	v_mul_f32_e32 v9, 0x4f800000, v5
	v_cmp_gt_f32_e32 vcc_lo, 0xf800000, v5
	v_cndmask_b32_e32 v5, v5, v9, vcc_lo
	s_delay_alu instid0(VALU_DEP_1) | instskip(SKIP_3) | instid1(VALU_DEP_2)
	v_sqrt_f32_e32 v9, v5
	s_waitcnt_depctr 0xfff
	v_add_nc_u32_e32 v10, -1, v9
	v_add_nc_u32_e32 v11, 1, v9
	v_fma_f32 v12, -v10, v9, v5
	s_delay_alu instid0(VALU_DEP_2) | instskip(NEXT) | instid1(VALU_DEP_2)
	v_fma_f32 v13, -v11, v9, v5
	v_cmp_ge_f32_e64 s3, 0, v12
	s_delay_alu instid0(VALU_DEP_1) | instskip(NEXT) | instid1(VALU_DEP_3)
	v_cndmask_b32_e64 v9, v9, v10, s3
	v_cmp_lt_f32_e64 s3, 0, v13
	s_delay_alu instid0(VALU_DEP_1) | instskip(NEXT) | instid1(VALU_DEP_1)
	v_cndmask_b32_e64 v9, v9, v11, s3
	v_mul_f32_e32 v10, 0x37800000, v9
	s_delay_alu instid0(VALU_DEP_1) | instskip(SKIP_1) | instid1(VALU_DEP_2)
	v_cndmask_b32_e32 v9, v9, v10, vcc_lo
	v_cmp_class_f32_e64 vcc_lo, v5, 0x260
	v_cndmask_b32_e32 v5, v9, v5, vcc_lo
	s_and_not1_b32 vcc_lo, exec_lo, s19
	s_cbranch_vccnz .LBB236_5
; %bb.4:                                ;   in Loop: Header=BB236_3 Depth=1
	global_load_b32 v9, v[1:2], off offset:-4
	s_waitcnt vmcnt(0)
	v_add_f32_e32 v5, v5, v9
.LBB236_5:                              ;   in Loop: Header=BB236_3 Depth=1
	v_lshrrev_b32_e32 v6, 16, v6
	s_delay_alu instid0(VALU_DEP_1) | instskip(NEXT) | instid1(VALU_DEP_1)
	v_cvt_f32_u32_e32 v9, v6
	v_mul_f32_e32 v10, 0x3fb8aa3b, v9
	s_delay_alu instid0(VALU_DEP_1) | instskip(SKIP_2) | instid1(VALU_DEP_2)
	v_cmp_gt_f32_e32 vcc_lo, 0xc2fc0000, v10
	v_cndmask_b32_e64 v10, 0, 0x42800000, vcc_lo
	v_cndmask_b32_e64 v11, 1.0, 0x1f800000, vcc_lo
	v_fmac_f32_e32 v10, 0x3fb8aa3b, v9
	s_delay_alu instid0(VALU_DEP_1) | instskip(SKIP_2) | instid1(VALU_DEP_1)
	v_exp_f32_e32 v10, v10
	s_waitcnt_depctr 0xfff
	v_fma_f32 v10, v10, v11, 1.0
	v_cmp_gt_f32_e32 vcc_lo, 0x800000, v10
	v_cndmask_b32_e64 v11, 1.0, 0x4f800000, vcc_lo
	s_delay_alu instid0(VALU_DEP_1) | instskip(SKIP_2) | instid1(VALU_DEP_3)
	v_mul_f32_e32 v10, v10, v11
	v_cndmask_b32_e64 v11, 0, 0x42000000, vcc_lo
	v_cmp_lt_u16_e32 vcc_lo, 20, v6
	v_log_f32_e32 v10, v10
	s_waitcnt_depctr 0xfff
	v_sub_f32_e32 v10, v10, v11
	s_delay_alu instid0(VALU_DEP_1) | instskip(NEXT) | instid1(VALU_DEP_1)
	v_mul_f32_e32 v10, 0x3f317218, v10
	v_cndmask_b32_e32 v6, v10, v9, vcc_lo
	s_delay_alu instid0(VALU_DEP_1) | instskip(SKIP_1) | instid1(VALU_DEP_2)
	v_mul_f32_e32 v9, 0x4f800000, v6
	v_cmp_gt_f32_e32 vcc_lo, 0xf800000, v6
	v_cndmask_b32_e32 v6, v6, v9, vcc_lo
	s_delay_alu instid0(VALU_DEP_1) | instskip(SKIP_3) | instid1(VALU_DEP_2)
	v_sqrt_f32_e32 v9, v6
	s_waitcnt_depctr 0xfff
	v_add_nc_u32_e32 v10, -1, v9
	v_add_nc_u32_e32 v11, 1, v9
	v_fma_f32 v12, -v10, v9, v6
	s_delay_alu instid0(VALU_DEP_2) | instskip(NEXT) | instid1(VALU_DEP_2)
	v_fma_f32 v13, -v11, v9, v6
	v_cmp_ge_f32_e64 s3, 0, v12
	s_delay_alu instid0(VALU_DEP_1) | instskip(NEXT) | instid1(VALU_DEP_3)
	v_cndmask_b32_e64 v9, v9, v10, s3
	v_cmp_lt_f32_e64 s3, 0, v13
	s_delay_alu instid0(VALU_DEP_1) | instskip(NEXT) | instid1(VALU_DEP_1)
	v_cndmask_b32_e64 v9, v9, v11, s3
	v_mul_f32_e32 v10, 0x37800000, v9
	s_delay_alu instid0(VALU_DEP_1) | instskip(SKIP_1) | instid1(VALU_DEP_2)
	v_cndmask_b32_e32 v9, v9, v10, vcc_lo
	v_cmp_class_f32_e64 vcc_lo, v6, 0x260
	v_cndmask_b32_e32 v6, v9, v6, vcc_lo
	s_and_not1_b32 vcc_lo, exec_lo, s19
	s_cbranch_vccnz .LBB236_2
; %bb.6:                                ;   in Loop: Header=BB236_3 Depth=1
	global_load_b32 v9, v[1:2], off
	s_waitcnt vmcnt(0)
	v_add_f32_e32 v6, v6, v9
	s_branch .LBB236_2
.LBB236_7:
	s_or_b32 exec_lo, exec_lo, s18
	v_lshl_add_u32 v1, s14, 1, v0
	s_mov_b32 s18, exec_lo
	s_delay_alu instid0(VALU_DEP_1)
	v_cmpx_gt_i32_e64 s12, v1
	s_cbranch_execz .LBB236_12
; %bb.8:
	s_load_b32 s3, s[0:1], 0x44
	s_lshl_b64 s[16:17], s[16:17], 1
	v_lshlrev_b32_e32 v2, 2, v0
	s_add_u32 s4, s4, s16
	s_addc_u32 s5, s5, s17
	s_cmp_lg_u64 s[6:7], 0
	s_mov_b32 s19, 0
	s_cselect_b32 s16, -1, 0
	s_lshl_b32 s17, s14, 3
	s_delay_alu instid0(SALU_CYCLE_1) | instskip(SKIP_2) | instid1(SALU_CYCLE_1)
	v_add3_u32 v3, 0, s17, v2
	s_waitcnt lgkmcnt(0)
	s_and_b32 s17, s3, 0xffff
	s_lshl_b32 s20, s17, 2
	s_branch .LBB236_10
.LBB236_9:                              ;   in Loop: Header=BB236_10 Depth=1
	v_add_nc_u32_e32 v1, s17, v1
	v_add_nc_u32_e32 v3, s20, v3
	s_delay_alu instid0(VALU_DEP_2) | instskip(SKIP_1) | instid1(SALU_CYCLE_1)
	v_cmp_le_i32_e32 vcc_lo, s12, v1
	s_or_b32 s19, vcc_lo, s19
	s_and_not1_b32 exec_lo, exec_lo, s19
	s_cbranch_execz .LBB236_12
.LBB236_10:                             ; =>This Inner Loop Header: Depth=1
	v_ashrrev_i32_e32 v2, 31, v1
	s_delay_alu instid0(VALU_DEP_1) | instskip(NEXT) | instid1(VALU_DEP_1)
	v_lshlrev_b64 v[4:5], 1, v[1:2]
	v_add_co_u32 v4, vcc_lo, s4, v4
	s_delay_alu instid0(VALU_DEP_2) | instskip(SKIP_3) | instid1(VALU_DEP_1)
	v_add_co_ci_u32_e32 v5, vcc_lo, s5, v5, vcc_lo
	global_load_u16 v4, v[4:5], off
	s_waitcnt vmcnt(0)
	v_lshlrev_b32_e32 v4, 16, v4
	v_mul_f32_e32 v5, 0x3fb8aa3b, v4
	s_delay_alu instid0(VALU_DEP_1) | instskip(SKIP_2) | instid1(VALU_DEP_2)
	v_cmp_gt_f32_e32 vcc_lo, 0xc2fc0000, v5
	v_cndmask_b32_e64 v5, 0, 0x42800000, vcc_lo
	v_cndmask_b32_e64 v6, 1.0, 0x1f800000, vcc_lo
	v_fmac_f32_e32 v5, 0x3fb8aa3b, v4
	s_delay_alu instid0(VALU_DEP_1) | instskip(SKIP_2) | instid1(VALU_DEP_1)
	v_exp_f32_e32 v5, v5
	s_waitcnt_depctr 0xfff
	v_fma_f32 v5, v5, v6, 1.0
	v_cmp_gt_f32_e32 vcc_lo, 0x800000, v5
	v_cndmask_b32_e64 v6, 1.0, 0x4f800000, vcc_lo
	s_delay_alu instid0(VALU_DEP_1) | instskip(SKIP_2) | instid1(VALU_DEP_3)
	v_mul_f32_e32 v5, v5, v6
	v_cndmask_b32_e64 v6, 0, 0x42000000, vcc_lo
	v_cmp_lt_f32_e32 vcc_lo, 0x41a00000, v4
	v_log_f32_e32 v5, v5
	s_waitcnt_depctr 0xfff
	v_sub_f32_e32 v5, v5, v6
	s_delay_alu instid0(VALU_DEP_1) | instskip(NEXT) | instid1(VALU_DEP_1)
	v_mul_f32_e32 v5, 0x3f317218, v5
	v_cndmask_b32_e32 v4, v5, v4, vcc_lo
	s_delay_alu instid0(VALU_DEP_1) | instskip(SKIP_1) | instid1(VALU_DEP_2)
	v_mul_f32_e32 v5, 0x4f800000, v4
	v_cmp_gt_f32_e32 vcc_lo, 0xf800000, v4
	v_cndmask_b32_e32 v4, v4, v5, vcc_lo
	s_delay_alu instid0(VALU_DEP_1) | instskip(SKIP_3) | instid1(VALU_DEP_2)
	v_sqrt_f32_e32 v5, v4
	s_waitcnt_depctr 0xfff
	v_add_nc_u32_e32 v6, -1, v5
	v_add_nc_u32_e32 v7, 1, v5
	v_fma_f32 v8, -v6, v5, v4
	s_delay_alu instid0(VALU_DEP_2) | instskip(NEXT) | instid1(VALU_DEP_2)
	v_fma_f32 v9, -v7, v5, v4
	v_cmp_ge_f32_e64 s3, 0, v8
	s_delay_alu instid0(VALU_DEP_1) | instskip(NEXT) | instid1(VALU_DEP_3)
	v_cndmask_b32_e64 v5, v5, v6, s3
	v_cmp_lt_f32_e64 s3, 0, v9
	s_delay_alu instid0(VALU_DEP_1) | instskip(NEXT) | instid1(VALU_DEP_1)
	v_cndmask_b32_e64 v5, v5, v7, s3
	v_mul_f32_e32 v6, 0x37800000, v5
	s_delay_alu instid0(VALU_DEP_1) | instskip(SKIP_1) | instid1(VALU_DEP_2)
	v_cndmask_b32_e32 v5, v5, v6, vcc_lo
	v_cmp_class_f32_e64 vcc_lo, v4, 0x260
	v_cndmask_b32_e32 v4, v5, v4, vcc_lo
	s_and_not1_b32 vcc_lo, exec_lo, s16
	ds_store_b32 v3, v4
	s_cbranch_vccnz .LBB236_9
; %bb.11:                               ;   in Loop: Header=BB236_10 Depth=1
	v_lshlrev_b64 v[5:6], 2, v[1:2]
	s_delay_alu instid0(VALU_DEP_1) | instskip(NEXT) | instid1(VALU_DEP_2)
	v_add_co_u32 v5, vcc_lo, s6, v5
	v_add_co_ci_u32_e32 v6, vcc_lo, s7, v6, vcc_lo
	global_load_b32 v2, v[5:6], off
	s_waitcnt vmcnt(0)
	v_add_f32_e32 v2, v4, v2
	ds_store_b32 v3, v2
	s_branch .LBB236_9
.LBB236_12:
	s_or_b32 exec_lo, exec_lo, s18
	s_cmp_lt_i32 s13, 1
	s_waitcnt lgkmcnt(0)
	s_barrier
	buffer_gl0_inv
	s_cbranch_scc1 .LBB236_21
; %bb.13:
	s_add_u32 s4, s0, 56
	s_addc_u32 s5, s1, 0
	v_dual_mov_b32 v2, 0 :: v_dual_lshlrev_b32 v3, 1, v0
	v_lshl_add_u32 v4, v0, 3, 0
	v_mov_b32_e32 v1, 0
	v_mov_b32_e32 v5, 0xff800000
	s_cmp_lg_u64 s[6:7], 0
	s_mov_b32 s18, 0
	s_cselect_b32 s12, -1, 0
	s_mov_b32 s19, 0x76543210
	s_branch .LBB236_15
.LBB236_14:                             ;   in Loop: Header=BB236_15 Depth=1
	v_cmp_eq_u32_e32 vcc_lo, s18, v0
	s_delay_alu instid0(VALU_DEP_2)
	s_lshl_b32 s3, s16, 2
	s_add_i32 s18, s18, 1
	s_add_i32 s3, s3, 0
	s_cmp_eq_u32 s18, s13
	v_cndmask_b32_e64 v1, v1, s16, vcc_lo
	v_mov_b32_e32 v6, s3
	v_cndmask_b32_e32 v2, v2, v8, vcc_lo
	ds_store_b32 v6, v5
	s_cbranch_scc1 .LBB236_22
.LBB236_15:                             ; =>This Loop Header: Depth=1
                                        ;     Child Loop BB236_17 Depth 2
	v_dual_mov_b32 v6, s18 :: v_dual_mov_b32 v7, 0xff800000
	s_and_saveexec_b32 s16, s2
	s_cbranch_execz .LBB236_19
; %bb.16:                               ;   in Loop: Header=BB236_15 Depth=1
	s_load_b32 s3, s[4:5], 0xc
	v_dual_mov_b32 v6, s18 :: v_dual_mov_b32 v7, 0xff800000
	v_dual_mov_b32 v8, v4 :: v_dual_mov_b32 v9, v3
	v_mov_b32_e32 v10, v0
	s_mov_b32 s21, 0
	s_waitcnt lgkmcnt(0)
	s_and_b32 s17, s3, 0xffff
	s_delay_alu instid0(SALU_CYCLE_1)
	s_lshl_b32 s20, s17, 1
	s_lshl_b32 s22, s17, 3
	.p2align	6
.LBB236_17:                             ;   Parent Loop BB236_15 Depth=1
                                        ; =>  This Inner Loop Header: Depth=2
	ds_load_b64 v[11:12], v8
	v_add_nc_u32_e32 v8, s22, v8
	v_add_nc_u32_e32 v10, s17, v10
	s_delay_alu instid0(VALU_DEP_1) | instskip(NEXT) | instid1(VALU_DEP_1)
	v_cmp_le_i32_e64 s3, s14, v10
	s_or_b32 s21, s3, s21
	s_waitcnt lgkmcnt(0)
	v_cmp_gt_f32_e32 vcc_lo, v11, v7
	v_cndmask_b32_e32 v7, v7, v11, vcc_lo
	v_add_nc_u32_e32 v11, 1, v9
	v_cndmask_b32_e32 v6, v6, v9, vcc_lo
	s_delay_alu instid0(VALU_DEP_3) | instskip(SKIP_1) | instid1(VALU_DEP_3)
	v_cmp_gt_f32_e32 vcc_lo, v12, v7
	v_cndmask_b32_e32 v7, v7, v12, vcc_lo
	v_dual_cndmask_b32 v6, v6, v11 :: v_dual_add_nc_u32 v9, s20, v9
	s_and_not1_b32 exec_lo, exec_lo, s21
	s_cbranch_execnz .LBB236_17
; %bb.18:                               ;   in Loop: Header=BB236_15 Depth=1
	s_or_b32 exec_lo, exec_lo, s21
.LBB236_19:                             ;   in Loop: Header=BB236_15 Depth=1
	s_delay_alu instid0(SALU_CYCLE_1)
	s_or_b32 exec_lo, exec_lo, s16
	;;#ASMSTART
	v_max_f32 v8, v7, v7 quad_perm:[1,0,3,2] row_mask:0xf bank_mask:0xf bound_ctrl:1
	;;#ASMEND
	;;#ASMSTART
	v_max_f32 v9, v8, v8 quad_perm:[2,3,0,1] row_mask:0xf bank_mask:0xf bound_ctrl:1
	;;#ASMEND
	;;#ASMSTART
	v_max_f32 v8, v9, v9 row_half_mirror row_mask:0xf bank_mask:0xf bound_ctrl:1
	;;#ASMEND
	;;#ASMSTART
	v_max_f32 v9, v8, v8 row_mirror row_mask:0xf bank_mask:0xf bound_ctrl:1
	;;#ASMEND
	v_permlanex16_b32 v8, v9, s19, 0xfedcba98 op_sel:[1,1]
	s_delay_alu instid0(VALU_DEP_1) | instskip(NEXT) | instid1(VALU_DEP_1)
	v_dual_max_f32 v9, v9, v9 :: v_dual_max_f32 v8, v8, v8
	v_max_f32_e32 v8, v9, v8
	s_delay_alu instid0(VALU_DEP_1)
	v_cmp_eq_f32_e32 vcc_lo, v7, v8
	s_ctz_i32_b32 s3, vcc_lo
	s_cmp_lg_u32 vcc_lo, 0
	s_cselect_b32 s3, s3, 0
	s_and_b32 vcc_lo, exec_lo, s12
	v_readlane_b32 s16, v6, s3
	s_cbranch_vccz .LBB236_14
; %bb.20:                               ;   in Loop: Header=BB236_15 Depth=1
	s_delay_alu instid0(VALU_DEP_1) | instskip(NEXT) | instid1(SALU_CYCLE_1)
	s_ashr_i32 s17, s16, 31
	s_lshl_b64 s[20:21], s[16:17], 2
	s_delay_alu instid0(SALU_CYCLE_1)
	s_add_u32 s20, s6, s20
	s_addc_u32 s21, s7, s21
	s_load_b32 s3, s[20:21], 0x0
	s_waitcnt lgkmcnt(0)
	v_subrev_f32_e32 v8, s3, v8
	s_branch .LBB236_14
.LBB236_21:
	v_dual_mov_b32 v2, 0 :: v_dual_mov_b32 v1, 0
.LBB236_22:
	s_mov_b32 s2, exec_lo
	v_cmpx_gt_i32_e64 s13, v0
	s_cbranch_execz .LBB236_25
; %bb.23:
	s_clause 0x2
	s_load_b32 s4, s[0:1], 0x34
	s_load_b64 s[2:3], s[0:1], 0x20
	s_load_b32 s0, s[0:1], 0x44
	s_ashr_i32 s1, s15, 31
	s_waitcnt lgkmcnt(0)
	v_mul_f32_e32 v2, s4, v2
	s_mul_i32 s3, s15, s3
	s_mul_hi_u32 s4, s15, s2
	s_mul_i32 s5, s1, s2
	s_add_i32 s3, s4, s3
	s_mul_i32 s1, s15, s2
	s_and_b32 s2, s0, 0xffff
	s_add_i32 s3, s3, s5
	s_mov_b32 s4, 0
	.p2align	6
.LBB236_24:                             ; =>This Inner Loop Header: Depth=1
	v_ashrrev_i32_e32 v4, 31, v0
	v_add_co_u32 v3, vcc_lo, s1, v0
	v_add_nc_u32_e32 v0, s2, v0
	s_delay_alu instid0(VALU_DEP_3) | instskip(NEXT) | instid1(VALU_DEP_2)
	v_add_co_ci_u32_e32 v4, vcc_lo, s3, v4, vcc_lo
	v_cmp_le_i32_e32 vcc_lo, s13, v0
	s_delay_alu instid0(VALU_DEP_2) | instskip(SKIP_1) | instid1(VALU_DEP_1)
	v_lshlrev_b64 v[3:4], 2, v[3:4]
	s_or_b32 s4, vcc_lo, s4
	v_add_co_u32 v5, s0, s8, v3
	s_delay_alu instid0(VALU_DEP_1) | instskip(SKIP_1) | instid1(VALU_DEP_1)
	v_add_co_ci_u32_e64 v6, s0, s9, v4, s0
	v_add_co_u32 v3, s0, s10, v3
	v_add_co_ci_u32_e64 v4, s0, s11, v4, s0
	global_store_b32 v[5:6], v2, off
	global_store_b32 v[3:4], v1, off
	s_and_not1_b32 exec_lo, exec_lo, s4
	s_cbranch_execnz .LBB236_24
.LBB236_25:
	s_nop 0
	s_sendmsg sendmsg(MSG_DEALLOC_VGPRS)
	s_endpgm
	.section	.rodata,"a",@progbits
	.p2align	6, 0x0
	.amdhsa_kernel _ZN5aiter20topk_softplus_kernelI12hip_bfloat16fDv2_fLb0ELi0EEEvPKT_PKT0_PfPimiiif
		.amdhsa_group_segment_fixed_size 0
		.amdhsa_private_segment_fixed_size 0
		.amdhsa_kernarg_size 312
		.amdhsa_user_sgpr_count 15
		.amdhsa_user_sgpr_dispatch_ptr 0
		.amdhsa_user_sgpr_queue_ptr 0
		.amdhsa_user_sgpr_kernarg_segment_ptr 1
		.amdhsa_user_sgpr_dispatch_id 0
		.amdhsa_user_sgpr_private_segment_size 0
		.amdhsa_wavefront_size32 1
		.amdhsa_uses_dynamic_stack 0
		.amdhsa_enable_private_segment 0
		.amdhsa_system_sgpr_workgroup_id_x 1
		.amdhsa_system_sgpr_workgroup_id_y 0
		.amdhsa_system_sgpr_workgroup_id_z 0
		.amdhsa_system_sgpr_workgroup_info 0
		.amdhsa_system_vgpr_workitem_id 0
		.amdhsa_next_free_vgpr 14
		.amdhsa_next_free_sgpr 24
		.amdhsa_reserve_vcc 1
		.amdhsa_float_round_mode_32 0
		.amdhsa_float_round_mode_16_64 0
		.amdhsa_float_denorm_mode_32 3
		.amdhsa_float_denorm_mode_16_64 3
		.amdhsa_dx10_clamp 1
		.amdhsa_ieee_mode 1
		.amdhsa_fp16_overflow 0
		.amdhsa_workgroup_processor_mode 1
		.amdhsa_memory_ordered 1
		.amdhsa_forward_progress 0
		.amdhsa_shared_vgpr_count 0
		.amdhsa_exception_fp_ieee_invalid_op 0
		.amdhsa_exception_fp_denorm_src 0
		.amdhsa_exception_fp_ieee_div_zero 0
		.amdhsa_exception_fp_ieee_overflow 0
		.amdhsa_exception_fp_ieee_underflow 0
		.amdhsa_exception_fp_ieee_inexact 0
		.amdhsa_exception_int_div_zero 0
	.end_amdhsa_kernel
	.section	.text._ZN5aiter20topk_softplus_kernelI12hip_bfloat16fDv2_fLb0ELi0EEEvPKT_PKT0_PfPimiiif,"axG",@progbits,_ZN5aiter20topk_softplus_kernelI12hip_bfloat16fDv2_fLb0ELi0EEEvPKT_PKT0_PfPimiiif,comdat
.Lfunc_end236:
	.size	_ZN5aiter20topk_softplus_kernelI12hip_bfloat16fDv2_fLb0ELi0EEEvPKT_PKT0_PfPimiiif, .Lfunc_end236-_ZN5aiter20topk_softplus_kernelI12hip_bfloat16fDv2_fLb0ELi0EEEvPKT_PKT0_PfPimiiif
                                        ; -- End function
	.section	.AMDGPU.csdata,"",@progbits
; Kernel info:
; codeLenInByte = 2160
; NumSgprs: 26
; NumVgprs: 14
; ScratchSize: 0
; MemoryBound: 0
; FloatMode: 240
; IeeeMode: 1
; LDSByteSize: 0 bytes/workgroup (compile time only)
; SGPRBlocks: 3
; VGPRBlocks: 1
; NumSGPRsForWavesPerEU: 26
; NumVGPRsForWavesPerEU: 14
; Occupancy: 16
; WaveLimiterHint : 0
; COMPUTE_PGM_RSRC2:SCRATCH_EN: 0
; COMPUTE_PGM_RSRC2:USER_SGPR: 15
; COMPUTE_PGM_RSRC2:TRAP_HANDLER: 0
; COMPUTE_PGM_RSRC2:TGID_X_EN: 1
; COMPUTE_PGM_RSRC2:TGID_Y_EN: 0
; COMPUTE_PGM_RSRC2:TGID_Z_EN: 0
; COMPUTE_PGM_RSRC2:TIDIG_COMP_CNT: 0
	.section	.text._ZN5aiter20topk_softplus_kernelI12hip_bfloat16fDv1_fLb1ELi0EEEvPKT_PKT0_PfPimiiif,"axG",@progbits,_ZN5aiter20topk_softplus_kernelI12hip_bfloat16fDv1_fLb1ELi0EEEvPKT_PKT0_PfPimiiif,comdat
	.protected	_ZN5aiter20topk_softplus_kernelI12hip_bfloat16fDv1_fLb1ELi0EEEvPKT_PKT0_PfPimiiif ; -- Begin function _ZN5aiter20topk_softplus_kernelI12hip_bfloat16fDv1_fLb1ELi0EEEvPKT_PKT0_PfPimiiif
	.globl	_ZN5aiter20topk_softplus_kernelI12hip_bfloat16fDv1_fLb1ELi0EEEvPKT_PKT0_PfPimiiif
	.p2align	8
	.type	_ZN5aiter20topk_softplus_kernelI12hip_bfloat16fDv1_fLb1ELi0EEEvPKT_PKT0_PfPimiiif,@function
_ZN5aiter20topk_softplus_kernelI12hip_bfloat16fDv1_fLb1ELi0EEEvPKT_PKT0_PfPimiiif: ; @_ZN5aiter20topk_softplus_kernelI12hip_bfloat16fDv1_fLb1ELi0EEEvPKT_PKT0_PfPimiiif
; %bb.0:
	s_clause 0x1
	s_load_b64 s[12:13], s[0:1], 0x28
	s_load_b256 s[4:11], s[0:1], 0x0
	v_lshl_add_u32 v3, v0, 2, 0
	s_waitcnt lgkmcnt(0)
	s_mul_i32 s16, s15, s12
	v_cmp_gt_i32_e64 s2, s12, v0
	s_ashr_i32 s17, s16, 31
	s_delay_alu instid0(SALU_CYCLE_1) | instskip(NEXT) | instid1(SALU_CYCLE_1)
	s_lshl_b64 s[16:17], s[16:17], 1
	s_add_u32 s4, s4, s16
	s_addc_u32 s5, s5, s17
	s_and_saveexec_b32 s14, s2
	s_cbranch_execz .LBB237_5
; %bb.1:
	s_load_b32 s3, s[0:1], 0x44
	s_cmp_lg_u64 s[6:7], 0
	v_lshl_add_u32 v4, v0, 2, 0
	v_mov_b32_e32 v1, v0
	s_cselect_b32 s16, -1, 0
	s_mov_b32 s18, 0
	s_waitcnt lgkmcnt(0)
	s_and_b32 s17, s3, 0xffff
	s_delay_alu instid0(SALU_CYCLE_1)
	s_lshl_b32 s19, s17, 2
	s_branch .LBB237_3
.LBB237_2:                              ;   in Loop: Header=BB237_3 Depth=1
	v_add_nc_u32_e32 v1, s17, v1
	ds_store_b32 v4, v5
	v_add_nc_u32_e32 v4, s19, v4
	v_cmp_le_i32_e32 vcc_lo, s12, v1
	s_or_b32 s18, vcc_lo, s18
	s_delay_alu instid0(SALU_CYCLE_1)
	s_and_not1_b32 exec_lo, exec_lo, s18
	s_cbranch_execz .LBB237_5
.LBB237_3:                              ; =>This Inner Loop Header: Depth=1
	v_ashrrev_i32_e32 v2, 31, v1
	s_delay_alu instid0(VALU_DEP_1) | instskip(NEXT) | instid1(VALU_DEP_1)
	v_lshlrev_b64 v[5:6], 1, v[1:2]
	v_add_co_u32 v5, vcc_lo, s4, v5
	s_delay_alu instid0(VALU_DEP_2) | instskip(SKIP_3) | instid1(VALU_DEP_1)
	v_add_co_ci_u32_e32 v6, vcc_lo, s5, v6, vcc_lo
	global_load_u16 v5, v[5:6], off
	s_waitcnt vmcnt(0)
	v_cvt_f32_u32_e32 v6, v5
	v_mul_f32_e32 v7, 0x3fb8aa3b, v6
	s_delay_alu instid0(VALU_DEP_1) | instskip(SKIP_2) | instid1(VALU_DEP_2)
	v_cmp_gt_f32_e32 vcc_lo, 0xc2fc0000, v7
	v_cndmask_b32_e64 v7, 0, 0x42800000, vcc_lo
	v_cndmask_b32_e64 v8, 1.0, 0x1f800000, vcc_lo
	v_fmac_f32_e32 v7, 0x3fb8aa3b, v6
	s_delay_alu instid0(VALU_DEP_1) | instskip(SKIP_2) | instid1(VALU_DEP_1)
	v_exp_f32_e32 v7, v7
	s_waitcnt_depctr 0xfff
	v_fma_f32 v7, v7, v8, 1.0
	v_cmp_gt_f32_e32 vcc_lo, 0x800000, v7
	v_cndmask_b32_e64 v8, 1.0, 0x4f800000, vcc_lo
	s_delay_alu instid0(VALU_DEP_1) | instskip(SKIP_2) | instid1(VALU_DEP_3)
	v_mul_f32_e32 v7, v7, v8
	v_cndmask_b32_e64 v8, 0, 0x42000000, vcc_lo
	v_cmp_lt_u32_e32 vcc_lo, 20, v5
	v_log_f32_e32 v7, v7
	s_waitcnt_depctr 0xfff
	v_sub_f32_e32 v7, v7, v8
	s_delay_alu instid0(VALU_DEP_1) | instskip(NEXT) | instid1(VALU_DEP_1)
	v_mul_f32_e32 v7, 0x3f317218, v7
	v_cndmask_b32_e32 v5, v7, v6, vcc_lo
	s_delay_alu instid0(VALU_DEP_1) | instskip(SKIP_1) | instid1(VALU_DEP_2)
	v_mul_f32_e32 v6, 0x4f800000, v5
	v_cmp_gt_f32_e32 vcc_lo, 0xf800000, v5
	v_cndmask_b32_e32 v5, v5, v6, vcc_lo
	s_delay_alu instid0(VALU_DEP_1) | instskip(SKIP_3) | instid1(VALU_DEP_2)
	v_sqrt_f32_e32 v6, v5
	s_waitcnt_depctr 0xfff
	v_add_nc_u32_e32 v7, -1, v6
	v_add_nc_u32_e32 v8, 1, v6
	v_fma_f32 v9, -v7, v6, v5
	s_delay_alu instid0(VALU_DEP_2) | instskip(NEXT) | instid1(VALU_DEP_2)
	v_fma_f32 v10, -v8, v6, v5
	v_cmp_ge_f32_e64 s3, 0, v9
	s_delay_alu instid0(VALU_DEP_1) | instskip(NEXT) | instid1(VALU_DEP_3)
	v_cndmask_b32_e64 v6, v6, v7, s3
	v_cmp_lt_f32_e64 s3, 0, v10
	s_delay_alu instid0(VALU_DEP_1) | instskip(NEXT) | instid1(VALU_DEP_1)
	v_cndmask_b32_e64 v6, v6, v8, s3
	v_mul_f32_e32 v7, 0x37800000, v6
	s_delay_alu instid0(VALU_DEP_1) | instskip(SKIP_1) | instid1(VALU_DEP_2)
	v_cndmask_b32_e32 v6, v6, v7, vcc_lo
	v_cmp_class_f32_e64 vcc_lo, v5, 0x260
	v_cndmask_b32_e32 v5, v6, v5, vcc_lo
	s_and_not1_b32 vcc_lo, exec_lo, s16
	s_cbranch_vccnz .LBB237_2
; %bb.4:                                ;   in Loop: Header=BB237_3 Depth=1
	v_lshlrev_b64 v[6:7], 2, v[1:2]
	s_delay_alu instid0(VALU_DEP_1) | instskip(NEXT) | instid1(VALU_DEP_2)
	v_add_co_u32 v6, vcc_lo, s6, v6
	v_add_co_ci_u32_e32 v7, vcc_lo, s7, v7, vcc_lo
	global_load_b32 v2, v[6:7], off
	s_waitcnt vmcnt(0)
	v_add_f32_e32 v5, v5, v2
	s_branch .LBB237_2
.LBB237_5:
	s_or_b32 exec_lo, exec_lo, s14
	v_add_nc_u32_e32 v1, s12, v0
	s_mov_b32 s14, exec_lo
	s_delay_alu instid0(VALU_DEP_1)
	v_cmpx_gt_i32_e64 s12, v1
	s_cbranch_execz .LBB237_10
; %bb.6:
	s_load_b32 s3, s[0:1], 0x44
	s_cmp_lg_u64 s[6:7], 0
	v_lshl_add_u32 v4, v1, 2, 0
	s_cselect_b32 s16, -1, 0
	s_mov_b32 s18, 0
	s_waitcnt lgkmcnt(0)
	s_and_b32 s17, s3, 0xffff
	s_delay_alu instid0(SALU_CYCLE_1)
	s_lshl_b32 s19, s17, 2
	s_branch .LBB237_8
.LBB237_7:                              ;   in Loop: Header=BB237_8 Depth=1
	v_add_nc_u32_e32 v1, s17, v1
	v_add_nc_u32_e32 v4, s19, v4
	s_delay_alu instid0(VALU_DEP_2) | instskip(SKIP_1) | instid1(SALU_CYCLE_1)
	v_cmp_le_i32_e32 vcc_lo, s12, v1
	s_or_b32 s18, vcc_lo, s18
	s_and_not1_b32 exec_lo, exec_lo, s18
	s_cbranch_execz .LBB237_10
.LBB237_8:                              ; =>This Inner Loop Header: Depth=1
	v_ashrrev_i32_e32 v2, 31, v1
	s_delay_alu instid0(VALU_DEP_1) | instskip(NEXT) | instid1(VALU_DEP_1)
	v_lshlrev_b64 v[5:6], 1, v[1:2]
	v_add_co_u32 v5, vcc_lo, s4, v5
	s_delay_alu instid0(VALU_DEP_2) | instskip(SKIP_3) | instid1(VALU_DEP_1)
	v_add_co_ci_u32_e32 v6, vcc_lo, s5, v6, vcc_lo
	global_load_u16 v5, v[5:6], off
	s_waitcnt vmcnt(0)
	v_lshlrev_b32_e32 v5, 16, v5
	v_mul_f32_e32 v6, 0x3fb8aa3b, v5
	s_delay_alu instid0(VALU_DEP_1) | instskip(SKIP_2) | instid1(VALU_DEP_2)
	v_cmp_gt_f32_e32 vcc_lo, 0xc2fc0000, v6
	v_cndmask_b32_e64 v6, 0, 0x42800000, vcc_lo
	v_cndmask_b32_e64 v7, 1.0, 0x1f800000, vcc_lo
	v_fmac_f32_e32 v6, 0x3fb8aa3b, v5
	s_delay_alu instid0(VALU_DEP_1) | instskip(SKIP_2) | instid1(VALU_DEP_1)
	v_exp_f32_e32 v6, v6
	s_waitcnt_depctr 0xfff
	v_fma_f32 v6, v6, v7, 1.0
	v_cmp_gt_f32_e32 vcc_lo, 0x800000, v6
	v_cndmask_b32_e64 v7, 1.0, 0x4f800000, vcc_lo
	s_delay_alu instid0(VALU_DEP_1) | instskip(SKIP_2) | instid1(VALU_DEP_3)
	v_mul_f32_e32 v6, v6, v7
	v_cndmask_b32_e64 v7, 0, 0x42000000, vcc_lo
	v_cmp_lt_f32_e32 vcc_lo, 0x41a00000, v5
	v_log_f32_e32 v6, v6
	s_waitcnt_depctr 0xfff
	v_sub_f32_e32 v6, v6, v7
	s_delay_alu instid0(VALU_DEP_1) | instskip(NEXT) | instid1(VALU_DEP_1)
	v_mul_f32_e32 v6, 0x3f317218, v6
	v_cndmask_b32_e32 v5, v6, v5, vcc_lo
	s_delay_alu instid0(VALU_DEP_1) | instskip(SKIP_1) | instid1(VALU_DEP_2)
	v_mul_f32_e32 v6, 0x4f800000, v5
	v_cmp_gt_f32_e32 vcc_lo, 0xf800000, v5
	v_cndmask_b32_e32 v5, v5, v6, vcc_lo
	s_delay_alu instid0(VALU_DEP_1) | instskip(SKIP_3) | instid1(VALU_DEP_2)
	v_sqrt_f32_e32 v6, v5
	s_waitcnt_depctr 0xfff
	v_add_nc_u32_e32 v7, -1, v6
	v_add_nc_u32_e32 v8, 1, v6
	v_fma_f32 v9, -v7, v6, v5
	s_delay_alu instid0(VALU_DEP_2) | instskip(NEXT) | instid1(VALU_DEP_2)
	v_fma_f32 v10, -v8, v6, v5
	v_cmp_ge_f32_e64 s3, 0, v9
	s_delay_alu instid0(VALU_DEP_1) | instskip(NEXT) | instid1(VALU_DEP_3)
	v_cndmask_b32_e64 v6, v6, v7, s3
	v_cmp_lt_f32_e64 s3, 0, v10
	s_delay_alu instid0(VALU_DEP_1) | instskip(NEXT) | instid1(VALU_DEP_1)
	v_cndmask_b32_e64 v6, v6, v8, s3
	v_mul_f32_e32 v7, 0x37800000, v6
	s_delay_alu instid0(VALU_DEP_1) | instskip(SKIP_1) | instid1(VALU_DEP_2)
	v_cndmask_b32_e32 v6, v6, v7, vcc_lo
	v_cmp_class_f32_e64 vcc_lo, v5, 0x260
	v_cndmask_b32_e32 v5, v6, v5, vcc_lo
	s_and_not1_b32 vcc_lo, exec_lo, s16
	ds_store_b32 v4, v5
	s_cbranch_vccnz .LBB237_7
; %bb.9:                                ;   in Loop: Header=BB237_8 Depth=1
	v_lshlrev_b64 v[6:7], 2, v[1:2]
	s_delay_alu instid0(VALU_DEP_1) | instskip(NEXT) | instid1(VALU_DEP_2)
	v_add_co_u32 v6, vcc_lo, s6, v6
	v_add_co_ci_u32_e32 v7, vcc_lo, s7, v7, vcc_lo
	global_load_b32 v2, v[6:7], off
	s_waitcnt vmcnt(0)
	v_add_f32_e32 v2, v5, v2
	ds_store_b32 v4, v2
	s_branch .LBB237_7
.LBB237_10:
	s_or_b32 exec_lo, exec_lo, s14
	v_mov_b32_e32 v2, 0
	s_cmp_lt_i32 s13, 1
	s_waitcnt lgkmcnt(0)
	s_barrier
	buffer_gl0_inv
	s_cbranch_scc1 .LBB237_19
; %bb.11:
	s_add_u32 s4, s0, 56
	s_addc_u32 s5, s1, 0
	v_dual_mov_b32 v2, 0 :: v_dual_mov_b32 v5, 0xff800000
	v_dual_mov_b32 v1, 0 :: v_dual_mov_b32 v4, 0
	s_cmp_lg_u64 s[6:7], 0
	s_mov_b32 s14, 0
	s_cselect_b32 s3, -1, 0
	s_mov_b32 s18, 0x76543210
	s_branch .LBB237_13
.LBB237_12:                             ;   in Loop: Header=BB237_13 Depth=1
	v_cmp_eq_u32_e32 vcc_lo, s14, v0
	s_delay_alu instid0(VALU_DEP_2) | instskip(NEXT) | instid1(VALU_DEP_2)
	s_lshl_b32 s17, s16, 2
	v_add_f32_e32 v4, v4, v8
	s_add_i32 s17, s17, 0
	s_add_i32 s14, s14, 1
	v_cndmask_b32_e64 v1, v1, s16, vcc_lo
	v_mov_b32_e32 v6, s17
	v_cndmask_b32_e32 v2, v2, v8, vcc_lo
	s_cmp_eq_u32 s14, s13
	ds_store_b32 v6, v5
	s_cbranch_scc1 .LBB237_20
.LBB237_13:                             ; =>This Loop Header: Depth=1
                                        ;     Child Loop BB237_15 Depth 2
	v_dual_mov_b32 v6, s14 :: v_dual_mov_b32 v7, 0xff800000
	s_and_saveexec_b32 s16, s2
	s_cbranch_execz .LBB237_17
; %bb.14:                               ;   in Loop: Header=BB237_13 Depth=1
	s_load_b32 s17, s[4:5], 0xc
	v_dual_mov_b32 v6, s14 :: v_dual_mov_b32 v7, 0xff800000
	v_dual_mov_b32 v8, v3 :: v_dual_mov_b32 v9, v0
	s_mov_b32 s19, 0
	s_waitcnt lgkmcnt(0)
	s_and_b32 s17, s17, 0xffff
	s_delay_alu instid0(SALU_CYCLE_1)
	s_lshl_b32 s20, s17, 2
.LBB237_15:                             ;   Parent Loop BB237_13 Depth=1
                                        ; =>  This Inner Loop Header: Depth=2
	ds_load_b32 v10, v8
	v_add_nc_u32_e32 v8, s20, v8
	s_waitcnt lgkmcnt(0)
	v_cmp_gt_f32_e32 vcc_lo, v10, v7
	v_dual_cndmask_b32 v7, v7, v10 :: v_dual_cndmask_b32 v6, v6, v9
	v_add_nc_u32_e32 v9, s17, v9
	s_delay_alu instid0(VALU_DEP_1) | instskip(SKIP_1) | instid1(SALU_CYCLE_1)
	v_cmp_le_i32_e32 vcc_lo, s12, v9
	s_or_b32 s19, vcc_lo, s19
	s_and_not1_b32 exec_lo, exec_lo, s19
	s_cbranch_execnz .LBB237_15
; %bb.16:                               ;   in Loop: Header=BB237_13 Depth=1
	s_or_b32 exec_lo, exec_lo, s19
.LBB237_17:                             ;   in Loop: Header=BB237_13 Depth=1
	s_delay_alu instid0(SALU_CYCLE_1)
	s_or_b32 exec_lo, exec_lo, s16
	;;#ASMSTART
	v_max_f32 v8, v7, v7 quad_perm:[1,0,3,2] row_mask:0xf bank_mask:0xf bound_ctrl:1
	;;#ASMEND
	;;#ASMSTART
	v_max_f32 v9, v8, v8 quad_perm:[2,3,0,1] row_mask:0xf bank_mask:0xf bound_ctrl:1
	;;#ASMEND
	;;#ASMSTART
	v_max_f32 v8, v9, v9 row_half_mirror row_mask:0xf bank_mask:0xf bound_ctrl:1
	;;#ASMEND
	;;#ASMSTART
	v_max_f32 v9, v8, v8 row_mirror row_mask:0xf bank_mask:0xf bound_ctrl:1
	;;#ASMEND
	v_permlanex16_b32 v8, v9, s18, 0xfedcba98 op_sel:[1,1]
	s_delay_alu instid0(VALU_DEP_1) | instskip(NEXT) | instid1(VALU_DEP_1)
	v_dual_max_f32 v9, v9, v9 :: v_dual_max_f32 v8, v8, v8
	v_max_f32_e32 v8, v9, v8
	s_delay_alu instid0(VALU_DEP_1)
	v_cmp_eq_f32_e32 vcc_lo, v7, v8
	s_ctz_i32_b32 s16, vcc_lo
	s_cmp_lg_u32 vcc_lo, 0
	s_cselect_b32 s16, s16, 0
	s_and_b32 vcc_lo, exec_lo, s3
	v_readlane_b32 s16, v6, s16
	s_cbranch_vccz .LBB237_12
; %bb.18:                               ;   in Loop: Header=BB237_13 Depth=1
	s_delay_alu instid0(VALU_DEP_1) | instskip(NEXT) | instid1(SALU_CYCLE_1)
	s_ashr_i32 s17, s16, 31
	s_lshl_b64 s[20:21], s[16:17], 2
	s_delay_alu instid0(SALU_CYCLE_1)
	s_add_u32 s20, s6, s20
	s_addc_u32 s21, s7, s21
	s_load_b32 s17, s[20:21], 0x0
	s_waitcnt lgkmcnt(0)
	v_subrev_f32_e32 v8, s17, v8
	s_branch .LBB237_12
.LBB237_19:
	v_dual_mov_b32 v1, 0 :: v_dual_mov_b32 v4, 0
.LBB237_20:
	s_mov_b32 s2, exec_lo
	v_cmpx_gt_i32_e64 s13, v0
	s_cbranch_execz .LBB237_23
; %bb.21:
	s_clause 0x1
	s_load_b32 s2, s[0:1], 0x34
	s_load_b32 s3, s[0:1], 0x44
	v_max_f32_e32 v3, v4, v4
	s_load_b64 s[0:1], s[0:1], 0x20
	s_ashr_i32 s4, s15, 31
	s_delay_alu instid0(VALU_DEP_1) | instskip(SKIP_1) | instid1(VALU_DEP_1)
	v_max_f32_e32 v3, 0x1e3ce508, v3
	s_waitcnt lgkmcnt(0)
	v_div_scale_f32 v4, null, v3, v3, s2
	v_div_scale_f32 v7, vcc_lo, s2, v3, s2
	s_mul_i32 s1, s15, s1
	s_delay_alu instid0(VALU_DEP_2) | instskip(SKIP_4) | instid1(VALU_DEP_1)
	v_rcp_f32_e32 v5, v4
	s_mul_i32 s4, s4, s0
	s_and_b32 s3, s3, 0xffff
	s_waitcnt_depctr 0xfff
	v_fma_f32 v6, -v4, v5, 1.0
	v_fmac_f32_e32 v5, v6, v5
	s_delay_alu instid0(VALU_DEP_1) | instskip(NEXT) | instid1(VALU_DEP_1)
	v_mul_f32_e32 v6, v7, v5
	v_fma_f32 v8, -v4, v6, v7
	s_delay_alu instid0(VALU_DEP_1) | instskip(NEXT) | instid1(VALU_DEP_1)
	v_fmac_f32_e32 v6, v8, v5
	v_fma_f32 v4, -v4, v6, v7
	s_delay_alu instid0(VALU_DEP_1) | instskip(NEXT) | instid1(VALU_DEP_1)
	v_div_fmas_f32 v4, v4, v5, v6
	v_div_fixup_f32 v3, v4, v3, s2
	s_mul_hi_u32 s2, s15, s0
	s_delay_alu instid0(SALU_CYCLE_1) | instskip(SKIP_1) | instid1(VALU_DEP_1)
	s_add_i32 s1, s2, s1
	s_mul_i32 s2, s15, s0
	v_mul_f32_e32 v2, v2, v3
	s_add_i32 s1, s1, s4
	s_mov_b32 s4, 0
	.p2align	6
.LBB237_22:                             ; =>This Inner Loop Header: Depth=1
	v_ashrrev_i32_e32 v4, 31, v0
	v_add_co_u32 v3, vcc_lo, s2, v0
	v_add_nc_u32_e32 v0, s3, v0
	s_delay_alu instid0(VALU_DEP_3) | instskip(NEXT) | instid1(VALU_DEP_2)
	v_add_co_ci_u32_e32 v4, vcc_lo, s1, v4, vcc_lo
	v_cmp_le_i32_e32 vcc_lo, s13, v0
	s_delay_alu instid0(VALU_DEP_2) | instskip(SKIP_1) | instid1(VALU_DEP_1)
	v_lshlrev_b64 v[3:4], 2, v[3:4]
	s_or_b32 s4, vcc_lo, s4
	v_add_co_u32 v5, s0, s8, v3
	s_delay_alu instid0(VALU_DEP_1) | instskip(SKIP_1) | instid1(VALU_DEP_1)
	v_add_co_ci_u32_e64 v6, s0, s9, v4, s0
	v_add_co_u32 v3, s0, s10, v3
	v_add_co_ci_u32_e64 v4, s0, s11, v4, s0
	global_store_b32 v[5:6], v2, off
	global_store_b32 v[3:4], v1, off
	s_and_not1_b32 exec_lo, exec_lo, s4
	s_cbranch_execnz .LBB237_22
.LBB237_23:
	s_nop 0
	s_sendmsg sendmsg(MSG_DEALLOC_VGPRS)
	s_endpgm
	.section	.rodata,"a",@progbits
	.p2align	6, 0x0
	.amdhsa_kernel _ZN5aiter20topk_softplus_kernelI12hip_bfloat16fDv1_fLb1ELi0EEEvPKT_PKT0_PfPimiiif
		.amdhsa_group_segment_fixed_size 0
		.amdhsa_private_segment_fixed_size 0
		.amdhsa_kernarg_size 312
		.amdhsa_user_sgpr_count 15
		.amdhsa_user_sgpr_dispatch_ptr 0
		.amdhsa_user_sgpr_queue_ptr 0
		.amdhsa_user_sgpr_kernarg_segment_ptr 1
		.amdhsa_user_sgpr_dispatch_id 0
		.amdhsa_user_sgpr_private_segment_size 0
		.amdhsa_wavefront_size32 1
		.amdhsa_uses_dynamic_stack 0
		.amdhsa_enable_private_segment 0
		.amdhsa_system_sgpr_workgroup_id_x 1
		.amdhsa_system_sgpr_workgroup_id_y 0
		.amdhsa_system_sgpr_workgroup_id_z 0
		.amdhsa_system_sgpr_workgroup_info 0
		.amdhsa_system_vgpr_workitem_id 0
		.amdhsa_next_free_vgpr 11
		.amdhsa_next_free_sgpr 22
		.amdhsa_reserve_vcc 1
		.amdhsa_float_round_mode_32 0
		.amdhsa_float_round_mode_16_64 0
		.amdhsa_float_denorm_mode_32 3
		.amdhsa_float_denorm_mode_16_64 3
		.amdhsa_dx10_clamp 1
		.amdhsa_ieee_mode 1
		.amdhsa_fp16_overflow 0
		.amdhsa_workgroup_processor_mode 1
		.amdhsa_memory_ordered 1
		.amdhsa_forward_progress 0
		.amdhsa_shared_vgpr_count 0
		.amdhsa_exception_fp_ieee_invalid_op 0
		.amdhsa_exception_fp_denorm_src 0
		.amdhsa_exception_fp_ieee_div_zero 0
		.amdhsa_exception_fp_ieee_overflow 0
		.amdhsa_exception_fp_ieee_underflow 0
		.amdhsa_exception_fp_ieee_inexact 0
		.amdhsa_exception_int_div_zero 0
	.end_amdhsa_kernel
	.section	.text._ZN5aiter20topk_softplus_kernelI12hip_bfloat16fDv1_fLb1ELi0EEEvPKT_PKT0_PfPimiiif,"axG",@progbits,_ZN5aiter20topk_softplus_kernelI12hip_bfloat16fDv1_fLb1ELi0EEEvPKT_PKT0_PfPimiiif,comdat
.Lfunc_end237:
	.size	_ZN5aiter20topk_softplus_kernelI12hip_bfloat16fDv1_fLb1ELi0EEEvPKT_PKT0_PfPimiiif, .Lfunc_end237-_ZN5aiter20topk_softplus_kernelI12hip_bfloat16fDv1_fLb1ELi0EEEvPKT_PKT0_PfPimiiif
                                        ; -- End function
	.section	.AMDGPU.csdata,"",@progbits
; Kernel info:
; codeLenInByte = 1844
; NumSgprs: 24
; NumVgprs: 11
; ScratchSize: 0
; MemoryBound: 0
; FloatMode: 240
; IeeeMode: 1
; LDSByteSize: 0 bytes/workgroup (compile time only)
; SGPRBlocks: 2
; VGPRBlocks: 1
; NumSGPRsForWavesPerEU: 24
; NumVGPRsForWavesPerEU: 11
; Occupancy: 16
; WaveLimiterHint : 0
; COMPUTE_PGM_RSRC2:SCRATCH_EN: 0
; COMPUTE_PGM_RSRC2:USER_SGPR: 15
; COMPUTE_PGM_RSRC2:TRAP_HANDLER: 0
; COMPUTE_PGM_RSRC2:TGID_X_EN: 1
; COMPUTE_PGM_RSRC2:TGID_Y_EN: 0
; COMPUTE_PGM_RSRC2:TGID_Z_EN: 0
; COMPUTE_PGM_RSRC2:TIDIG_COMP_CNT: 0
	.section	.text._ZN5aiter20topk_softplus_kernelI12hip_bfloat16fDv1_fLb0ELi0EEEvPKT_PKT0_PfPimiiif,"axG",@progbits,_ZN5aiter20topk_softplus_kernelI12hip_bfloat16fDv1_fLb0ELi0EEEvPKT_PKT0_PfPimiiif,comdat
	.protected	_ZN5aiter20topk_softplus_kernelI12hip_bfloat16fDv1_fLb0ELi0EEEvPKT_PKT0_PfPimiiif ; -- Begin function _ZN5aiter20topk_softplus_kernelI12hip_bfloat16fDv1_fLb0ELi0EEEvPKT_PKT0_PfPimiiif
	.globl	_ZN5aiter20topk_softplus_kernelI12hip_bfloat16fDv1_fLb0ELi0EEEvPKT_PKT0_PfPimiiif
	.p2align	8
	.type	_ZN5aiter20topk_softplus_kernelI12hip_bfloat16fDv1_fLb0ELi0EEEvPKT_PKT0_PfPimiiif,@function
_ZN5aiter20topk_softplus_kernelI12hip_bfloat16fDv1_fLb0ELi0EEEvPKT_PKT0_PfPimiiif: ; @_ZN5aiter20topk_softplus_kernelI12hip_bfloat16fDv1_fLb0ELi0EEEvPKT_PKT0_PfPimiiif
; %bb.0:
	s_clause 0x1
	s_load_b64 s[12:13], s[0:1], 0x28
	s_load_b256 s[4:11], s[0:1], 0x0
	v_lshl_add_u32 v3, v0, 2, 0
	s_waitcnt lgkmcnt(0)
	s_mul_i32 s16, s15, s12
	v_cmp_gt_i32_e64 s2, s12, v0
	s_ashr_i32 s17, s16, 31
	s_delay_alu instid0(SALU_CYCLE_1) | instskip(NEXT) | instid1(SALU_CYCLE_1)
	s_lshl_b64 s[16:17], s[16:17], 1
	s_add_u32 s4, s4, s16
	s_addc_u32 s5, s5, s17
	s_and_saveexec_b32 s14, s2
	s_cbranch_execz .LBB238_5
; %bb.1:
	s_load_b32 s3, s[0:1], 0x44
	s_cmp_lg_u64 s[6:7], 0
	v_lshl_add_u32 v4, v0, 2, 0
	v_mov_b32_e32 v1, v0
	s_cselect_b32 s16, -1, 0
	s_mov_b32 s18, 0
	s_waitcnt lgkmcnt(0)
	s_and_b32 s17, s3, 0xffff
	s_delay_alu instid0(SALU_CYCLE_1)
	s_lshl_b32 s19, s17, 2
	s_branch .LBB238_3
.LBB238_2:                              ;   in Loop: Header=BB238_3 Depth=1
	v_add_nc_u32_e32 v1, s17, v1
	ds_store_b32 v4, v5
	v_add_nc_u32_e32 v4, s19, v4
	v_cmp_le_i32_e32 vcc_lo, s12, v1
	s_or_b32 s18, vcc_lo, s18
	s_delay_alu instid0(SALU_CYCLE_1)
	s_and_not1_b32 exec_lo, exec_lo, s18
	s_cbranch_execz .LBB238_5
.LBB238_3:                              ; =>This Inner Loop Header: Depth=1
	v_ashrrev_i32_e32 v2, 31, v1
	s_delay_alu instid0(VALU_DEP_1) | instskip(NEXT) | instid1(VALU_DEP_1)
	v_lshlrev_b64 v[5:6], 1, v[1:2]
	v_add_co_u32 v5, vcc_lo, s4, v5
	s_delay_alu instid0(VALU_DEP_2) | instskip(SKIP_3) | instid1(VALU_DEP_1)
	v_add_co_ci_u32_e32 v6, vcc_lo, s5, v6, vcc_lo
	global_load_u16 v5, v[5:6], off
	s_waitcnt vmcnt(0)
	v_cvt_f32_u32_e32 v6, v5
	v_mul_f32_e32 v7, 0x3fb8aa3b, v6
	s_delay_alu instid0(VALU_DEP_1) | instskip(SKIP_2) | instid1(VALU_DEP_2)
	v_cmp_gt_f32_e32 vcc_lo, 0xc2fc0000, v7
	v_cndmask_b32_e64 v7, 0, 0x42800000, vcc_lo
	v_cndmask_b32_e64 v8, 1.0, 0x1f800000, vcc_lo
	v_fmac_f32_e32 v7, 0x3fb8aa3b, v6
	s_delay_alu instid0(VALU_DEP_1) | instskip(SKIP_2) | instid1(VALU_DEP_1)
	v_exp_f32_e32 v7, v7
	s_waitcnt_depctr 0xfff
	v_fma_f32 v7, v7, v8, 1.0
	v_cmp_gt_f32_e32 vcc_lo, 0x800000, v7
	v_cndmask_b32_e64 v8, 1.0, 0x4f800000, vcc_lo
	s_delay_alu instid0(VALU_DEP_1) | instskip(SKIP_2) | instid1(VALU_DEP_3)
	v_mul_f32_e32 v7, v7, v8
	v_cndmask_b32_e64 v8, 0, 0x42000000, vcc_lo
	v_cmp_lt_u32_e32 vcc_lo, 20, v5
	v_log_f32_e32 v7, v7
	s_waitcnt_depctr 0xfff
	v_sub_f32_e32 v7, v7, v8
	s_delay_alu instid0(VALU_DEP_1) | instskip(NEXT) | instid1(VALU_DEP_1)
	v_mul_f32_e32 v7, 0x3f317218, v7
	v_cndmask_b32_e32 v5, v7, v6, vcc_lo
	s_delay_alu instid0(VALU_DEP_1) | instskip(SKIP_1) | instid1(VALU_DEP_2)
	v_mul_f32_e32 v6, 0x4f800000, v5
	v_cmp_gt_f32_e32 vcc_lo, 0xf800000, v5
	v_cndmask_b32_e32 v5, v5, v6, vcc_lo
	s_delay_alu instid0(VALU_DEP_1) | instskip(SKIP_3) | instid1(VALU_DEP_2)
	v_sqrt_f32_e32 v6, v5
	s_waitcnt_depctr 0xfff
	v_add_nc_u32_e32 v7, -1, v6
	v_add_nc_u32_e32 v8, 1, v6
	v_fma_f32 v9, -v7, v6, v5
	s_delay_alu instid0(VALU_DEP_2) | instskip(NEXT) | instid1(VALU_DEP_2)
	v_fma_f32 v10, -v8, v6, v5
	v_cmp_ge_f32_e64 s3, 0, v9
	s_delay_alu instid0(VALU_DEP_1) | instskip(NEXT) | instid1(VALU_DEP_3)
	v_cndmask_b32_e64 v6, v6, v7, s3
	v_cmp_lt_f32_e64 s3, 0, v10
	s_delay_alu instid0(VALU_DEP_1) | instskip(NEXT) | instid1(VALU_DEP_1)
	v_cndmask_b32_e64 v6, v6, v8, s3
	v_mul_f32_e32 v7, 0x37800000, v6
	s_delay_alu instid0(VALU_DEP_1) | instskip(SKIP_1) | instid1(VALU_DEP_2)
	v_cndmask_b32_e32 v6, v6, v7, vcc_lo
	v_cmp_class_f32_e64 vcc_lo, v5, 0x260
	v_cndmask_b32_e32 v5, v6, v5, vcc_lo
	s_and_not1_b32 vcc_lo, exec_lo, s16
	s_cbranch_vccnz .LBB238_2
; %bb.4:                                ;   in Loop: Header=BB238_3 Depth=1
	v_lshlrev_b64 v[6:7], 2, v[1:2]
	s_delay_alu instid0(VALU_DEP_1) | instskip(NEXT) | instid1(VALU_DEP_2)
	v_add_co_u32 v6, vcc_lo, s6, v6
	v_add_co_ci_u32_e32 v7, vcc_lo, s7, v7, vcc_lo
	global_load_b32 v2, v[6:7], off
	s_waitcnt vmcnt(0)
	v_add_f32_e32 v5, v5, v2
	s_branch .LBB238_2
.LBB238_5:
	s_or_b32 exec_lo, exec_lo, s14
	v_add_nc_u32_e32 v1, s12, v0
	s_mov_b32 s14, exec_lo
	s_delay_alu instid0(VALU_DEP_1)
	v_cmpx_gt_i32_e64 s12, v1
	s_cbranch_execz .LBB238_10
; %bb.6:
	s_load_b32 s3, s[0:1], 0x44
	s_cmp_lg_u64 s[6:7], 0
	v_lshl_add_u32 v4, v1, 2, 0
	s_cselect_b32 s16, -1, 0
	s_mov_b32 s18, 0
	s_waitcnt lgkmcnt(0)
	s_and_b32 s17, s3, 0xffff
	s_delay_alu instid0(SALU_CYCLE_1)
	s_lshl_b32 s19, s17, 2
	s_branch .LBB238_8
.LBB238_7:                              ;   in Loop: Header=BB238_8 Depth=1
	v_add_nc_u32_e32 v1, s17, v1
	v_add_nc_u32_e32 v4, s19, v4
	s_delay_alu instid0(VALU_DEP_2) | instskip(SKIP_1) | instid1(SALU_CYCLE_1)
	v_cmp_le_i32_e32 vcc_lo, s12, v1
	s_or_b32 s18, vcc_lo, s18
	s_and_not1_b32 exec_lo, exec_lo, s18
	s_cbranch_execz .LBB238_10
.LBB238_8:                              ; =>This Inner Loop Header: Depth=1
	v_ashrrev_i32_e32 v2, 31, v1
	s_delay_alu instid0(VALU_DEP_1) | instskip(NEXT) | instid1(VALU_DEP_1)
	v_lshlrev_b64 v[5:6], 1, v[1:2]
	v_add_co_u32 v5, vcc_lo, s4, v5
	s_delay_alu instid0(VALU_DEP_2) | instskip(SKIP_3) | instid1(VALU_DEP_1)
	v_add_co_ci_u32_e32 v6, vcc_lo, s5, v6, vcc_lo
	global_load_u16 v5, v[5:6], off
	s_waitcnt vmcnt(0)
	v_lshlrev_b32_e32 v5, 16, v5
	v_mul_f32_e32 v6, 0x3fb8aa3b, v5
	s_delay_alu instid0(VALU_DEP_1) | instskip(SKIP_2) | instid1(VALU_DEP_2)
	v_cmp_gt_f32_e32 vcc_lo, 0xc2fc0000, v6
	v_cndmask_b32_e64 v6, 0, 0x42800000, vcc_lo
	v_cndmask_b32_e64 v7, 1.0, 0x1f800000, vcc_lo
	v_fmac_f32_e32 v6, 0x3fb8aa3b, v5
	s_delay_alu instid0(VALU_DEP_1) | instskip(SKIP_2) | instid1(VALU_DEP_1)
	v_exp_f32_e32 v6, v6
	s_waitcnt_depctr 0xfff
	v_fma_f32 v6, v6, v7, 1.0
	v_cmp_gt_f32_e32 vcc_lo, 0x800000, v6
	v_cndmask_b32_e64 v7, 1.0, 0x4f800000, vcc_lo
	s_delay_alu instid0(VALU_DEP_1) | instskip(SKIP_2) | instid1(VALU_DEP_3)
	v_mul_f32_e32 v6, v6, v7
	v_cndmask_b32_e64 v7, 0, 0x42000000, vcc_lo
	v_cmp_lt_f32_e32 vcc_lo, 0x41a00000, v5
	v_log_f32_e32 v6, v6
	s_waitcnt_depctr 0xfff
	v_sub_f32_e32 v6, v6, v7
	s_delay_alu instid0(VALU_DEP_1) | instskip(NEXT) | instid1(VALU_DEP_1)
	v_mul_f32_e32 v6, 0x3f317218, v6
	v_cndmask_b32_e32 v5, v6, v5, vcc_lo
	s_delay_alu instid0(VALU_DEP_1) | instskip(SKIP_1) | instid1(VALU_DEP_2)
	v_mul_f32_e32 v6, 0x4f800000, v5
	v_cmp_gt_f32_e32 vcc_lo, 0xf800000, v5
	v_cndmask_b32_e32 v5, v5, v6, vcc_lo
	s_delay_alu instid0(VALU_DEP_1) | instskip(SKIP_3) | instid1(VALU_DEP_2)
	v_sqrt_f32_e32 v6, v5
	s_waitcnt_depctr 0xfff
	v_add_nc_u32_e32 v7, -1, v6
	v_add_nc_u32_e32 v8, 1, v6
	v_fma_f32 v9, -v7, v6, v5
	s_delay_alu instid0(VALU_DEP_2) | instskip(NEXT) | instid1(VALU_DEP_2)
	v_fma_f32 v10, -v8, v6, v5
	v_cmp_ge_f32_e64 s3, 0, v9
	s_delay_alu instid0(VALU_DEP_1) | instskip(NEXT) | instid1(VALU_DEP_3)
	v_cndmask_b32_e64 v6, v6, v7, s3
	v_cmp_lt_f32_e64 s3, 0, v10
	s_delay_alu instid0(VALU_DEP_1) | instskip(NEXT) | instid1(VALU_DEP_1)
	v_cndmask_b32_e64 v6, v6, v8, s3
	v_mul_f32_e32 v7, 0x37800000, v6
	s_delay_alu instid0(VALU_DEP_1) | instskip(SKIP_1) | instid1(VALU_DEP_2)
	v_cndmask_b32_e32 v6, v6, v7, vcc_lo
	v_cmp_class_f32_e64 vcc_lo, v5, 0x260
	v_cndmask_b32_e32 v5, v6, v5, vcc_lo
	s_and_not1_b32 vcc_lo, exec_lo, s16
	ds_store_b32 v4, v5
	s_cbranch_vccnz .LBB238_7
; %bb.9:                                ;   in Loop: Header=BB238_8 Depth=1
	v_lshlrev_b64 v[6:7], 2, v[1:2]
	s_delay_alu instid0(VALU_DEP_1) | instskip(NEXT) | instid1(VALU_DEP_2)
	v_add_co_u32 v6, vcc_lo, s6, v6
	v_add_co_ci_u32_e32 v7, vcc_lo, s7, v7, vcc_lo
	global_load_b32 v2, v[6:7], off
	s_waitcnt vmcnt(0)
	v_add_f32_e32 v2, v5, v2
	ds_store_b32 v4, v2
	s_branch .LBB238_7
.LBB238_10:
	s_or_b32 exec_lo, exec_lo, s14
	s_cmp_lt_i32 s13, 1
	s_waitcnt lgkmcnt(0)
	s_barrier
	buffer_gl0_inv
	s_cbranch_scc1 .LBB238_19
; %bb.11:
	s_add_u32 s4, s0, 56
	s_addc_u32 s5, s1, 0
	v_dual_mov_b32 v2, 0 :: v_dual_mov_b32 v1, 0
	v_mov_b32_e32 v4, 0xff800000
	s_cmp_lg_u64 s[6:7], 0
	s_mov_b32 s14, 0
	s_cselect_b32 s3, -1, 0
	s_mov_b32 s18, 0x76543210
	s_branch .LBB238_13
.LBB238_12:                             ;   in Loop: Header=BB238_13 Depth=1
	v_cmp_eq_u32_e32 vcc_lo, s14, v0
	s_delay_alu instid0(VALU_DEP_2)
	s_lshl_b32 s17, s16, 2
	s_add_i32 s14, s14, 1
	s_add_i32 s17, s17, 0
	s_cmp_eq_u32 s14, s13
	v_cndmask_b32_e64 v1, v1, s16, vcc_lo
	v_dual_mov_b32 v5, s17 :: v_dual_cndmask_b32 v2, v2, v7
	ds_store_b32 v5, v4
	s_cbranch_scc1 .LBB238_20
.LBB238_13:                             ; =>This Loop Header: Depth=1
                                        ;     Child Loop BB238_15 Depth 2
	v_dual_mov_b32 v5, s14 :: v_dual_mov_b32 v6, 0xff800000
	s_and_saveexec_b32 s16, s2
	s_cbranch_execz .LBB238_17
; %bb.14:                               ;   in Loop: Header=BB238_13 Depth=1
	s_load_b32 s17, s[4:5], 0xc
	v_dual_mov_b32 v5, s14 :: v_dual_mov_b32 v6, 0xff800000
	v_dual_mov_b32 v7, v3 :: v_dual_mov_b32 v8, v0
	s_mov_b32 s19, 0
	s_waitcnt lgkmcnt(0)
	s_and_b32 s17, s17, 0xffff
	s_delay_alu instid0(SALU_CYCLE_1)
	s_lshl_b32 s20, s17, 2
.LBB238_15:                             ;   Parent Loop BB238_13 Depth=1
                                        ; =>  This Inner Loop Header: Depth=2
	ds_load_b32 v9, v7
	v_add_nc_u32_e32 v7, s20, v7
	s_waitcnt lgkmcnt(0)
	v_cmp_gt_f32_e32 vcc_lo, v9, v6
	v_dual_cndmask_b32 v6, v6, v9 :: v_dual_cndmask_b32 v5, v5, v8
	v_add_nc_u32_e32 v8, s17, v8
	s_delay_alu instid0(VALU_DEP_1) | instskip(SKIP_1) | instid1(SALU_CYCLE_1)
	v_cmp_le_i32_e32 vcc_lo, s12, v8
	s_or_b32 s19, vcc_lo, s19
	s_and_not1_b32 exec_lo, exec_lo, s19
	s_cbranch_execnz .LBB238_15
; %bb.16:                               ;   in Loop: Header=BB238_13 Depth=1
	s_or_b32 exec_lo, exec_lo, s19
.LBB238_17:                             ;   in Loop: Header=BB238_13 Depth=1
	s_delay_alu instid0(SALU_CYCLE_1)
	s_or_b32 exec_lo, exec_lo, s16
	;;#ASMSTART
	v_max_f32 v7, v6, v6 quad_perm:[1,0,3,2] row_mask:0xf bank_mask:0xf bound_ctrl:1
	;;#ASMEND
	;;#ASMSTART
	v_max_f32 v8, v7, v7 quad_perm:[2,3,0,1] row_mask:0xf bank_mask:0xf bound_ctrl:1
	;;#ASMEND
	;;#ASMSTART
	v_max_f32 v7, v8, v8 row_half_mirror row_mask:0xf bank_mask:0xf bound_ctrl:1
	;;#ASMEND
	;;#ASMSTART
	v_max_f32 v8, v7, v7 row_mirror row_mask:0xf bank_mask:0xf bound_ctrl:1
	;;#ASMEND
	v_permlanex16_b32 v7, v8, s18, 0xfedcba98 op_sel:[1,1]
	s_delay_alu instid0(VALU_DEP_1) | instskip(NEXT) | instid1(VALU_DEP_1)
	v_dual_max_f32 v8, v8, v8 :: v_dual_max_f32 v7, v7, v7
	v_max_f32_e32 v7, v8, v7
	s_delay_alu instid0(VALU_DEP_1)
	v_cmp_eq_f32_e32 vcc_lo, v6, v7
	s_ctz_i32_b32 s16, vcc_lo
	s_cmp_lg_u32 vcc_lo, 0
	s_cselect_b32 s16, s16, 0
	s_and_b32 vcc_lo, exec_lo, s3
	v_readlane_b32 s16, v5, s16
	s_cbranch_vccz .LBB238_12
; %bb.18:                               ;   in Loop: Header=BB238_13 Depth=1
	s_delay_alu instid0(VALU_DEP_1) | instskip(NEXT) | instid1(SALU_CYCLE_1)
	s_ashr_i32 s17, s16, 31
	s_lshl_b64 s[20:21], s[16:17], 2
	s_delay_alu instid0(SALU_CYCLE_1)
	s_add_u32 s20, s6, s20
	s_addc_u32 s21, s7, s21
	s_load_b32 s17, s[20:21], 0x0
	s_waitcnt lgkmcnt(0)
	v_subrev_f32_e32 v7, s17, v7
	s_branch .LBB238_12
.LBB238_19:
	v_dual_mov_b32 v2, 0 :: v_dual_mov_b32 v1, 0
.LBB238_20:
	s_mov_b32 s2, exec_lo
	v_cmpx_gt_i32_e64 s13, v0
	s_cbranch_execz .LBB238_23
; %bb.21:
	s_clause 0x2
	s_load_b32 s4, s[0:1], 0x34
	s_load_b64 s[2:3], s[0:1], 0x20
	s_load_b32 s0, s[0:1], 0x44
	s_ashr_i32 s1, s15, 31
	s_waitcnt lgkmcnt(0)
	v_mul_f32_e32 v2, s4, v2
	s_mul_i32 s3, s15, s3
	s_mul_hi_u32 s4, s15, s2
	s_mul_i32 s5, s1, s2
	s_add_i32 s3, s4, s3
	s_mul_i32 s1, s15, s2
	s_and_b32 s2, s0, 0xffff
	s_add_i32 s3, s3, s5
	s_mov_b32 s4, 0
	.p2align	6
.LBB238_22:                             ; =>This Inner Loop Header: Depth=1
	v_ashrrev_i32_e32 v4, 31, v0
	v_add_co_u32 v3, vcc_lo, s1, v0
	v_add_nc_u32_e32 v0, s2, v0
	s_delay_alu instid0(VALU_DEP_3) | instskip(NEXT) | instid1(VALU_DEP_2)
	v_add_co_ci_u32_e32 v4, vcc_lo, s3, v4, vcc_lo
	v_cmp_le_i32_e32 vcc_lo, s13, v0
	s_delay_alu instid0(VALU_DEP_2) | instskip(SKIP_1) | instid1(VALU_DEP_1)
	v_lshlrev_b64 v[3:4], 2, v[3:4]
	s_or_b32 s4, vcc_lo, s4
	v_add_co_u32 v5, s0, s8, v3
	s_delay_alu instid0(VALU_DEP_1) | instskip(SKIP_1) | instid1(VALU_DEP_1)
	v_add_co_ci_u32_e64 v6, s0, s9, v4, s0
	v_add_co_u32 v3, s0, s10, v3
	v_add_co_ci_u32_e64 v4, s0, s11, v4, s0
	global_store_b32 v[5:6], v2, off
	global_store_b32 v[3:4], v1, off
	s_and_not1_b32 exec_lo, exec_lo, s4
	s_cbranch_execnz .LBB238_22
.LBB238_23:
	s_nop 0
	s_sendmsg sendmsg(MSG_DEALLOC_VGPRS)
	s_endpgm
	.section	.rodata,"a",@progbits
	.p2align	6, 0x0
	.amdhsa_kernel _ZN5aiter20topk_softplus_kernelI12hip_bfloat16fDv1_fLb0ELi0EEEvPKT_PKT0_PfPimiiif
		.amdhsa_group_segment_fixed_size 0
		.amdhsa_private_segment_fixed_size 0
		.amdhsa_kernarg_size 312
		.amdhsa_user_sgpr_count 15
		.amdhsa_user_sgpr_dispatch_ptr 0
		.amdhsa_user_sgpr_queue_ptr 0
		.amdhsa_user_sgpr_kernarg_segment_ptr 1
		.amdhsa_user_sgpr_dispatch_id 0
		.amdhsa_user_sgpr_private_segment_size 0
		.amdhsa_wavefront_size32 1
		.amdhsa_uses_dynamic_stack 0
		.amdhsa_enable_private_segment 0
		.amdhsa_system_sgpr_workgroup_id_x 1
		.amdhsa_system_sgpr_workgroup_id_y 0
		.amdhsa_system_sgpr_workgroup_id_z 0
		.amdhsa_system_sgpr_workgroup_info 0
		.amdhsa_system_vgpr_workitem_id 0
		.amdhsa_next_free_vgpr 11
		.amdhsa_next_free_sgpr 22
		.amdhsa_reserve_vcc 1
		.amdhsa_float_round_mode_32 0
		.amdhsa_float_round_mode_16_64 0
		.amdhsa_float_denorm_mode_32 3
		.amdhsa_float_denorm_mode_16_64 3
		.amdhsa_dx10_clamp 1
		.amdhsa_ieee_mode 1
		.amdhsa_fp16_overflow 0
		.amdhsa_workgroup_processor_mode 1
		.amdhsa_memory_ordered 1
		.amdhsa_forward_progress 0
		.amdhsa_shared_vgpr_count 0
		.amdhsa_exception_fp_ieee_invalid_op 0
		.amdhsa_exception_fp_denorm_src 0
		.amdhsa_exception_fp_ieee_div_zero 0
		.amdhsa_exception_fp_ieee_overflow 0
		.amdhsa_exception_fp_ieee_underflow 0
		.amdhsa_exception_fp_ieee_inexact 0
		.amdhsa_exception_int_div_zero 0
	.end_amdhsa_kernel
	.section	.text._ZN5aiter20topk_softplus_kernelI12hip_bfloat16fDv1_fLb0ELi0EEEvPKT_PKT0_PfPimiiif,"axG",@progbits,_ZN5aiter20topk_softplus_kernelI12hip_bfloat16fDv1_fLb0ELi0EEEvPKT_PKT0_PfPimiiif,comdat
.Lfunc_end238:
	.size	_ZN5aiter20topk_softplus_kernelI12hip_bfloat16fDv1_fLb0ELi0EEEvPKT_PKT0_PfPimiiif, .Lfunc_end238-_ZN5aiter20topk_softplus_kernelI12hip_bfloat16fDv1_fLb0ELi0EEEvPKT_PKT0_PfPimiiif
                                        ; -- End function
	.section	.AMDGPU.csdata,"",@progbits
; Kernel info:
; codeLenInByte = 1720
; NumSgprs: 24
; NumVgprs: 11
; ScratchSize: 0
; MemoryBound: 0
; FloatMode: 240
; IeeeMode: 1
; LDSByteSize: 0 bytes/workgroup (compile time only)
; SGPRBlocks: 2
; VGPRBlocks: 1
; NumSGPRsForWavesPerEU: 24
; NumVGPRsForWavesPerEU: 11
; Occupancy: 16
; WaveLimiterHint : 0
; COMPUTE_PGM_RSRC2:SCRATCH_EN: 0
; COMPUTE_PGM_RSRC2:USER_SGPR: 15
; COMPUTE_PGM_RSRC2:TRAP_HANDLER: 0
; COMPUTE_PGM_RSRC2:TGID_X_EN: 1
; COMPUTE_PGM_RSRC2:TGID_Y_EN: 0
; COMPUTE_PGM_RSRC2:TGID_Z_EN: 0
; COMPUTE_PGM_RSRC2:TIDIG_COMP_CNT: 0
	.section	.text._ZN5aiter24topk_softplus_kernel_optI12hip_bfloat166__halfLi64ELb1ELi1EEEvPKT_PKT0_PfPimiif,"axG",@progbits,_ZN5aiter24topk_softplus_kernel_optI12hip_bfloat166__halfLi64ELb1ELi1EEEvPKT_PKT0_PfPimiif,comdat
	.protected	_ZN5aiter24topk_softplus_kernel_optI12hip_bfloat166__halfLi64ELb1ELi1EEEvPKT_PKT0_PfPimiif ; -- Begin function _ZN5aiter24topk_softplus_kernel_optI12hip_bfloat166__halfLi64ELb1ELi1EEEvPKT_PKT0_PfPimiif
	.globl	_ZN5aiter24topk_softplus_kernel_optI12hip_bfloat166__halfLi64ELb1ELi1EEEvPKT_PKT0_PfPimiif
	.p2align	8
	.type	_ZN5aiter24topk_softplus_kernel_optI12hip_bfloat166__halfLi64ELb1ELi1EEEvPKT_PKT0_PfPimiif,@function
_ZN5aiter24topk_softplus_kernel_optI12hip_bfloat166__halfLi64ELb1ELi1EEEvPKT_PKT0_PfPimiif: ; @_ZN5aiter24topk_softplus_kernel_optI12hip_bfloat166__halfLi64ELb1ELi1EEEvPKT_PKT0_PfPimiif
; %bb.0:
	s_load_b128 s[4:7], s[0:1], 0x0
	s_lshl_b32 s2, s15, 6
	v_lshlrev_b32_e32 v3, 1, v0
	s_ashr_i32 s3, s2, 31
	s_delay_alu instid0(SALU_CYCLE_1)
	s_lshl_b64 s[2:3], s[2:3], 1
	s_waitcnt lgkmcnt(0)
	s_add_u32 s4, s4, s2
	s_addc_u32 s5, s5, s3
	s_cmp_lg_u64 s[6:7], 0
	global_load_u16 v1, v3, s[4:5]
	s_cselect_b32 s2, -1, 0
	s_waitcnt vmcnt(0)
	v_lshlrev_b32_e32 v1, 16, v1
	s_delay_alu instid0(VALU_DEP_1) | instskip(NEXT) | instid1(VALU_DEP_1)
	v_mul_f32_e32 v2, 0xbfb8aa3b, v1
	v_cmp_gt_f32_e32 vcc_lo, 0xc2fc0000, v2
	v_cndmask_b32_e64 v2, 0, 0x42800000, vcc_lo
	s_delay_alu instid0(VALU_DEP_1) | instskip(NEXT) | instid1(VALU_DEP_1)
	v_fmac_f32_e32 v2, 0xbfb8aa3b, v1
	v_exp_f32_e32 v1, v2
	v_cndmask_b32_e64 v2, 1.0, 0x1f800000, vcc_lo
	s_and_b32 vcc_lo, exec_lo, s2
	s_waitcnt_depctr 0xfff
	v_fma_f32 v1, v1, v2, 1.0
	s_delay_alu instid0(VALU_DEP_1) | instskip(SKIP_1) | instid1(VALU_DEP_1)
	v_rcp_f32_e32 v9, v1
	v_add_co_u32 v1, s3, s4, v3
	v_add_co_ci_u32_e64 v2, null, s5, 0, s3
	s_waitcnt_depctr 0xfff
	v_mov_b32_e32 v7, v9
	s_cbranch_vccz .LBB239_2
; %bb.1:
	global_load_u16 v4, v3, s[6:7]
	s_waitcnt vmcnt(0)
	v_cvt_f32_f16_e32 v4, v4
	s_delay_alu instid0(VALU_DEP_1)
	v_add_f32_e32 v7, v9, v4
.LBB239_2:
	global_load_u16 v1, v[1:2], off offset:64
	s_waitcnt vmcnt(0)
	v_lshlrev_b32_e32 v1, 16, v1
	s_delay_alu instid0(VALU_DEP_1) | instskip(NEXT) | instid1(VALU_DEP_1)
	v_mul_f32_e32 v2, 0xbfb8aa3b, v1
	v_cmp_gt_f32_e32 vcc_lo, 0xc2fc0000, v2
	v_cndmask_b32_e64 v2, 0, 0x42800000, vcc_lo
	s_delay_alu instid0(VALU_DEP_1) | instskip(NEXT) | instid1(VALU_DEP_1)
	v_fmac_f32_e32 v2, 0xbfb8aa3b, v1
	v_exp_f32_e32 v1, v2
	v_cndmask_b32_e64 v2, 1.0, 0x1f800000, vcc_lo
	s_and_not1_b32 vcc_lo, exec_lo, s2
	s_waitcnt_depctr 0xfff
	v_fma_f32 v1, v1, v2, 1.0
	s_delay_alu instid0(VALU_DEP_1)
	v_rcp_f32_e32 v10, v1
	s_waitcnt_depctr 0xfff
	v_mov_b32_e32 v8, v10
	s_cbranch_vccnz .LBB239_4
; %bb.3:
	global_load_u16 v1, v3, s[6:7] offset:64
	s_waitcnt vmcnt(0)
	v_cvt_f32_f16_e32 v1, v1
	s_delay_alu instid0(VALU_DEP_1)
	v_add_f32_e32 v8, v10, v1
.LBB239_4:
	s_clause 0x1
	s_load_b32 s8, s[0:1], 0x28
	s_load_b128 s[4:7], s[0:1], 0x10
	v_dual_mov_b32 v3, 0 :: v_dual_mov_b32 v2, 0
	v_mov_b32_e32 v1, 0
	s_waitcnt lgkmcnt(0)
	s_cmp_gt_i32 s8, 0
	s_cbranch_scc0 .LBB239_7
; %bb.5:
	v_cmp_lt_f32_e32 vcc_lo, v7, v8
	v_add_nc_u32_e32 v1, 32, v0
	v_dual_mov_b32 v3, 0 :: v_dual_mov_b32 v2, 0
	v_mov_b32_e32 v11, v0
	v_cndmask_b32_e32 v6, v8, v7, vcc_lo
	s_delay_alu instid0(VALU_DEP_4)
	v_dual_cndmask_b32 v4, v1, v0 :: v_dual_cndmask_b32 v5, v0, v1
	v_dual_cndmask_b32 v7, v7, v8 :: v_dual_cndmask_b32 v8, v10, v9
	v_dual_cndmask_b32 v9, v9, v10 :: v_dual_mov_b32 v10, 0
	v_mov_b32_e32 v1, 0
	s_mov_b32 s9, 0x76543210
	s_mov_b32 s10, s8
.LBB239_6:                              ; =>This Inner Loop Header: Depth=1
	s_delay_alu instid0(VALU_DEP_2) | instskip(SKIP_2) | instid1(VALU_DEP_1)
	v_cmp_eq_u32_e32 vcc_lo, 1, v10
	v_cmp_gt_u32_e64 s2, 2, v10
	v_dual_cndmask_b32 v12, v7, v6 :: v_dual_cndmask_b32 v13, v5, v4
	v_cndmask_b32_e64 v12, 0xff800000, v12, s2
	;;#ASMSTART
	v_max_f32 v15, v12, v12 quad_perm:[1,0,3,2] row_mask:0xf bank_mask:0xf bound_ctrl:1
	;;#ASMEND
	;;#ASMSTART
	v_max_f32 v16, v15, v15 quad_perm:[2,3,0,1] row_mask:0xf bank_mask:0xf bound_ctrl:1
	;;#ASMEND
	;;#ASMSTART
	v_max_f32 v15, v16, v16 row_half_mirror row_mask:0xf bank_mask:0xf bound_ctrl:1
	;;#ASMEND
	;;#ASMSTART
	v_max_f32 v16, v15, v15 row_mirror row_mask:0xf bank_mask:0xf bound_ctrl:1
	;;#ASMEND
	v_permlanex16_b32 v15, v16, s9, 0xfedcba98 op_sel:[1,1]
	v_max_f32_e32 v16, v16, v16
	v_cndmask_b32_e64 v14, 0, v13, s2
	s_delay_alu instid0(VALU_DEP_3) | instskip(NEXT) | instid1(VALU_DEP_1)
	v_max_f32_e32 v15, v15, v15
	v_max_f32_e32 v15, v16, v15
	s_delay_alu instid0(VALU_DEP_1) | instskip(SKIP_1) | instid1(VALU_DEP_2)
	v_cmp_eq_f32_e64 s3, v12, v15
	v_cndmask_b32_e32 v12, v9, v8, vcc_lo
	s_ctz_i32_b32 s11, s3
	s_cmp_lg_u32 s3, 0
	s_cselect_b32 s3, s11, 0
	s_add_i32 s10, s10, -1
	v_readlane_b32 s3, v14, s3
	s_delay_alu instid0(VALU_DEP_1)
	v_cmp_eq_u32_e32 vcc_lo, s3, v13
	s_and_b32 vcc_lo, s2, vcc_lo
	s_and_b32 s2, s3, 31
	v_cndmask_b32_e32 v12, 0, v12, vcc_lo
	v_add_co_ci_u32_e32 v10, vcc_lo, 0, v10, vcc_lo
	s_cmp_eq_u32 s10, 0
	s_delay_alu instid0(VALU_DEP_2) | instskip(SKIP_2) | instid1(VALU_DEP_3)
	v_readlane_b32 s11, v12, s2
	v_cmp_eq_u32_e64 s2, 0, v11
	v_add_nc_u32_e32 v11, -1, v11
	v_add_f32_e32 v3, s11, v3
	s_delay_alu instid0(VALU_DEP_3)
	v_cndmask_b32_e64 v2, v2, s11, s2
	v_cndmask_b32_e64 v1, v1, s3, s2
	s_cbranch_scc0 .LBB239_6
.LBB239_7:
	s_mov_b32 s2, exec_lo
	v_cmpx_gt_i32_e64 s8, v0
	s_cbranch_execz .LBB239_9
; %bb.8:
	s_load_b32 s2, s[0:1], 0x30
	v_max_f32_e32 v3, v3, v3
	s_load_b64 s[0:1], s[0:1], 0x20
	s_ashr_i32 s3, s15, 31
	s_delay_alu instid0(VALU_DEP_1) | instskip(SKIP_1) | instid1(VALU_DEP_1)
	v_dual_max_f32 v3, 0x1e3ce508, v3 :: v_dual_lshlrev_b32 v0, 2, v0
	s_waitcnt lgkmcnt(0)
	v_div_scale_f32 v4, null, v3, v3, s2
	v_div_scale_f32 v7, vcc_lo, s2, v3, s2
	s_mul_i32 s1, s15, s1
	s_delay_alu instid0(VALU_DEP_2)
	v_rcp_f32_e32 v5, v4
	s_mul_hi_u32 s8, s15, s0
	s_mul_i32 s3, s3, s0
	s_add_i32 s1, s8, s1
	s_mul_i32 s0, s15, s0
	s_add_i32 s1, s1, s3
	s_delay_alu instid0(SALU_CYCLE_1) | instskip(SKIP_2) | instid1(VALU_DEP_1)
	s_lshl_b64 s[0:1], s[0:1], 2
	s_waitcnt_depctr 0xfff
	v_fma_f32 v6, -v4, v5, 1.0
	v_fmac_f32_e32 v5, v6, v5
	s_delay_alu instid0(VALU_DEP_1) | instskip(NEXT) | instid1(VALU_DEP_1)
	v_mul_f32_e32 v6, v7, v5
	v_fma_f32 v8, -v4, v6, v7
	s_delay_alu instid0(VALU_DEP_1) | instskip(NEXT) | instid1(VALU_DEP_1)
	v_fmac_f32_e32 v6, v8, v5
	v_fma_f32 v4, -v4, v6, v7
	s_delay_alu instid0(VALU_DEP_1) | instskip(NEXT) | instid1(VALU_DEP_1)
	v_div_fmas_f32 v4, v4, v5, v6
	v_div_fixup_f32 v3, v4, v3, s2
	s_add_u32 s2, s4, s0
	s_addc_u32 s3, s5, s1
	s_add_u32 s0, s6, s0
	s_addc_u32 s1, s7, s1
	v_mul_f32_e32 v2, v2, v3
	s_clause 0x1
	global_store_b32 v0, v2, s[2:3]
	global_store_b32 v0, v1, s[0:1]
.LBB239_9:
	s_nop 0
	s_sendmsg sendmsg(MSG_DEALLOC_VGPRS)
	s_endpgm
	.section	.rodata,"a",@progbits
	.p2align	6, 0x0
	.amdhsa_kernel _ZN5aiter24topk_softplus_kernel_optI12hip_bfloat166__halfLi64ELb1ELi1EEEvPKT_PKT0_PfPimiif
		.amdhsa_group_segment_fixed_size 0
		.amdhsa_private_segment_fixed_size 0
		.amdhsa_kernarg_size 52
		.amdhsa_user_sgpr_count 15
		.amdhsa_user_sgpr_dispatch_ptr 0
		.amdhsa_user_sgpr_queue_ptr 0
		.amdhsa_user_sgpr_kernarg_segment_ptr 1
		.amdhsa_user_sgpr_dispatch_id 0
		.amdhsa_user_sgpr_private_segment_size 0
		.amdhsa_wavefront_size32 1
		.amdhsa_uses_dynamic_stack 0
		.amdhsa_enable_private_segment 0
		.amdhsa_system_sgpr_workgroup_id_x 1
		.amdhsa_system_sgpr_workgroup_id_y 0
		.amdhsa_system_sgpr_workgroup_id_z 0
		.amdhsa_system_sgpr_workgroup_info 0
		.amdhsa_system_vgpr_workitem_id 0
		.amdhsa_next_free_vgpr 17
		.amdhsa_next_free_sgpr 16
		.amdhsa_reserve_vcc 1
		.amdhsa_float_round_mode_32 0
		.amdhsa_float_round_mode_16_64 0
		.amdhsa_float_denorm_mode_32 3
		.amdhsa_float_denorm_mode_16_64 3
		.amdhsa_dx10_clamp 1
		.amdhsa_ieee_mode 1
		.amdhsa_fp16_overflow 0
		.amdhsa_workgroup_processor_mode 1
		.amdhsa_memory_ordered 1
		.amdhsa_forward_progress 0
		.amdhsa_shared_vgpr_count 0
		.amdhsa_exception_fp_ieee_invalid_op 0
		.amdhsa_exception_fp_denorm_src 0
		.amdhsa_exception_fp_ieee_div_zero 0
		.amdhsa_exception_fp_ieee_overflow 0
		.amdhsa_exception_fp_ieee_underflow 0
		.amdhsa_exception_fp_ieee_inexact 0
		.amdhsa_exception_int_div_zero 0
	.end_amdhsa_kernel
	.section	.text._ZN5aiter24topk_softplus_kernel_optI12hip_bfloat166__halfLi64ELb1ELi1EEEvPKT_PKT0_PfPimiif,"axG",@progbits,_ZN5aiter24topk_softplus_kernel_optI12hip_bfloat166__halfLi64ELb1ELi1EEEvPKT_PKT0_PfPimiif,comdat
.Lfunc_end239:
	.size	_ZN5aiter24topk_softplus_kernel_optI12hip_bfloat166__halfLi64ELb1ELi1EEEvPKT_PKT0_PfPimiif, .Lfunc_end239-_ZN5aiter24topk_softplus_kernel_optI12hip_bfloat166__halfLi64ELb1ELi1EEEvPKT_PKT0_PfPimiif
                                        ; -- End function
	.section	.AMDGPU.csdata,"",@progbits
; Kernel info:
; codeLenInByte = 956
; NumSgprs: 18
; NumVgprs: 17
; ScratchSize: 0
; MemoryBound: 0
; FloatMode: 240
; IeeeMode: 1
; LDSByteSize: 0 bytes/workgroup (compile time only)
; SGPRBlocks: 2
; VGPRBlocks: 2
; NumSGPRsForWavesPerEU: 18
; NumVGPRsForWavesPerEU: 17
; Occupancy: 16
; WaveLimiterHint : 0
; COMPUTE_PGM_RSRC2:SCRATCH_EN: 0
; COMPUTE_PGM_RSRC2:USER_SGPR: 15
; COMPUTE_PGM_RSRC2:TRAP_HANDLER: 0
; COMPUTE_PGM_RSRC2:TGID_X_EN: 1
; COMPUTE_PGM_RSRC2:TGID_Y_EN: 0
; COMPUTE_PGM_RSRC2:TGID_Z_EN: 0
; COMPUTE_PGM_RSRC2:TIDIG_COMP_CNT: 0
	.section	.text._ZN5aiter24topk_softplus_kernel_optI12hip_bfloat166__halfLi64ELb0ELi1EEEvPKT_PKT0_PfPimiif,"axG",@progbits,_ZN5aiter24topk_softplus_kernel_optI12hip_bfloat166__halfLi64ELb0ELi1EEEvPKT_PKT0_PfPimiif,comdat
	.protected	_ZN5aiter24topk_softplus_kernel_optI12hip_bfloat166__halfLi64ELb0ELi1EEEvPKT_PKT0_PfPimiif ; -- Begin function _ZN5aiter24topk_softplus_kernel_optI12hip_bfloat166__halfLi64ELb0ELi1EEEvPKT_PKT0_PfPimiif
	.globl	_ZN5aiter24topk_softplus_kernel_optI12hip_bfloat166__halfLi64ELb0ELi1EEEvPKT_PKT0_PfPimiif
	.p2align	8
	.type	_ZN5aiter24topk_softplus_kernel_optI12hip_bfloat166__halfLi64ELb0ELi1EEEvPKT_PKT0_PfPimiif,@function
_ZN5aiter24topk_softplus_kernel_optI12hip_bfloat166__halfLi64ELb0ELi1EEEvPKT_PKT0_PfPimiif: ; @_ZN5aiter24topk_softplus_kernel_optI12hip_bfloat166__halfLi64ELb0ELi1EEEvPKT_PKT0_PfPimiif
; %bb.0:
	s_load_b128 s[4:7], s[0:1], 0x0
	s_lshl_b32 s2, s15, 6
	v_lshlrev_b32_e32 v3, 1, v0
	s_ashr_i32 s3, s2, 31
	s_delay_alu instid0(SALU_CYCLE_1)
	s_lshl_b64 s[2:3], s[2:3], 1
	s_waitcnt lgkmcnt(0)
	s_add_u32 s4, s4, s2
	s_addc_u32 s5, s5, s3
	s_cmp_lg_u64 s[6:7], 0
	global_load_u16 v1, v3, s[4:5]
	s_cselect_b32 s2, -1, 0
	s_waitcnt vmcnt(0)
	v_lshlrev_b32_e32 v1, 16, v1
	s_delay_alu instid0(VALU_DEP_1) | instskip(NEXT) | instid1(VALU_DEP_1)
	v_mul_f32_e32 v2, 0xbfb8aa3b, v1
	v_cmp_gt_f32_e32 vcc_lo, 0xc2fc0000, v2
	v_cndmask_b32_e64 v2, 0, 0x42800000, vcc_lo
	s_delay_alu instid0(VALU_DEP_1) | instskip(NEXT) | instid1(VALU_DEP_1)
	v_fmac_f32_e32 v2, 0xbfb8aa3b, v1
	v_exp_f32_e32 v1, v2
	v_cndmask_b32_e64 v2, 1.0, 0x1f800000, vcc_lo
	s_and_b32 vcc_lo, exec_lo, s2
	s_waitcnt_depctr 0xfff
	v_fma_f32 v1, v1, v2, 1.0
	s_delay_alu instid0(VALU_DEP_1) | instskip(SKIP_1) | instid1(VALU_DEP_1)
	v_rcp_f32_e32 v8, v1
	v_add_co_u32 v1, s3, s4, v3
	v_add_co_ci_u32_e64 v2, null, s5, 0, s3
	s_waitcnt_depctr 0xfff
	v_mov_b32_e32 v6, v8
	s_cbranch_vccz .LBB240_2
; %bb.1:
	global_load_u16 v4, v3, s[6:7]
	s_waitcnt vmcnt(0)
	v_cvt_f32_f16_e32 v4, v4
	s_delay_alu instid0(VALU_DEP_1)
	v_add_f32_e32 v6, v8, v4
.LBB240_2:
	global_load_u16 v1, v[1:2], off offset:64
	s_waitcnt vmcnt(0)
	v_lshlrev_b32_e32 v1, 16, v1
	s_delay_alu instid0(VALU_DEP_1) | instskip(NEXT) | instid1(VALU_DEP_1)
	v_mul_f32_e32 v2, 0xbfb8aa3b, v1
	v_cmp_gt_f32_e32 vcc_lo, 0xc2fc0000, v2
	v_cndmask_b32_e64 v2, 0, 0x42800000, vcc_lo
	s_delay_alu instid0(VALU_DEP_1) | instskip(NEXT) | instid1(VALU_DEP_1)
	v_fmac_f32_e32 v2, 0xbfb8aa3b, v1
	v_exp_f32_e32 v1, v2
	v_cndmask_b32_e64 v2, 1.0, 0x1f800000, vcc_lo
	s_and_not1_b32 vcc_lo, exec_lo, s2
	s_waitcnt_depctr 0xfff
	v_fma_f32 v1, v1, v2, 1.0
	s_delay_alu instid0(VALU_DEP_1)
	v_rcp_f32_e32 v2, v1
	s_waitcnt_depctr 0xfff
	v_mov_b32_e32 v7, v2
	s_cbranch_vccnz .LBB240_4
; %bb.3:
	global_load_u16 v1, v3, s[6:7] offset:64
	s_waitcnt vmcnt(0)
	v_cvt_f32_f16_e32 v1, v1
	s_delay_alu instid0(VALU_DEP_1)
	v_add_f32_e32 v7, v2, v1
.LBB240_4:
	s_clause 0x1
	s_load_b32 s8, s[0:1], 0x28
	s_load_b128 s[4:7], s[0:1], 0x10
	v_mov_b32_e32 v1, 0
	s_waitcnt lgkmcnt(0)
	s_cmp_gt_i32 s8, 0
	s_cbranch_scc0 .LBB240_10
; %bb.5:
	v_cmp_lt_f32_e32 vcc_lo, v6, v7
	v_add_nc_u32_e32 v1, 32, v0
	v_dual_mov_b32 v9, 0 :: v_dual_mov_b32 v10, v0
	s_mov_b32 s9, 0x76543210
	v_dual_cndmask_b32 v5, v7, v6 :: v_dual_cndmask_b32 v6, v6, v7
	s_delay_alu instid0(VALU_DEP_3)
	v_dual_cndmask_b32 v3, v1, v0 :: v_dual_cndmask_b32 v4, v0, v1
	v_dual_cndmask_b32 v7, v2, v8 :: v_dual_cndmask_b32 v8, v8, v2
	v_dual_mov_b32 v2, 0 :: v_dual_mov_b32 v1, 0
	s_mov_b32 s10, s8
.LBB240_6:                              ; =>This Inner Loop Header: Depth=1
	v_cmp_eq_u32_e32 vcc_lo, 1, v9
	v_cmp_gt_u32_e64 s2, 2, v9
	v_cndmask_b32_e32 v11, v6, v5, vcc_lo
	s_delay_alu instid0(VALU_DEP_1)
	v_cndmask_b32_e64 v11, 0xff800000, v11, s2
	;;#ASMSTART
	v_max_f32 v12, v11, v11 quad_perm:[1,0,3,2] row_mask:0xf bank_mask:0xf bound_ctrl:1
	;;#ASMEND
	;;#ASMSTART
	v_max_f32 v13, v12, v12 quad_perm:[2,3,0,1] row_mask:0xf bank_mask:0xf bound_ctrl:1
	;;#ASMEND
	;;#ASMSTART
	v_max_f32 v12, v13, v13 row_half_mirror row_mask:0xf bank_mask:0xf bound_ctrl:1
	;;#ASMEND
	;;#ASMSTART
	v_max_f32 v13, v12, v12 row_mirror row_mask:0xf bank_mask:0xf bound_ctrl:1
	;;#ASMEND
	v_permlanex16_b32 v12, v13, s9, 0xfedcba98 op_sel:[1,1]
	s_delay_alu instid0(VALU_DEP_1) | instskip(NEXT) | instid1(VALU_DEP_1)
	v_dual_max_f32 v13, v13, v13 :: v_dual_max_f32 v12, v12, v12
	v_dual_max_f32 v12, v13, v12 :: v_dual_cndmask_b32 v13, v4, v3
	s_delay_alu instid0(VALU_DEP_1) | instskip(NEXT) | instid1(VALU_DEP_2)
	v_cmp_eq_f32_e64 s3, v11, v12
	v_cndmask_b32_e64 v11, 0, v13, s2
	s_delay_alu instid0(VALU_DEP_2)
	s_ctz_i32_b32 s11, s3
	s_cmp_lg_u32 s3, 0
	s_cselect_b32 s3, s11, 0
	s_add_i32 s10, s10, -1
	v_readlane_b32 s3, v11, s3
	v_cndmask_b32_e32 v11, v8, v7, vcc_lo
	s_delay_alu instid0(VALU_DEP_2) | instskip(SKIP_2) | instid1(VALU_DEP_2)
	v_cmp_eq_u32_e32 vcc_lo, s3, v13
	s_and_b32 vcc_lo, s2, vcc_lo
	s_and_b32 s2, s3, 31
	v_cndmask_b32_e32 v11, 0, v11, vcc_lo
	v_add_co_ci_u32_e32 v9, vcc_lo, 0, v9, vcc_lo
	s_cmp_eq_u32 s10, 0
	s_delay_alu instid0(VALU_DEP_2) | instskip(SKIP_2) | instid1(VALU_DEP_2)
	v_readlane_b32 s11, v11, s2
	v_cmp_eq_u32_e64 s2, 0, v10
	v_add_nc_u32_e32 v10, -1, v10
	v_cndmask_b32_e64 v2, v2, s11, s2
	v_cndmask_b32_e64 v1, v1, s3, s2
	s_cbranch_scc0 .LBB240_6
; %bb.7:
	s_mov_b32 s2, exec_lo
	v_cmpx_gt_i32_e64 s8, v0
	s_cbranch_execz .LBB240_9
.LBB240_8:
	s_clause 0x1
	s_load_b64 s[2:3], s[0:1], 0x20
	s_load_b32 s8, s[0:1], 0x30
	s_ashr_i32 s0, s15, 31
	v_lshlrev_b32_e32 v0, 2, v0
	s_waitcnt lgkmcnt(0)
	s_mul_i32 s1, s15, s3
	s_mul_hi_u32 s3, s15, s2
	s_mul_i32 s0, s0, s2
	s_add_i32 s1, s3, s1
	v_mul_f32_e32 v2, s8, v2
	s_add_i32 s1, s1, s0
	s_mul_i32 s0, s15, s2
	s_delay_alu instid0(SALU_CYCLE_1) | instskip(NEXT) | instid1(SALU_CYCLE_1)
	s_lshl_b64 s[0:1], s[0:1], 2
	s_add_u32 s2, s4, s0
	s_addc_u32 s3, s5, s1
	s_add_u32 s0, s6, s0
	s_addc_u32 s1, s7, s1
	s_clause 0x1
	global_store_b32 v0, v2, s[2:3]
	global_store_b32 v0, v1, s[0:1]
.LBB240_9:
	s_nop 0
	s_sendmsg sendmsg(MSG_DEALLOC_VGPRS)
	s_endpgm
.LBB240_10:
	v_mov_b32_e32 v2, 0
	s_mov_b32 s2, exec_lo
	v_cmpx_gt_i32_e64 s8, v0
	s_cbranch_execnz .LBB240_8
	s_branch .LBB240_9
	.section	.rodata,"a",@progbits
	.p2align	6, 0x0
	.amdhsa_kernel _ZN5aiter24topk_softplus_kernel_optI12hip_bfloat166__halfLi64ELb0ELi1EEEvPKT_PKT0_PfPimiif
		.amdhsa_group_segment_fixed_size 0
		.amdhsa_private_segment_fixed_size 0
		.amdhsa_kernarg_size 52
		.amdhsa_user_sgpr_count 15
		.amdhsa_user_sgpr_dispatch_ptr 0
		.amdhsa_user_sgpr_queue_ptr 0
		.amdhsa_user_sgpr_kernarg_segment_ptr 1
		.amdhsa_user_sgpr_dispatch_id 0
		.amdhsa_user_sgpr_private_segment_size 0
		.amdhsa_wavefront_size32 1
		.amdhsa_uses_dynamic_stack 0
		.amdhsa_enable_private_segment 0
		.amdhsa_system_sgpr_workgroup_id_x 1
		.amdhsa_system_sgpr_workgroup_id_y 0
		.amdhsa_system_sgpr_workgroup_id_z 0
		.amdhsa_system_sgpr_workgroup_info 0
		.amdhsa_system_vgpr_workitem_id 0
		.amdhsa_next_free_vgpr 14
		.amdhsa_next_free_sgpr 16
		.amdhsa_reserve_vcc 1
		.amdhsa_float_round_mode_32 0
		.amdhsa_float_round_mode_16_64 0
		.amdhsa_float_denorm_mode_32 3
		.amdhsa_float_denorm_mode_16_64 3
		.amdhsa_dx10_clamp 1
		.amdhsa_ieee_mode 1
		.amdhsa_fp16_overflow 0
		.amdhsa_workgroup_processor_mode 1
		.amdhsa_memory_ordered 1
		.amdhsa_forward_progress 0
		.amdhsa_shared_vgpr_count 0
		.amdhsa_exception_fp_ieee_invalid_op 0
		.amdhsa_exception_fp_denorm_src 0
		.amdhsa_exception_fp_ieee_div_zero 0
		.amdhsa_exception_fp_ieee_overflow 0
		.amdhsa_exception_fp_ieee_underflow 0
		.amdhsa_exception_fp_ieee_inexact 0
		.amdhsa_exception_int_div_zero 0
	.end_amdhsa_kernel
	.section	.text._ZN5aiter24topk_softplus_kernel_optI12hip_bfloat166__halfLi64ELb0ELi1EEEvPKT_PKT0_PfPimiif,"axG",@progbits,_ZN5aiter24topk_softplus_kernel_optI12hip_bfloat166__halfLi64ELb0ELi1EEEvPKT_PKT0_PfPimiif,comdat
.Lfunc_end240:
	.size	_ZN5aiter24topk_softplus_kernel_optI12hip_bfloat166__halfLi64ELb0ELi1EEEvPKT_PKT0_PfPimiif, .Lfunc_end240-_ZN5aiter24topk_softplus_kernel_optI12hip_bfloat166__halfLi64ELb0ELi1EEEvPKT_PKT0_PfPimiif
                                        ; -- End function
	.section	.AMDGPU.csdata,"",@progbits
; Kernel info:
; codeLenInByte = 860
; NumSgprs: 18
; NumVgprs: 14
; ScratchSize: 0
; MemoryBound: 0
; FloatMode: 240
; IeeeMode: 1
; LDSByteSize: 0 bytes/workgroup (compile time only)
; SGPRBlocks: 2
; VGPRBlocks: 1
; NumSGPRsForWavesPerEU: 18
; NumVGPRsForWavesPerEU: 14
; Occupancy: 16
; WaveLimiterHint : 0
; COMPUTE_PGM_RSRC2:SCRATCH_EN: 0
; COMPUTE_PGM_RSRC2:USER_SGPR: 15
; COMPUTE_PGM_RSRC2:TRAP_HANDLER: 0
; COMPUTE_PGM_RSRC2:TGID_X_EN: 1
; COMPUTE_PGM_RSRC2:TGID_Y_EN: 0
; COMPUTE_PGM_RSRC2:TGID_Z_EN: 0
; COMPUTE_PGM_RSRC2:TIDIG_COMP_CNT: 0
	.section	.text._ZN5aiter24topk_softplus_kernel_optI12hip_bfloat166__halfLi128ELb1ELi1EEEvPKT_PKT0_PfPimiif,"axG",@progbits,_ZN5aiter24topk_softplus_kernel_optI12hip_bfloat166__halfLi128ELb1ELi1EEEvPKT_PKT0_PfPimiif,comdat
	.protected	_ZN5aiter24topk_softplus_kernel_optI12hip_bfloat166__halfLi128ELb1ELi1EEEvPKT_PKT0_PfPimiif ; -- Begin function _ZN5aiter24topk_softplus_kernel_optI12hip_bfloat166__halfLi128ELb1ELi1EEEvPKT_PKT0_PfPimiif
	.globl	_ZN5aiter24topk_softplus_kernel_optI12hip_bfloat166__halfLi128ELb1ELi1EEEvPKT_PKT0_PfPimiif
	.p2align	8
	.type	_ZN5aiter24topk_softplus_kernel_optI12hip_bfloat166__halfLi128ELb1ELi1EEEvPKT_PKT0_PfPimiif,@function
_ZN5aiter24topk_softplus_kernel_optI12hip_bfloat166__halfLi128ELb1ELi1EEEvPKT_PKT0_PfPimiif: ; @_ZN5aiter24topk_softplus_kernel_optI12hip_bfloat166__halfLi128ELb1ELi1EEEvPKT_PKT0_PfPimiif
; %bb.0:
	s_load_b128 s[4:7], s[0:1], 0x0
	s_lshl_b32 s2, s15, 7
	v_lshlrev_b32_e32 v3, 1, v0
	s_ashr_i32 s3, s2, 31
	s_delay_alu instid0(SALU_CYCLE_1)
	s_lshl_b64 s[2:3], s[2:3], 1
	s_waitcnt lgkmcnt(0)
	s_add_u32 s4, s4, s2
	s_addc_u32 s5, s5, s3
	s_cmp_lg_u64 s[6:7], 0
	global_load_u16 v1, v3, s[4:5]
	s_cselect_b32 s2, -1, 0
	s_waitcnt vmcnt(0)
	v_lshlrev_b32_e32 v1, 16, v1
	s_delay_alu instid0(VALU_DEP_1) | instskip(NEXT) | instid1(VALU_DEP_1)
	v_mul_f32_e32 v2, 0xbfb8aa3b, v1
	v_cmp_gt_f32_e32 vcc_lo, 0xc2fc0000, v2
	v_cndmask_b32_e64 v2, 0, 0x42800000, vcc_lo
	s_delay_alu instid0(VALU_DEP_1) | instskip(NEXT) | instid1(VALU_DEP_1)
	v_fmac_f32_e32 v2, 0xbfb8aa3b, v1
	v_exp_f32_e32 v1, v2
	v_cndmask_b32_e64 v2, 1.0, 0x1f800000, vcc_lo
	s_and_b32 vcc_lo, exec_lo, s2
	s_waitcnt_depctr 0xfff
	v_fma_f32 v1, v1, v2, 1.0
	s_delay_alu instid0(VALU_DEP_1) | instskip(SKIP_1) | instid1(VALU_DEP_1)
	v_rcp_f32_e32 v5, v1
	v_add_co_u32 v1, s3, s4, v3
	v_add_co_ci_u32_e64 v2, null, s5, 0, s3
	s_waitcnt_depctr 0xfff
	v_mov_b32_e32 v10, v5
	s_cbranch_vccz .LBB241_2
; %bb.1:
	global_load_u16 v4, v3, s[6:7]
	s_waitcnt vmcnt(0)
	v_cvt_f32_f16_e32 v4, v4
	s_delay_alu instid0(VALU_DEP_1)
	v_add_f32_e32 v10, v5, v4
.LBB241_2:
	global_load_u16 v4, v[1:2], off offset:64
	v_cndmask_b32_e64 v7, 0, 1, s2
	s_waitcnt vmcnt(0)
	v_lshlrev_b32_e32 v4, 16, v4
	s_delay_alu instid0(VALU_DEP_1) | instskip(NEXT) | instid1(VALU_DEP_1)
	v_mul_f32_e32 v6, 0xbfb8aa3b, v4
	v_cmp_gt_f32_e32 vcc_lo, 0xc2fc0000, v6
	v_cndmask_b32_e64 v6, 0, 0x42800000, vcc_lo
	s_delay_alu instid0(VALU_DEP_1) | instskip(NEXT) | instid1(VALU_DEP_1)
	v_fmac_f32_e32 v6, 0xbfb8aa3b, v4
	v_exp_f32_e32 v4, v6
	v_cndmask_b32_e64 v6, 1.0, 0x1f800000, vcc_lo
	s_and_not1_b32 vcc_lo, exec_lo, s2
	s_waitcnt_depctr 0xfff
	v_fma_f32 v4, v4, v6, 1.0
	s_delay_alu instid0(VALU_DEP_1)
	v_rcp_f32_e32 v8, v4
	s_waitcnt_depctr 0xfff
	v_mov_b32_e32 v11, v8
	s_cbranch_vccnz .LBB241_4
; %bb.3:
	global_load_u16 v4, v3, s[6:7] offset:64
	s_waitcnt vmcnt(0)
	v_cvt_f32_f16_e32 v4, v4
	s_delay_alu instid0(VALU_DEP_1)
	v_add_f32_e32 v11, v8, v4
.LBB241_4:
	global_load_u16 v4, v[1:2], off offset:128
	s_waitcnt vmcnt(0)
	v_lshlrev_b32_e32 v4, 16, v4
	s_delay_alu instid0(VALU_DEP_1) | instskip(NEXT) | instid1(VALU_DEP_1)
	v_mul_f32_e32 v6, 0xbfb8aa3b, v4
	v_cmp_gt_f32_e32 vcc_lo, 0xc2fc0000, v6
	v_cndmask_b32_e64 v6, 0, 0x42800000, vcc_lo
	s_delay_alu instid0(VALU_DEP_1) | instskip(NEXT) | instid1(VALU_DEP_1)
	v_fmac_f32_e32 v6, 0xbfb8aa3b, v4
	v_exp_f32_e32 v4, v6
	v_cndmask_b32_e64 v6, 1.0, 0x1f800000, vcc_lo
	v_cmp_ne_u32_e32 vcc_lo, 1, v7
	s_waitcnt_depctr 0xfff
	v_fma_f32 v4, v4, v6, 1.0
	s_delay_alu instid0(VALU_DEP_1)
	v_rcp_f32_e32 v4, v4
	s_waitcnt_depctr 0xfff
	v_mov_b32_e32 v6, v4
	s_cbranch_vccnz .LBB241_6
; %bb.5:
	global_load_u16 v6, v3, s[6:7] offset:128
	s_waitcnt vmcnt(0)
	v_cvt_f32_f16_e32 v6, v6
	s_delay_alu instid0(VALU_DEP_1)
	v_add_f32_e32 v6, v4, v6
.LBB241_6:
	global_load_u16 v1, v[1:2], off offset:192
	s_waitcnt vmcnt(0)
	v_lshlrev_b32_e32 v1, 16, v1
	s_delay_alu instid0(VALU_DEP_1) | instskip(NEXT) | instid1(VALU_DEP_1)
	v_mul_f32_e32 v2, 0xbfb8aa3b, v1
	v_cmp_gt_f32_e32 vcc_lo, 0xc2fc0000, v2
	v_cndmask_b32_e64 v2, 0, 0x42800000, vcc_lo
	s_delay_alu instid0(VALU_DEP_1) | instskip(NEXT) | instid1(VALU_DEP_1)
	v_fmac_f32_e32 v2, 0xbfb8aa3b, v1
	v_exp_f32_e32 v1, v2
	v_cndmask_b32_e64 v2, 1.0, 0x1f800000, vcc_lo
	v_cmp_ne_u32_e32 vcc_lo, 1, v7
	s_waitcnt_depctr 0xfff
	v_fma_f32 v1, v1, v2, 1.0
	s_delay_alu instid0(VALU_DEP_1)
	v_rcp_f32_e32 v1, v1
	s_waitcnt_depctr 0xfff
	v_mov_b32_e32 v2, v1
	s_cbranch_vccnz .LBB241_8
; %bb.7:
	global_load_u16 v2, v3, s[6:7] offset:192
	s_waitcnt vmcnt(0)
	v_cvt_f32_f16_e32 v2, v2
	s_delay_alu instid0(VALU_DEP_1)
	v_add_f32_e32 v2, v1, v2
.LBB241_8:
	v_cmp_lt_f32_e32 vcc_lo, v10, v11
	v_add_nc_u32_e32 v12, 32, v0
	v_add_nc_u32_e32 v14, 64, v0
	;; [unrolled: 1-line block ×3, first 2 shown]
	s_mov_b32 s2, exec_lo
	v_cndmask_b32_e32 v7, v8, v5, vcc_lo
	v_cndmask_b32_e32 v5, v5, v8, vcc_lo
	v_cndmask_b32_e32 v9, v12, v0, vcc_lo
	v_dual_cndmask_b32 v13, v0, v12 :: v_dual_cndmask_b32 v8, v11, v10
	v_cndmask_b32_e32 v10, v10, v11, vcc_lo
	v_mov_b32_e32 v11, v6
	v_cmpx_lt_f32_e32 v6, v2
	s_xor_b32 s2, exec_lo, s2
; %bb.9:
	v_mov_b32_e32 v15, v6
	v_dual_mov_b32 v11, v4 :: v_dual_mov_b32 v12, v14
	v_swap_b32 v4, v1
	v_swap_b32 v14, v3
	v_mov_b32_e32 v6, v2
	v_dual_mov_b32 v11, v2 :: v_dual_mov_b32 v2, v15
; %bb.10:
	s_or_b32 exec_lo, exec_lo, s2
	s_delay_alu instid0(VALU_DEP_2)
	v_cmp_lt_f32_e32 vcc_lo, v10, v6
	s_mov_b32 s2, exec_lo
	v_dual_cndmask_b32 v15, v4, v5 :: v_dual_cndmask_b32 v4, v5, v4
	v_dual_cndmask_b32 v12, v14, v13 :: v_dual_cndmask_b32 v5, v13, v14
	v_dual_cndmask_b32 v13, v11, v10 :: v_dual_mov_b32 v14, v8
	v_cndmask_b32_e32 v6, v10, v6, vcc_lo
	v_cmpx_lt_f32_e32 v8, v2
; %bb.11:
	v_mov_b32_e32 v16, v8
	v_dual_mov_b32 v10, v7 :: v_dual_mov_b32 v11, v9
	v_swap_b32 v7, v1
	v_swap_b32 v9, v3
	v_mov_b32_e32 v8, v2
	v_mov_b32_e32 v14, v2
	;; [unrolled: 1-line block ×3, first 2 shown]
; %bb.12:
	s_or_b32 exec_lo, exec_lo, s2
	s_clause 0x1
	s_load_b32 s8, s[0:1], 0x28
	s_load_b128 s[4:7], s[0:1], 0x10
	v_mov_b32_e32 v10, 0
	s_waitcnt lgkmcnt(0)
	s_cmp_lt_i32 s8, 1
	s_cbranch_scc1 .LBB241_18
; %bb.13:
	v_cmp_lt_f32_e32 vcc_lo, v8, v13
	v_mov_b32_e32 v17, v0
	s_mov_b32 s9, 0x76543210
	s_mov_b32 s10, s8
	v_dual_mov_b32 v10, 0 :: v_dual_cndmask_b32 v11, v12, v9
	v_cndmask_b32_e32 v9, v9, v12, vcc_lo
	v_dual_cndmask_b32 v12, v13, v8 :: v_dual_cndmask_b32 v13, v14, v13
	v_cndmask_b32_e32 v14, v15, v7, vcc_lo
	v_dual_cndmask_b32 v15, v7, v15 :: v_dual_mov_b32 v16, 0
	v_dual_mov_b32 v7, 0 :: v_dual_mov_b32 v8, 0
.LBB241_14:                             ; =>This Inner Loop Header: Depth=1
	s_delay_alu instid0(VALU_DEP_2) | instskip(SKIP_1) | instid1(VALU_DEP_4)
	v_cmp_eq_u32_e32 vcc_lo, 1, v16
	v_cmp_eq_u32_e64 s2, 2, v16
	v_dual_cndmask_b32 v19, v5, v9 :: v_dual_cndmask_b32 v20, v4, v15
	s_delay_alu instid0(VALU_DEP_1) | instskip(SKIP_2) | instid1(VALU_DEP_4)
	v_cndmask_b32_e64 v19, v19, v11, s2
	v_cndmask_b32_e32 v18, v6, v13, vcc_lo
	v_cmp_eq_u32_e32 vcc_lo, 3, v16
	v_cndmask_b32_e64 v20, v20, v14, s2
	s_delay_alu instid0(VALU_DEP_4) | instskip(NEXT) | instid1(VALU_DEP_4)
	v_cndmask_b32_e32 v19, v19, v3, vcc_lo
	v_cndmask_b32_e64 v18, v18, v12, s2
	v_cmp_gt_u32_e64 s2, 4, v16
	s_delay_alu instid0(VALU_DEP_2) | instskip(NEXT) | instid1(VALU_DEP_2)
	v_cndmask_b32_e32 v18, v18, v2, vcc_lo
	v_cndmask_b32_e64 v21, 0, v19, s2
	s_delay_alu instid0(VALU_DEP_2)
	v_cndmask_b32_e64 v18, 0xff800000, v18, s2
	;;#ASMSTART
	v_max_f32 v22, v18, v18 quad_perm:[1,0,3,2] row_mask:0xf bank_mask:0xf bound_ctrl:1
	;;#ASMEND
	;;#ASMSTART
	v_max_f32 v23, v22, v22 quad_perm:[2,3,0,1] row_mask:0xf bank_mask:0xf bound_ctrl:1
	;;#ASMEND
	;;#ASMSTART
	v_max_f32 v22, v23, v23 row_half_mirror row_mask:0xf bank_mask:0xf bound_ctrl:1
	;;#ASMEND
	;;#ASMSTART
	v_max_f32 v23, v22, v22 row_mirror row_mask:0xf bank_mask:0xf bound_ctrl:1
	;;#ASMEND
	v_permlanex16_b32 v22, v23, s9, 0xfedcba98 op_sel:[1,1]
	s_delay_alu instid0(VALU_DEP_1) | instskip(NEXT) | instid1(VALU_DEP_1)
	v_dual_max_f32 v23, v23, v23 :: v_dual_max_f32 v22, v22, v22
	v_max_f32_e32 v22, v23, v22
	s_delay_alu instid0(VALU_DEP_1) | instskip(SKIP_1) | instid1(VALU_DEP_2)
	v_cmp_eq_f32_e64 s3, v18, v22
	v_cndmask_b32_e32 v18, v20, v1, vcc_lo
	s_ctz_i32_b32 s11, s3
	s_cmp_lg_u32 s3, 0
	s_cselect_b32 s3, s11, 0
	s_add_i32 s10, s10, -1
	v_readlane_b32 s3, v21, s3
	s_delay_alu instid0(VALU_DEP_1)
	v_cmp_eq_u32_e32 vcc_lo, s3, v19
	s_and_b32 vcc_lo, s2, vcc_lo
	s_and_b32 s2, s3, 31
	v_cndmask_b32_e32 v18, 0, v18, vcc_lo
	v_add_co_ci_u32_e32 v16, vcc_lo, 0, v16, vcc_lo
	s_cmp_eq_u32 s10, 0
	s_delay_alu instid0(VALU_DEP_2) | instskip(SKIP_1) | instid1(VALU_DEP_2)
	v_readlane_b32 s11, v18, s2
	v_cmp_eq_u32_e64 s2, 0, v17
	v_dual_add_f32 v10, s11, v10 :: v_dual_add_nc_u32 v17, -1, v17
	s_delay_alu instid0(VALU_DEP_2)
	v_cndmask_b32_e64 v8, v8, s11, s2
	v_cndmask_b32_e64 v7, v7, s3, s2
	s_cbranch_scc0 .LBB241_14
; %bb.15:
	s_mov_b32 s2, exec_lo
	v_cmpx_gt_i32_e64 s8, v0
	s_cbranch_execz .LBB241_17
.LBB241_16:
	s_load_b32 s2, s[0:1], 0x30
	v_max_f32_e32 v1, v10, v10
	s_load_b64 s[0:1], s[0:1], 0x20
	s_ashr_i32 s3, s15, 31
	s_delay_alu instid0(VALU_DEP_1) | instskip(SKIP_1) | instid1(VALU_DEP_1)
	v_dual_max_f32 v1, 0x1e3ce508, v1 :: v_dual_lshlrev_b32 v0, 2, v0
	s_waitcnt lgkmcnt(0)
	v_div_scale_f32 v2, null, v1, v1, s2
	v_div_scale_f32 v5, vcc_lo, s2, v1, s2
	s_mul_i32 s1, s15, s1
	s_delay_alu instid0(VALU_DEP_2)
	v_rcp_f32_e32 v3, v2
	s_mul_hi_u32 s8, s15, s0
	s_mul_i32 s3, s3, s0
	s_add_i32 s1, s8, s1
	s_mul_i32 s0, s15, s0
	s_add_i32 s1, s1, s3
	s_delay_alu instid0(SALU_CYCLE_1) | instskip(SKIP_2) | instid1(VALU_DEP_1)
	s_lshl_b64 s[0:1], s[0:1], 2
	s_waitcnt_depctr 0xfff
	v_fma_f32 v4, -v2, v3, 1.0
	v_fmac_f32_e32 v3, v4, v3
	s_delay_alu instid0(VALU_DEP_1) | instskip(NEXT) | instid1(VALU_DEP_1)
	v_mul_f32_e32 v4, v5, v3
	v_fma_f32 v6, -v2, v4, v5
	s_delay_alu instid0(VALU_DEP_1) | instskip(NEXT) | instid1(VALU_DEP_1)
	v_fmac_f32_e32 v4, v6, v3
	v_fma_f32 v2, -v2, v4, v5
	s_delay_alu instid0(VALU_DEP_1) | instskip(NEXT) | instid1(VALU_DEP_1)
	v_div_fmas_f32 v2, v2, v3, v4
	v_div_fixup_f32 v1, v2, v1, s2
	s_add_u32 s2, s4, s0
	s_addc_u32 s3, s5, s1
	s_add_u32 s0, s6, s0
	s_addc_u32 s1, s7, s1
	v_mul_f32_e32 v1, v8, v1
	s_clause 0x1
	global_store_b32 v0, v1, s[2:3]
	global_store_b32 v0, v7, s[0:1]
.LBB241_17:
	s_nop 0
	s_sendmsg sendmsg(MSG_DEALLOC_VGPRS)
	s_endpgm
.LBB241_18:
	v_dual_mov_b32 v7, 0 :: v_dual_mov_b32 v8, 0
	s_mov_b32 s2, exec_lo
	v_cmpx_gt_i32_e64 s8, v0
	s_cbranch_execnz .LBB241_16
	s_branch .LBB241_17
	.section	.rodata,"a",@progbits
	.p2align	6, 0x0
	.amdhsa_kernel _ZN5aiter24topk_softplus_kernel_optI12hip_bfloat166__halfLi128ELb1ELi1EEEvPKT_PKT0_PfPimiif
		.amdhsa_group_segment_fixed_size 0
		.amdhsa_private_segment_fixed_size 0
		.amdhsa_kernarg_size 52
		.amdhsa_user_sgpr_count 15
		.amdhsa_user_sgpr_dispatch_ptr 0
		.amdhsa_user_sgpr_queue_ptr 0
		.amdhsa_user_sgpr_kernarg_segment_ptr 1
		.amdhsa_user_sgpr_dispatch_id 0
		.amdhsa_user_sgpr_private_segment_size 0
		.amdhsa_wavefront_size32 1
		.amdhsa_uses_dynamic_stack 0
		.amdhsa_enable_private_segment 0
		.amdhsa_system_sgpr_workgroup_id_x 1
		.amdhsa_system_sgpr_workgroup_id_y 0
		.amdhsa_system_sgpr_workgroup_id_z 0
		.amdhsa_system_sgpr_workgroup_info 0
		.amdhsa_system_vgpr_workitem_id 0
		.amdhsa_next_free_vgpr 24
		.amdhsa_next_free_sgpr 16
		.amdhsa_reserve_vcc 1
		.amdhsa_float_round_mode_32 0
		.amdhsa_float_round_mode_16_64 0
		.amdhsa_float_denorm_mode_32 3
		.amdhsa_float_denorm_mode_16_64 3
		.amdhsa_dx10_clamp 1
		.amdhsa_ieee_mode 1
		.amdhsa_fp16_overflow 0
		.amdhsa_workgroup_processor_mode 1
		.amdhsa_memory_ordered 1
		.amdhsa_forward_progress 0
		.amdhsa_shared_vgpr_count 0
		.amdhsa_exception_fp_ieee_invalid_op 0
		.amdhsa_exception_fp_denorm_src 0
		.amdhsa_exception_fp_ieee_div_zero 0
		.amdhsa_exception_fp_ieee_overflow 0
		.amdhsa_exception_fp_ieee_underflow 0
		.amdhsa_exception_fp_ieee_inexact 0
		.amdhsa_exception_int_div_zero 0
	.end_amdhsa_kernel
	.section	.text._ZN5aiter24topk_softplus_kernel_optI12hip_bfloat166__halfLi128ELb1ELi1EEEvPKT_PKT0_PfPimiif,"axG",@progbits,_ZN5aiter24topk_softplus_kernel_optI12hip_bfloat166__halfLi128ELb1ELi1EEEvPKT_PKT0_PfPimiif,comdat
.Lfunc_end241:
	.size	_ZN5aiter24topk_softplus_kernel_optI12hip_bfloat166__halfLi128ELb1ELi1EEEvPKT_PKT0_PfPimiif, .Lfunc_end241-_ZN5aiter24topk_softplus_kernel_optI12hip_bfloat166__halfLi128ELb1ELi1EEEvPKT_PKT0_PfPimiif
                                        ; -- End function
	.section	.AMDGPU.csdata,"",@progbits
; Kernel info:
; codeLenInByte = 1488
; NumSgprs: 18
; NumVgprs: 24
; ScratchSize: 0
; MemoryBound: 0
; FloatMode: 240
; IeeeMode: 1
; LDSByteSize: 0 bytes/workgroup (compile time only)
; SGPRBlocks: 2
; VGPRBlocks: 2
; NumSGPRsForWavesPerEU: 18
; NumVGPRsForWavesPerEU: 24
; Occupancy: 16
; WaveLimiterHint : 0
; COMPUTE_PGM_RSRC2:SCRATCH_EN: 0
; COMPUTE_PGM_RSRC2:USER_SGPR: 15
; COMPUTE_PGM_RSRC2:TRAP_HANDLER: 0
; COMPUTE_PGM_RSRC2:TGID_X_EN: 1
; COMPUTE_PGM_RSRC2:TGID_Y_EN: 0
; COMPUTE_PGM_RSRC2:TGID_Z_EN: 0
; COMPUTE_PGM_RSRC2:TIDIG_COMP_CNT: 0
	.section	.text._ZN5aiter24topk_softplus_kernel_optI12hip_bfloat166__halfLi128ELb0ELi1EEEvPKT_PKT0_PfPimiif,"axG",@progbits,_ZN5aiter24topk_softplus_kernel_optI12hip_bfloat166__halfLi128ELb0ELi1EEEvPKT_PKT0_PfPimiif,comdat
	.protected	_ZN5aiter24topk_softplus_kernel_optI12hip_bfloat166__halfLi128ELb0ELi1EEEvPKT_PKT0_PfPimiif ; -- Begin function _ZN5aiter24topk_softplus_kernel_optI12hip_bfloat166__halfLi128ELb0ELi1EEEvPKT_PKT0_PfPimiif
	.globl	_ZN5aiter24topk_softplus_kernel_optI12hip_bfloat166__halfLi128ELb0ELi1EEEvPKT_PKT0_PfPimiif
	.p2align	8
	.type	_ZN5aiter24topk_softplus_kernel_optI12hip_bfloat166__halfLi128ELb0ELi1EEEvPKT_PKT0_PfPimiif,@function
_ZN5aiter24topk_softplus_kernel_optI12hip_bfloat166__halfLi128ELb0ELi1EEEvPKT_PKT0_PfPimiif: ; @_ZN5aiter24topk_softplus_kernel_optI12hip_bfloat166__halfLi128ELb0ELi1EEEvPKT_PKT0_PfPimiif
; %bb.0:
	s_load_b128 s[4:7], s[0:1], 0x0
	s_lshl_b32 s2, s15, 7
	v_lshlrev_b32_e32 v3, 1, v0
	s_ashr_i32 s3, s2, 31
	s_delay_alu instid0(SALU_CYCLE_1)
	s_lshl_b64 s[2:3], s[2:3], 1
	s_waitcnt lgkmcnt(0)
	s_add_u32 s4, s4, s2
	s_addc_u32 s5, s5, s3
	s_cmp_lg_u64 s[6:7], 0
	global_load_u16 v1, v3, s[4:5]
	s_cselect_b32 s2, -1, 0
	s_waitcnt vmcnt(0)
	v_lshlrev_b32_e32 v1, 16, v1
	s_delay_alu instid0(VALU_DEP_1) | instskip(NEXT) | instid1(VALU_DEP_1)
	v_mul_f32_e32 v2, 0xbfb8aa3b, v1
	v_cmp_gt_f32_e32 vcc_lo, 0xc2fc0000, v2
	v_cndmask_b32_e64 v2, 0, 0x42800000, vcc_lo
	s_delay_alu instid0(VALU_DEP_1) | instskip(NEXT) | instid1(VALU_DEP_1)
	v_fmac_f32_e32 v2, 0xbfb8aa3b, v1
	v_exp_f32_e32 v1, v2
	v_cndmask_b32_e64 v2, 1.0, 0x1f800000, vcc_lo
	s_and_b32 vcc_lo, exec_lo, s2
	s_waitcnt_depctr 0xfff
	v_fma_f32 v1, v1, v2, 1.0
	s_delay_alu instid0(VALU_DEP_1) | instskip(SKIP_1) | instid1(VALU_DEP_1)
	v_rcp_f32_e32 v5, v1
	v_add_co_u32 v1, s3, s4, v3
	v_add_co_ci_u32_e64 v2, null, s5, 0, s3
	s_waitcnt_depctr 0xfff
	v_mov_b32_e32 v10, v5
	s_cbranch_vccz .LBB242_2
; %bb.1:
	global_load_u16 v4, v3, s[6:7]
	s_waitcnt vmcnt(0)
	v_cvt_f32_f16_e32 v4, v4
	s_delay_alu instid0(VALU_DEP_1)
	v_add_f32_e32 v10, v5, v4
.LBB242_2:
	global_load_u16 v4, v[1:2], off offset:64
	v_cndmask_b32_e64 v7, 0, 1, s2
	s_waitcnt vmcnt(0)
	v_lshlrev_b32_e32 v4, 16, v4
	s_delay_alu instid0(VALU_DEP_1) | instskip(NEXT) | instid1(VALU_DEP_1)
	v_mul_f32_e32 v6, 0xbfb8aa3b, v4
	v_cmp_gt_f32_e32 vcc_lo, 0xc2fc0000, v6
	v_cndmask_b32_e64 v6, 0, 0x42800000, vcc_lo
	s_delay_alu instid0(VALU_DEP_1) | instskip(NEXT) | instid1(VALU_DEP_1)
	v_fmac_f32_e32 v6, 0xbfb8aa3b, v4
	v_exp_f32_e32 v4, v6
	v_cndmask_b32_e64 v6, 1.0, 0x1f800000, vcc_lo
	s_and_not1_b32 vcc_lo, exec_lo, s2
	s_waitcnt_depctr 0xfff
	v_fma_f32 v4, v4, v6, 1.0
	s_delay_alu instid0(VALU_DEP_1)
	v_rcp_f32_e32 v8, v4
	s_waitcnt_depctr 0xfff
	v_mov_b32_e32 v11, v8
	s_cbranch_vccnz .LBB242_4
; %bb.3:
	global_load_u16 v4, v3, s[6:7] offset:64
	s_waitcnt vmcnt(0)
	v_cvt_f32_f16_e32 v4, v4
	s_delay_alu instid0(VALU_DEP_1)
	v_add_f32_e32 v11, v8, v4
.LBB242_4:
	global_load_u16 v4, v[1:2], off offset:128
	s_waitcnt vmcnt(0)
	v_lshlrev_b32_e32 v4, 16, v4
	s_delay_alu instid0(VALU_DEP_1) | instskip(NEXT) | instid1(VALU_DEP_1)
	v_mul_f32_e32 v6, 0xbfb8aa3b, v4
	v_cmp_gt_f32_e32 vcc_lo, 0xc2fc0000, v6
	v_cndmask_b32_e64 v6, 0, 0x42800000, vcc_lo
	s_delay_alu instid0(VALU_DEP_1) | instskip(NEXT) | instid1(VALU_DEP_1)
	v_fmac_f32_e32 v6, 0xbfb8aa3b, v4
	v_exp_f32_e32 v4, v6
	v_cndmask_b32_e64 v6, 1.0, 0x1f800000, vcc_lo
	v_cmp_ne_u32_e32 vcc_lo, 1, v7
	s_waitcnt_depctr 0xfff
	v_fma_f32 v4, v4, v6, 1.0
	s_delay_alu instid0(VALU_DEP_1)
	v_rcp_f32_e32 v4, v4
	s_waitcnt_depctr 0xfff
	v_mov_b32_e32 v6, v4
	s_cbranch_vccnz .LBB242_6
; %bb.5:
	global_load_u16 v6, v3, s[6:7] offset:128
	s_waitcnt vmcnt(0)
	v_cvt_f32_f16_e32 v6, v6
	s_delay_alu instid0(VALU_DEP_1)
	v_add_f32_e32 v6, v4, v6
.LBB242_6:
	global_load_u16 v1, v[1:2], off offset:192
	s_waitcnt vmcnt(0)
	v_lshlrev_b32_e32 v1, 16, v1
	s_delay_alu instid0(VALU_DEP_1) | instskip(NEXT) | instid1(VALU_DEP_1)
	v_mul_f32_e32 v2, 0xbfb8aa3b, v1
	v_cmp_gt_f32_e32 vcc_lo, 0xc2fc0000, v2
	v_cndmask_b32_e64 v2, 0, 0x42800000, vcc_lo
	s_delay_alu instid0(VALU_DEP_1) | instskip(NEXT) | instid1(VALU_DEP_1)
	v_fmac_f32_e32 v2, 0xbfb8aa3b, v1
	v_exp_f32_e32 v1, v2
	v_cndmask_b32_e64 v2, 1.0, 0x1f800000, vcc_lo
	v_cmp_ne_u32_e32 vcc_lo, 1, v7
	s_waitcnt_depctr 0xfff
	v_fma_f32 v1, v1, v2, 1.0
	s_delay_alu instid0(VALU_DEP_1)
	v_rcp_f32_e32 v1, v1
	s_waitcnt_depctr 0xfff
	v_mov_b32_e32 v2, v1
	s_cbranch_vccnz .LBB242_8
; %bb.7:
	global_load_u16 v2, v3, s[6:7] offset:192
	s_waitcnt vmcnt(0)
	v_cvt_f32_f16_e32 v2, v2
	s_delay_alu instid0(VALU_DEP_1)
	v_add_f32_e32 v2, v1, v2
.LBB242_8:
	v_cmp_lt_f32_e32 vcc_lo, v10, v11
	v_add_nc_u32_e32 v12, 32, v0
	v_add_nc_u32_e32 v13, 64, v0
	;; [unrolled: 1-line block ×3, first 2 shown]
	s_mov_b32 s2, exec_lo
	v_cndmask_b32_e32 v7, v8, v5, vcc_lo
	v_cndmask_b32_e32 v5, v5, v8, vcc_lo
	;; [unrolled: 1-line block ×3, first 2 shown]
	v_dual_cndmask_b32 v12, v0, v12 :: v_dual_mov_b32 v15, v6
	v_cndmask_b32_e32 v8, v11, v10, vcc_lo
	v_cndmask_b32_e32 v10, v10, v11, vcc_lo
	v_cmpx_lt_f32_e32 v6, v2
	s_xor_b32 s2, exec_lo, s2
; %bb.9:
	v_dual_mov_b32 v16, v6 :: v_dual_mov_b32 v11, v4
	v_mov_b32_e32 v14, v13
	v_swap_b32 v4, v1
	v_swap_b32 v13, v3
	v_mov_b32_e32 v6, v2
	v_dual_mov_b32 v15, v2 :: v_dual_mov_b32 v2, v16
; %bb.10:
	s_or_b32 exec_lo, exec_lo, s2
	s_delay_alu instid0(VALU_DEP_2)
	v_cmp_lt_f32_e32 vcc_lo, v10, v6
	s_mov_b32 s2, exec_lo
	v_dual_cndmask_b32 v14, v4, v5 :: v_dual_cndmask_b32 v11, v13, v12
	v_dual_cndmask_b32 v4, v5, v4 :: v_dual_cndmask_b32 v5, v12, v13
	v_dual_cndmask_b32 v12, v15, v10 :: v_dual_mov_b32 v13, v8
	v_cndmask_b32_e32 v6, v10, v6, vcc_lo
	v_cmpx_lt_f32_e32 v8, v2
; %bb.11:
	v_dual_mov_b32 v15, v8 :: v_dual_mov_b32 v8, v2
	v_dual_mov_b32 v10, v7 :: v_dual_mov_b32 v13, v9
	v_swap_b32 v7, v1
	v_swap_b32 v9, v3
	s_delay_alu instid0(VALU_DEP_4)
	v_dual_mov_b32 v13, v2 :: v_dual_mov_b32 v2, v15
; %bb.12:
	s_or_b32 exec_lo, exec_lo, s2
	s_clause 0x1
	s_load_b32 s8, s[0:1], 0x28
	s_load_b128 s[4:7], s[0:1], 0x10
	s_waitcnt lgkmcnt(0)
	s_cmp_lt_i32 s8, 1
	s_cbranch_scc1 .LBB242_18
; %bb.13:
	v_cmp_lt_f32_e32 vcc_lo, v8, v12
	v_dual_mov_b32 v15, 0 :: v_dual_mov_b32 v16, v0
	s_mov_b32 s9, 0x76543210
	s_mov_b32 s10, s8
	v_dual_cndmask_b32 v10, v11, v9 :: v_dual_cndmask_b32 v9, v9, v11
	v_cndmask_b32_e32 v11, v12, v8, vcc_lo
	v_dual_cndmask_b32 v12, v13, v12 :: v_dual_cndmask_b32 v13, v14, v7
	v_cndmask_b32_e32 v14, v7, v14, vcc_lo
	v_dual_mov_b32 v8, 0 :: v_dual_mov_b32 v7, 0
.LBB242_14:                             ; =>This Inner Loop Header: Depth=1
	v_cmp_eq_u32_e32 vcc_lo, 1, v15
	v_cmp_eq_u32_e64 s2, 2, v15
	v_cmp_gt_u32_e64 s3, 4, v15
	v_dual_cndmask_b32 v17, v6, v12 :: v_dual_cndmask_b32 v18, v5, v9
	v_cndmask_b32_e32 v19, v4, v14, vcc_lo
	v_cmp_eq_u32_e32 vcc_lo, 3, v15
	s_delay_alu instid0(VALU_DEP_3) | instskip(NEXT) | instid1(VALU_DEP_4)
	v_cndmask_b32_e64 v17, v17, v11, s2
	v_cndmask_b32_e64 v18, v18, v10, s2
	s_delay_alu instid0(VALU_DEP_1) | instskip(NEXT) | instid1(VALU_DEP_1)
	v_dual_cndmask_b32 v17, v17, v2 :: v_dual_cndmask_b32 v18, v18, v3
	v_cndmask_b32_e64 v17, 0xff800000, v17, s3
	;;#ASMSTART
	v_max_f32 v20, v17, v17 quad_perm:[1,0,3,2] row_mask:0xf bank_mask:0xf bound_ctrl:1
	;;#ASMEND
	;;#ASMSTART
	v_max_f32 v21, v20, v20 quad_perm:[2,3,0,1] row_mask:0xf bank_mask:0xf bound_ctrl:1
	;;#ASMEND
	;;#ASMSTART
	v_max_f32 v20, v21, v21 row_half_mirror row_mask:0xf bank_mask:0xf bound_ctrl:1
	;;#ASMEND
	;;#ASMSTART
	v_max_f32 v21, v20, v20 row_mirror row_mask:0xf bank_mask:0xf bound_ctrl:1
	;;#ASMEND
	v_permlanex16_b32 v20, v21, s9, 0xfedcba98 op_sel:[1,1]
	s_delay_alu instid0(VALU_DEP_1) | instskip(NEXT) | instid1(VALU_DEP_1)
	v_dual_max_f32 v21, v21, v21 :: v_dual_max_f32 v20, v20, v20
	v_max_f32_e32 v20, v21, v20
	v_cndmask_b32_e64 v19, v19, v13, s2
	s_delay_alu instid0(VALU_DEP_2) | instskip(SKIP_1) | instid1(VALU_DEP_2)
	v_cmp_eq_f32_e64 s2, v17, v20
	v_cndmask_b32_e64 v17, 0, v18, s3
	s_ctz_i32_b32 s11, s2
	s_cmp_lg_u32 s2, 0
	s_cselect_b32 s2, s11, 0
	s_add_i32 s10, s10, -1
	v_readlane_b32 s11, v17, s2
	v_cndmask_b32_e32 v17, v19, v1, vcc_lo
	s_delay_alu instid0(VALU_DEP_2)
	v_cmp_eq_u32_e32 vcc_lo, s11, v18
	s_and_b32 s2, s11, 31
	s_and_b32 vcc_lo, s3, vcc_lo
	s_cmp_eq_u32 s10, 0
	v_cndmask_b32_e32 v17, 0, v17, vcc_lo
	v_add_co_ci_u32_e32 v15, vcc_lo, 0, v15, vcc_lo
	s_delay_alu instid0(VALU_DEP_2) | instskip(SKIP_2) | instid1(VALU_DEP_2)
	v_readlane_b32 s3, v17, s2
	v_cmp_eq_u32_e64 s2, 0, v16
	v_add_nc_u32_e32 v16, -1, v16
	v_cndmask_b32_e64 v8, v8, s3, s2
	v_cndmask_b32_e64 v7, v7, s11, s2
	s_cbranch_scc0 .LBB242_14
; %bb.15:
	s_mov_b32 s2, exec_lo
	v_cmpx_gt_i32_e64 s8, v0
	s_cbranch_execz .LBB242_17
.LBB242_16:
	s_clause 0x1
	s_load_b64 s[2:3], s[0:1], 0x20
	s_load_b32 s8, s[0:1], 0x30
	s_ashr_i32 s0, s15, 31
	v_lshlrev_b32_e32 v0, 2, v0
	s_waitcnt lgkmcnt(0)
	s_mul_i32 s1, s15, s3
	s_mul_hi_u32 s3, s15, s2
	s_mul_i32 s0, s0, s2
	s_add_i32 s1, s3, s1
	v_mul_f32_e32 v1, s8, v8
	s_add_i32 s1, s1, s0
	s_mul_i32 s0, s15, s2
	s_delay_alu instid0(SALU_CYCLE_1) | instskip(NEXT) | instid1(SALU_CYCLE_1)
	s_lshl_b64 s[0:1], s[0:1], 2
	s_add_u32 s2, s4, s0
	s_addc_u32 s3, s5, s1
	s_add_u32 s0, s6, s0
	s_addc_u32 s1, s7, s1
	s_clause 0x1
	global_store_b32 v0, v1, s[2:3]
	global_store_b32 v0, v7, s[0:1]
.LBB242_17:
	s_nop 0
	s_sendmsg sendmsg(MSG_DEALLOC_VGPRS)
	s_endpgm
.LBB242_18:
	v_dual_mov_b32 v7, 0 :: v_dual_mov_b32 v8, 0
	s_mov_b32 s2, exec_lo
	v_cmpx_gt_i32_e64 s8, v0
	s_cbranch_execnz .LBB242_16
	s_branch .LBB242_17
	.section	.rodata,"a",@progbits
	.p2align	6, 0x0
	.amdhsa_kernel _ZN5aiter24topk_softplus_kernel_optI12hip_bfloat166__halfLi128ELb0ELi1EEEvPKT_PKT0_PfPimiif
		.amdhsa_group_segment_fixed_size 0
		.amdhsa_private_segment_fixed_size 0
		.amdhsa_kernarg_size 52
		.amdhsa_user_sgpr_count 15
		.amdhsa_user_sgpr_dispatch_ptr 0
		.amdhsa_user_sgpr_queue_ptr 0
		.amdhsa_user_sgpr_kernarg_segment_ptr 1
		.amdhsa_user_sgpr_dispatch_id 0
		.amdhsa_user_sgpr_private_segment_size 0
		.amdhsa_wavefront_size32 1
		.amdhsa_uses_dynamic_stack 0
		.amdhsa_enable_private_segment 0
		.amdhsa_system_sgpr_workgroup_id_x 1
		.amdhsa_system_sgpr_workgroup_id_y 0
		.amdhsa_system_sgpr_workgroup_id_z 0
		.amdhsa_system_sgpr_workgroup_info 0
		.amdhsa_system_vgpr_workitem_id 0
		.amdhsa_next_free_vgpr 22
		.amdhsa_next_free_sgpr 16
		.amdhsa_reserve_vcc 1
		.amdhsa_float_round_mode_32 0
		.amdhsa_float_round_mode_16_64 0
		.amdhsa_float_denorm_mode_32 3
		.amdhsa_float_denorm_mode_16_64 3
		.amdhsa_dx10_clamp 1
		.amdhsa_ieee_mode 1
		.amdhsa_fp16_overflow 0
		.amdhsa_workgroup_processor_mode 1
		.amdhsa_memory_ordered 1
		.amdhsa_forward_progress 0
		.amdhsa_shared_vgpr_count 0
		.amdhsa_exception_fp_ieee_invalid_op 0
		.amdhsa_exception_fp_denorm_src 0
		.amdhsa_exception_fp_ieee_div_zero 0
		.amdhsa_exception_fp_ieee_overflow 0
		.amdhsa_exception_fp_ieee_underflow 0
		.amdhsa_exception_fp_ieee_inexact 0
		.amdhsa_exception_int_div_zero 0
	.end_amdhsa_kernel
	.section	.text._ZN5aiter24topk_softplus_kernel_optI12hip_bfloat166__halfLi128ELb0ELi1EEEvPKT_PKT0_PfPimiif,"axG",@progbits,_ZN5aiter24topk_softplus_kernel_optI12hip_bfloat166__halfLi128ELb0ELi1EEEvPKT_PKT0_PfPimiif,comdat
.Lfunc_end242:
	.size	_ZN5aiter24topk_softplus_kernel_optI12hip_bfloat166__halfLi128ELb0ELi1EEEvPKT_PKT0_PfPimiif, .Lfunc_end242-_ZN5aiter24topk_softplus_kernel_optI12hip_bfloat166__halfLi128ELb0ELi1EEEvPKT_PKT0_PfPimiif
                                        ; -- End function
	.section	.AMDGPU.csdata,"",@progbits
; Kernel info:
; codeLenInByte = 1360
; NumSgprs: 18
; NumVgprs: 22
; ScratchSize: 0
; MemoryBound: 0
; FloatMode: 240
; IeeeMode: 1
; LDSByteSize: 0 bytes/workgroup (compile time only)
; SGPRBlocks: 2
; VGPRBlocks: 2
; NumSGPRsForWavesPerEU: 18
; NumVGPRsForWavesPerEU: 22
; Occupancy: 16
; WaveLimiterHint : 0
; COMPUTE_PGM_RSRC2:SCRATCH_EN: 0
; COMPUTE_PGM_RSRC2:USER_SGPR: 15
; COMPUTE_PGM_RSRC2:TRAP_HANDLER: 0
; COMPUTE_PGM_RSRC2:TGID_X_EN: 1
; COMPUTE_PGM_RSRC2:TGID_Y_EN: 0
; COMPUTE_PGM_RSRC2:TGID_Z_EN: 0
; COMPUTE_PGM_RSRC2:TIDIG_COMP_CNT: 0
	.section	.text._ZN5aiter24topk_softplus_kernel_optI12hip_bfloat166__halfLi256ELb1ELi1EEEvPKT_PKT0_PfPimiif,"axG",@progbits,_ZN5aiter24topk_softplus_kernel_optI12hip_bfloat166__halfLi256ELb1ELi1EEEvPKT_PKT0_PfPimiif,comdat
	.protected	_ZN5aiter24topk_softplus_kernel_optI12hip_bfloat166__halfLi256ELb1ELi1EEEvPKT_PKT0_PfPimiif ; -- Begin function _ZN5aiter24topk_softplus_kernel_optI12hip_bfloat166__halfLi256ELb1ELi1EEEvPKT_PKT0_PfPimiif
	.globl	_ZN5aiter24topk_softplus_kernel_optI12hip_bfloat166__halfLi256ELb1ELi1EEEvPKT_PKT0_PfPimiif
	.p2align	8
	.type	_ZN5aiter24topk_softplus_kernel_optI12hip_bfloat166__halfLi256ELb1ELi1EEEvPKT_PKT0_PfPimiif,@function
_ZN5aiter24topk_softplus_kernel_optI12hip_bfloat166__halfLi256ELb1ELi1EEEvPKT_PKT0_PfPimiif: ; @_ZN5aiter24topk_softplus_kernel_optI12hip_bfloat166__halfLi256ELb1ELi1EEEvPKT_PKT0_PfPimiif
; %bb.0:
	s_load_b128 s[4:7], s[0:1], 0x0
	s_lshl_b32 s2, s15, 8
	v_lshlrev_b32_e32 v3, 1, v0
	s_ashr_i32 s3, s2, 31
	s_delay_alu instid0(SALU_CYCLE_1)
	s_lshl_b64 s[2:3], s[2:3], 1
	s_waitcnt lgkmcnt(0)
	s_add_u32 s4, s4, s2
	s_addc_u32 s5, s5, s3
	s_cmp_lg_u64 s[6:7], 0
	global_load_u16 v1, v3, s[4:5]
	s_cselect_b32 s2, -1, 0
	s_waitcnt vmcnt(0)
	v_lshlrev_b32_e32 v1, 16, v1
	s_delay_alu instid0(VALU_DEP_1) | instskip(NEXT) | instid1(VALU_DEP_1)
	v_mul_f32_e32 v2, 0xbfb8aa3b, v1
	v_cmp_gt_f32_e32 vcc_lo, 0xc2fc0000, v2
	v_cndmask_b32_e64 v2, 0, 0x42800000, vcc_lo
	s_delay_alu instid0(VALU_DEP_1) | instskip(NEXT) | instid1(VALU_DEP_1)
	v_fmac_f32_e32 v2, 0xbfb8aa3b, v1
	v_exp_f32_e32 v1, v2
	v_cndmask_b32_e64 v2, 1.0, 0x1f800000, vcc_lo
	s_and_b32 vcc_lo, exec_lo, s2
	s_waitcnt_depctr 0xfff
	v_fma_f32 v1, v1, v2, 1.0
	s_delay_alu instid0(VALU_DEP_1) | instskip(SKIP_1) | instid1(VALU_DEP_1)
	v_rcp_f32_e32 v48, v1
	v_add_co_u32 v1, s3, s4, v3
	v_add_co_ci_u32_e64 v2, null, s5, 0, s3
	s_waitcnt_depctr 0xfff
	v_mov_b32_e32 v32, v48
	s_cbranch_vccz .LBB243_2
; %bb.1:
	global_load_u16 v4, v3, s[6:7]
	s_waitcnt vmcnt(0)
	v_cvt_f32_f16_e32 v4, v4
	s_delay_alu instid0(VALU_DEP_1)
	v_add_f32_e32 v32, v48, v4
.LBB243_2:
	global_load_u16 v4, v[1:2], off offset:64
	s_waitcnt vmcnt(0)
	v_lshlrev_b32_e32 v4, 16, v4
	s_delay_alu instid0(VALU_DEP_1) | instskip(NEXT) | instid1(VALU_DEP_1)
	v_mul_f32_e32 v5, 0xbfb8aa3b, v4
	v_cmp_gt_f32_e32 vcc_lo, 0xc2fc0000, v5
	v_cndmask_b32_e64 v5, 0, 0x42800000, vcc_lo
	s_delay_alu instid0(VALU_DEP_1) | instskip(NEXT) | instid1(VALU_DEP_1)
	v_fmac_f32_e32 v5, 0xbfb8aa3b, v4
	v_exp_f32_e32 v4, v5
	v_cndmask_b32_e64 v5, 1.0, 0x1f800000, vcc_lo
	s_and_not1_b32 vcc_lo, exec_lo, s2
	s_waitcnt_depctr 0xfff
	v_fma_f32 v4, v4, v5, 1.0
	s_delay_alu instid0(VALU_DEP_1)
	v_rcp_f32_e32 v17, v4
	v_cndmask_b32_e64 v4, 0, 1, s2
	s_waitcnt_depctr 0xfff
	v_mov_b32_e32 v33, v17
	s_cbranch_vccnz .LBB243_4
; %bb.3:
	global_load_u16 v5, v3, s[6:7] offset:64
	s_waitcnt vmcnt(0)
	v_cvt_f32_f16_e32 v5, v5
	s_delay_alu instid0(VALU_DEP_1)
	v_add_f32_e32 v33, v17, v5
.LBB243_4:
	global_load_u16 v5, v[1:2], off offset:128
	s_waitcnt vmcnt(0)
	v_lshlrev_b32_e32 v5, 16, v5
	s_delay_alu instid0(VALU_DEP_1) | instskip(NEXT) | instid1(VALU_DEP_1)
	v_mul_f32_e32 v6, 0xbfb8aa3b, v5
	v_cmp_gt_f32_e32 vcc_lo, 0xc2fc0000, v6
	v_cndmask_b32_e64 v6, 0, 0x42800000, vcc_lo
	s_delay_alu instid0(VALU_DEP_1) | instskip(NEXT) | instid1(VALU_DEP_1)
	v_fmac_f32_e32 v6, 0xbfb8aa3b, v5
	v_exp_f32_e32 v5, v6
	v_cndmask_b32_e64 v6, 1.0, 0x1f800000, vcc_lo
	v_cmp_ne_u32_e32 vcc_lo, 1, v4
	s_waitcnt_depctr 0xfff
	v_fma_f32 v5, v5, v6, 1.0
	s_delay_alu instid0(VALU_DEP_1)
	v_rcp_f32_e32 v18, v5
	s_waitcnt_depctr 0xfff
	v_mov_b32_e32 v34, v18
	s_cbranch_vccnz .LBB243_6
; %bb.5:
	global_load_u16 v5, v3, s[6:7] offset:128
	s_waitcnt vmcnt(0)
	v_cvt_f32_f16_e32 v5, v5
	s_delay_alu instid0(VALU_DEP_1)
	v_add_f32_e32 v34, v18, v5
.LBB243_6:
	global_load_u16 v5, v[1:2], off offset:192
	s_waitcnt vmcnt(0)
	v_lshlrev_b32_e32 v5, 16, v5
	s_delay_alu instid0(VALU_DEP_1) | instskip(NEXT) | instid1(VALU_DEP_1)
	v_mul_f32_e32 v6, 0xbfb8aa3b, v5
	v_cmp_gt_f32_e32 vcc_lo, 0xc2fc0000, v6
	v_cndmask_b32_e64 v6, 0, 0x42800000, vcc_lo
	s_delay_alu instid0(VALU_DEP_1) | instskip(NEXT) | instid1(VALU_DEP_1)
	v_fmac_f32_e32 v6, 0xbfb8aa3b, v5
	v_exp_f32_e32 v5, v6
	v_cndmask_b32_e64 v6, 1.0, 0x1f800000, vcc_lo
	v_cmp_ne_u32_e32 vcc_lo, 1, v4
	s_waitcnt_depctr 0xfff
	v_fma_f32 v5, v5, v6, 1.0
	s_delay_alu instid0(VALU_DEP_1)
	v_rcp_f32_e32 v19, v5
	;; [unrolled: 26-line block ×6, first 2 shown]
	s_cbranch_vccnz .LBB243_16
; %bb.15:
	global_load_u16 v1, v3, s[6:7] offset:448
	s_waitcnt vmcnt(0)
	v_cvt_f32_f16_e32 v1, v1
	s_delay_alu instid0(VALU_DEP_1)
	v_add_f32_e32 v39, v23, v1
	s_branch .LBB243_17
.LBB243_16:
	s_waitcnt_depctr 0xfff
	v_mov_b32_e32 v39, v23
.LBB243_17:
	v_add_nc_u32_e32 v7, 0xe0, v0
	v_dual_mov_b32 v8, v32 :: v_dual_add_nc_u32 v1, 32, v0
	v_dual_mov_b32 v9, v33 :: v_dual_add_nc_u32 v2, 64, v0
	;; [unrolled: 1-line block ×6, first 2 shown]
	v_dual_mov_b32 v14, v38 :: v_dual_mov_b32 v31, v7
	s_delay_alu instid0(VALU_DEP_2)
	v_dual_mov_b32 v47, v7 :: v_dual_mov_b32 v46, v6
	v_dual_mov_b32 v78, v7 :: v_dual_mov_b32 v77, v6
	;; [unrolled: 1-line block ×9, first 2 shown]
	v_mov_b32_e32 v40, v0
	v_dual_mov_b32 v76, v5 :: v_dual_mov_b32 v75, v4
	v_dual_mov_b32 v74, v3 :: v_dual_mov_b32 v73, v2
	;; [unrolled: 1-line block ×7, first 2 shown]
	s_mov_b32 s2, exec_lo
	v_cmpx_lt_f32_e32 v32, v33
	s_xor_b32 s2, exec_lo, s2
	s_cbranch_execz .LBB243_19
; %bb.18:
	v_dual_mov_b32 v30, v6 :: v_dual_mov_b32 v31, v7
	v_dual_mov_b32 v24, v1 :: v_dual_mov_b32 v25, v0
	;; [unrolled: 1-line block ×4, first 2 shown]
	s_delay_alu instid0(VALU_DEP_4)
	v_dual_mov_b32 v47, v31 :: v_dual_mov_b32 v46, v30
	v_dual_mov_b32 v78, v31 :: v_dual_mov_b32 v77, v30
	;; [unrolled: 1-line block ×17, first 2 shown]
	v_mov_b32_e32 v17, v48
	v_mov_b32_e32 v1, v0
.LBB243_19:
	s_or_b32 exec_lo, exec_lo, s2
	v_dual_mov_b32 v62, v23 :: v_dual_mov_b32 v61, v22
	v_dual_mov_b32 v86, v23 :: v_dual_mov_b32 v85, v22
	;; [unrolled: 1-line block ×16, first 2 shown]
	v_mov_b32_e32 v32, v10
	s_mov_b32 s2, exec_lo
	v_cmpx_lt_f32_e32 v33, v10
	s_cbranch_execz .LBB243_21
; %bb.20:
	v_dual_mov_b32 v70, v31 :: v_dual_mov_b32 v69, v30
	v_dual_mov_b32 v64, v25 :: v_dual_mov_b32 v63, v24
	;; [unrolled: 1-line block ×13, first 2 shown]
	v_mov_b32_e32 v74, v3
	v_dual_mov_b32 v87, v95 :: v_dual_mov_b32 v88, v96
	v_dual_mov_b32 v76, v68 :: v_dual_mov_b32 v75, v67
	;; [unrolled: 1-line block ×5, first 2 shown]
	v_mov_b32_e32 v90, v19
	v_dual_mov_b32 v40, v71 :: v_dual_mov_b32 v45, v76
	v_mov_b32_e32 v41, v72
	v_dual_mov_b32 v43, v74 :: v_dual_mov_b32 v46, v77
	v_mov_b32_e32 v79, v87
	v_dual_mov_b32 v44, v75 :: v_dual_mov_b32 v9, v10
	v_dual_mov_b32 v42, v73 :: v_dual_mov_b32 v47, v78
	v_dual_mov_b32 v44, v4 :: v_dual_mov_b32 v81, v89
	;; [unrolled: 1-line block ×5, first 2 shown]
	v_mov_b32_e32 v84, v92
	v_mov_b32_e32 v86, v94
	v_dual_mov_b32 v24, v40 :: v_dual_mov_b32 v29, v45
	v_dual_mov_b32 v30, v46 :: v_dual_mov_b32 v25, v41
	;; [unrolled: 1-line block ×6, first 2 shown]
	v_mov_b32_e32 v61, v22
	v_mov_b32_e32 v62, v86
	v_dual_mov_b32 v28, v44 :: v_dual_mov_b32 v29, v5
	v_dual_mov_b32 v31, v7 :: v_dual_mov_b32 v32, v33
	;; [unrolled: 1-line block ×3, first 2 shown]
	v_mov_b32_e32 v57, v81
	v_mov_b32_e32 v60, v21
	;; [unrolled: 1-line block ×5, first 2 shown]
.LBB243_21:
	s_or_b32 exec_lo, exec_lo, s2
	v_mov_b32_e32 v1, v11
	s_mov_b32 s2, exec_lo
	v_cmpx_lt_f32_e32 v32, v11
	s_cbranch_execz .LBB243_23
; %bb.22:
	v_mov_b32_e32 v97, v19
	v_mov_b32_e32 v65, v3
	v_dual_mov_b32 v87, v95 :: v_dual_mov_b32 v88, v96
	v_mov_b32_e32 v78, v70
	v_dual_mov_b32 v92, v100 :: v_dual_mov_b32 v71, v63
	v_dual_mov_b32 v90, v98 :: v_dual_mov_b32 v91, v99
	;; [unrolled: 1-line block ×8, first 2 shown]
	v_mov_b32_e32 v80, v88
	s_delay_alu instid0(VALU_DEP_3)
	v_dual_mov_b32 v40, v71 :: v_dual_mov_b32 v41, v72
	v_dual_mov_b32 v83, v91 :: v_dual_mov_b32 v84, v92
	;; [unrolled: 1-line block ×20, first 2 shown]
	v_mov_b32_e32 v1, v32
	v_mov_b32_e32 v19, v18
	;; [unrolled: 1-line block ×3, first 2 shown]
.LBB243_23:
	s_or_b32 exec_lo, exec_lo, s2
	v_mov_b32_e32 v2, v12
	s_mov_b32 s2, exec_lo
	v_cmpx_lt_f32_e32 v1, v12
	s_cbranch_execz .LBB243_25
; %bb.24:
	v_mov_b32_e32 v98, v20
	v_dual_mov_b32 v66, v4 :: v_dual_mov_b32 v79, v95
	v_dual_mov_b32 v40, v63 :: v_dual_mov_b32 v41, v64
	v_dual_mov_b32 v44, v67 :: v_dual_mov_b32 v47, v70
	s_delay_alu instid0(VALU_DEP_3)
	v_dual_mov_b32 v43, v66 :: v_dual_mov_b32 v80, v96
	v_mov_b32_e32 v81, v97
	v_dual_mov_b32 v46, v69 :: v_dual_mov_b32 v83, v99
	v_dual_mov_b32 v42, v65 :: v_dual_mov_b32 v45, v68
	v_dual_mov_b32 v82, v98 :: v_dual_mov_b32 v85, v101
	v_dual_mov_b32 v84, v100 :: v_dual_mov_b32 v83, v19
	v_dual_mov_b32 v86, v102 :: v_dual_mov_b32 v11, v12
	v_mov_b32_e32 v44, v3
	v_dual_mov_b32 v55, v79 :: v_dual_mov_b32 v56, v80
	v_dual_mov_b32 v57, v81 :: v_dual_mov_b32 v24, v40
	;; [unrolled: 1-line block ×10, first 2 shown]
	v_mov_b32_e32 v73, v65
	v_dual_mov_b32 v12, v1 :: v_dual_mov_b32 v27, v43
	v_dual_mov_b32 v60, v21 :: v_dual_mov_b32 v61, v22
	;; [unrolled: 1-line block ×8, first 2 shown]
	v_mov_b32_e32 v74, v66
	v_mov_b32_e32 v72, v64
	;; [unrolled: 1-line block ×5, first 2 shown]
.LBB243_25:
	s_or_b32 exec_lo, exec_lo, s2
	v_mov_b32_e32 v1, v13
	s_mov_b32 s2, exec_lo
	v_cmpx_lt_f32_e32 v2, v13
	s_cbranch_execz .LBB243_27
; %bb.26:
	v_mov_b32_e32 v75, v5
	v_dual_mov_b32 v91, v21 :: v_dual_mov_b32 v24, v71
	v_mov_b32_e32 v30, v77
	v_mov_b32_e32 v30, v6
	v_mov_b32_e32 v31, v78
	v_mov_b32_e32 v29, v76
	v_dual_mov_b32 v55, v87 :: v_dual_mov_b32 v60, v92
	v_dual_mov_b32 v79, v87 :: v_dual_mov_b32 v82, v90
	;; [unrolled: 1-line block ×17, first 2 shown]
	v_mov_b32_e32 v21, v20
	v_mov_b32_e32 v5, v4
	;; [unrolled: 1-line block ×4, first 2 shown]
.LBB243_27:
	s_or_b32 exec_lo, exec_lo, s2
	v_mov_b32_e32 v2, v14
	s_mov_b32 s2, exec_lo
	v_cmpx_lt_f32_e32 v1, v14
	s_cbranch_execz .LBB243_29
; %bb.28:
	v_dual_mov_b32 v45, v6 :: v_dual_mov_b32 v46, v5
	v_dual_mov_b32 v84, v22 :: v_dual_mov_b32 v85, v21
	;; [unrolled: 1-line block ×12, first 2 shown]
	v_mov_b32_e32 v2, v1
.LBB243_29:
	s_or_b32 exec_lo, exec_lo, s2
	s_delay_alu instid0(VALU_DEP_1)
	v_cmp_lt_f32_e32 vcc_lo, v2, v15
	v_dual_mov_b32 v40, v56 :: v_dual_mov_b32 v43, v59
	v_cmp_lt_f32_e64 s2, v8, v9
	v_dual_mov_b32 v41, v57 :: v_dual_mov_b32 v42, v58
	v_dual_cndmask_b32 v23, v15, v2 :: v_dual_cndmask_b32 v14, v14, v15
	v_dual_cndmask_b32 v46, v62, v61 :: v_dual_mov_b32 v39, v55
	s_delay_alu instid0(VALU_DEP_2) | instskip(SKIP_3) | instid1(VALU_DEP_4)
	v_dual_mov_b32 v44, v60 :: v_dual_mov_b32 v15, v23
	v_cndmask_b32_e32 v45, v61, v62, vcc_lo
	v_dual_cndmask_b32 v54, v31, v30 :: v_dual_cndmask_b32 v53, v30, v31
	v_dual_mov_b32 v47, v24 :: v_dual_mov_b32 v50, v27
	v_mov_b32_e32 v22, v15
	v_dual_mov_b32 v21, v14 :: v_dual_mov_b32 v20, v13
	v_dual_mov_b32 v19, v12 :: v_dual_mov_b32 v18, v11
	;; [unrolled: 1-line block ×5, first 2 shown]
	v_mov_b32_e32 v51, v28
	s_and_saveexec_b32 s3, s2
	s_delay_alu instid0(SALU_CYCLE_1)
	s_xor_b32 s2, exec_lo, s3
	s_cbranch_execz .LBB243_31
; %bb.30:
	v_dual_mov_b32 v16, v9 :: v_dual_mov_b32 v17, v8
	v_dual_mov_b32 v18, v10 :: v_dual_mov_b32 v19, v11
	;; [unrolled: 1-line block ×4, first 2 shown]
	s_delay_alu instid0(VALU_DEP_4)
	v_dual_mov_b32 v15, v16 :: v_dual_mov_b32 v40, v55
	v_dual_mov_b32 v16, v17 :: v_dual_mov_b32 v39, v56
	;; [unrolled: 1-line block ×10, first 2 shown]
.LBB243_31:
	s_or_b32 exec_lo, exec_lo, s2
	v_dual_mov_b32 v31, v39 :: v_dual_mov_b32 v32, v40
	v_dual_mov_b32 v78, v46 :: v_dual_mov_b32 v77, v45
	;; [unrolled: 1-line block ×22, first 2 shown]
	v_mov_b32_e32 v10, v17
	s_mov_b32 s2, exec_lo
	v_dual_mov_b32 v76, v44 :: v_dual_mov_b32 v75, v43
	v_dual_mov_b32 v68, v52 :: v_dual_mov_b32 v67, v51
	v_cmpx_lt_f32_e32 v9, v17
	s_cbranch_execz .LBB243_33
; %bb.32:
	v_dual_mov_b32 v1, v47 :: v_dual_mov_b32 v2, v48
	v_dual_mov_b32 v7, v53 :: v_dual_mov_b32 v8, v54
	v_mov_b32_e32 v2, v49
	v_dual_mov_b32 v3, v49 :: v_dual_mov_b32 v4, v50
	v_dual_mov_b32 v5, v51 :: v_dual_mov_b32 v6, v52
	;; [unrolled: 1-line block ×7, first 2 shown]
	v_mov_b32_e32 v57, v40
	v_dual_mov_b32 v70, v8 :: v_dual_mov_b32 v69, v7
	v_dual_mov_b32 v64, v2 :: v_dual_mov_b32 v63, v1
	v_dual_mov_b32 v68, v6 :: v_dual_mov_b32 v67, v5
	v_dual_mov_b32 v78, v62 :: v_dual_mov_b32 v77, v61
	v_dual_mov_b32 v66, v4 :: v_dual_mov_b32 v65, v3
	v_dual_mov_b32 v74, v58 :: v_dual_mov_b32 v71, v55
	v_mov_b32_e32 v66, v50
	v_dual_mov_b32 v16, v17 :: v_dual_mov_b32 v75, v59
	v_dual_mov_b32 v17, v9 :: v_dual_mov_b32 v76, v60
	;; [unrolled: 1-line block ×17, first 2 shown]
.LBB243_33:
	s_or_b32 exec_lo, exec_lo, s2
	v_mov_b32_e32 v9, v18
	s_mov_b32 s2, exec_lo
	s_delay_alu instid0(VALU_DEP_2)
	v_cmpx_lt_f32_e32 v10, v18
	s_cbranch_execz .LBB243_35
; %bb.34:
	v_mov_b32_e32 v3, v50
	v_dual_mov_b32 v57, v42 :: v_dual_mov_b32 v70, v8
	v_mov_b32_e32 v66, v4
	v_dual_mov_b32 v78, v62 :: v_dual_mov_b32 v77, v61
	v_mov_b32_e32 v66, v49
	v_mov_b32_e32 v63, v1
	;; [unrolled: 1-line block ×3, first 2 shown]
	v_dual_mov_b32 v69, v7 :: v_dual_mov_b32 v68, v6
	v_dual_mov_b32 v67, v5 :: v_dual_mov_b32 v64, v2
	v_dual_mov_b32 v17, v18 :: v_dual_mov_b32 v76, v60
	v_dual_mov_b32 v75, v59 :: v_dual_mov_b32 v74, v58
	v_mov_b32_e32 v65, v3
	v_dual_mov_b32 v73, v57 :: v_dual_mov_b32 v72, v56
	v_mov_b32_e32 v74, v41
	v_dual_mov_b32 v18, v10 :: v_dual_mov_b32 v23, v63
	v_dual_mov_b32 v24, v64 :: v_dual_mov_b32 v31, v71
	s_delay_alu instid0(VALU_DEP_4)
	v_dual_mov_b32 v32, v72 :: v_dual_mov_b32 v27, v67
	v_dual_mov_b32 v28, v68 :: v_dual_mov_b32 v29, v69
	;; [unrolled: 1-line block ×10, first 2 shown]
	v_mov_b32_e32 v38, v46
	v_dual_mov_b32 v9, v10 :: v_dual_mov_b32 v42, v41
	v_mov_b32_e32 v50, v49
.LBB243_35:
	s_or_b32 exec_lo, exec_lo, s2
	v_mov_b32_e32 v4, v19
	s_mov_b32 s2, exec_lo
	v_cmpx_lt_f32_e32 v9, v19
	s_cbranch_execz .LBB243_37
; %bb.36:
	v_mov_b32_e32 v4, v51
	v_dual_mov_b32 v18, v19 :: v_dual_mov_b32 v19, v9
	v_mov_b32_e32 v58, v43
	v_dual_mov_b32 v30, v8 :: v_dual_mov_b32 v29, v7
	v_dual_mov_b32 v28, v6 :: v_dual_mov_b32 v25, v3
	v_dual_mov_b32 v23, v1 :: v_dual_mov_b32 v28, v52
	v_mov_b32_e32 v31, v55
	v_dual_mov_b32 v27, v5 :: v_dual_mov_b32 v32, v56
	v_dual_mov_b32 v35, v59 :: v_dual_mov_b32 v34, v58
	;; [unrolled: 4-line block ×3, first 2 shown]
	v_dual_mov_b32 v70, v8 :: v_dual_mov_b32 v65, v3
	v_dual_mov_b32 v26, v4 :: v_dual_mov_b32 v27, v50
	;; [unrolled: 1-line block ×11, first 2 shown]
	v_mov_b32_e32 v64, v2
	v_dual_mov_b32 v4, v9 :: v_dual_mov_b32 v51, v50
.LBB243_37:
	s_or_b32 exec_lo, exec_lo, s2
	v_mov_b32_e32 v1, v20
	s_mov_b32 s2, exec_lo
	s_delay_alu instid0(VALU_DEP_2)
	v_cmpx_lt_f32_e32 v4, v20
	s_cbranch_execz .LBB243_39
; %bb.38:
	v_dual_mov_b32 v67, v52 :: v_dual_mov_b32 v68, v51
	v_dual_mov_b32 v69, v53 :: v_dual_mov_b32 v76, v43
	;; [unrolled: 1-line block ×4, first 2 shown]
	v_mov_b32_e32 v19, v20
	v_dual_mov_b32 v20, v4 :: v_dual_mov_b32 v31, v71
	v_dual_mov_b32 v23, v63 :: v_dual_mov_b32 v24, v64
	;; [unrolled: 1-line block ×9, first 2 shown]
.LBB243_39:
	s_or_b32 exec_lo, exec_lo, s2
	s_delay_alu instid0(VALU_DEP_1)
	v_cmp_lt_f32_e32 vcc_lo, v1, v21
	v_mov_b32_e32 v4, v18
	v_mov_b32_e32 v8, v22
	s_mov_b32 s2, exec_lo
	v_dual_mov_b32 v2, v16 :: v_dual_cndmask_b32 v9, v37, v36
	v_cndmask_b32_e32 v36, v36, v37, vcc_lo
	v_cndmask_b32_e32 v10, v29, v28, vcc_lo
	v_dual_cndmask_b32 v28, v28, v29 :: v_dual_mov_b32 v3, v17
	v_cndmask_b32_e32 v7, v21, v1, vcc_lo
	v_dual_cndmask_b32 v6, v20, v21 :: v_dual_mov_b32 v5, v19
	v_mov_b32_e32 v1, v15
	v_cmpx_lt_f32_e32 v15, v16
	s_cbranch_execz .LBB243_41
; %bb.40:
	s_delay_alu instid0(VALU_DEP_2)
	v_dual_mov_b32 v39, v2 :: v_dual_mov_b32 v40, v1
	v_dual_mov_b32 v41, v3 :: v_dual_mov_b32 v42, v4
	;; [unrolled: 1-line block ×4, first 2 shown]
	v_mov_b32_e32 v11, v31
	v_mov_b32_e32 v12, v23
	v_dual_mov_b32 v1, v39 :: v_dual_mov_b32 v4, v42
	v_swap_b32 v31, v32
	v_swap_b32 v23, v24
	v_dual_mov_b32 v2, v40 :: v_dual_mov_b32 v3, v41
	v_dual_mov_b32 v5, v43 :: v_dual_mov_b32 v6, v44
	;; [unrolled: 1-line block ×3, first 2 shown]
	v_mov_b32_e32 v16, v15
.LBB243_41:
	s_or_b32 exec_lo, exec_lo, s2
	v_mov_b32_e32 v29, v10
	v_dual_mov_b32 v37, v9 :: v_dual_mov_b32 v54, v30
	v_mov_b32_e32 v46, v38
	v_dual_mov_b32 v44, v36 :: v_dual_mov_b32 v39, v31
	v_dual_mov_b32 v70, v38 :: v_dual_mov_b32 v49, v25
	s_delay_alu instid0(VALU_DEP_4)
	v_dual_mov_b32 v62, v30 :: v_dual_mov_b32 v45, v37
	v_dual_mov_b32 v43, v35 :: v_dual_mov_b32 v42, v34
	;; [unrolled: 1-line block ×12, first 2 shown]
	v_mov_b32_e32 v57, v25
	v_mov_b32_e32 v55, v23
	;; [unrolled: 1-line block ×3, first 2 shown]
	s_mov_b32 s2, exec_lo
	v_cmpx_lt_f32_e32 v16, v3
	s_cbranch_execz .LBB243_43
; %bb.42:
	v_dual_mov_b32 v62, v30 :: v_dual_mov_b32 v61, v29
	v_dual_mov_b32 v58, v26 :: v_dual_mov_b32 v57, v25
	;; [unrolled: 1-line block ×7, first 2 shown]
	s_delay_alu instid0(VALU_DEP_4)
	v_dual_mov_b32 v47, v55 :: v_dual_mov_b32 v48, v56
	v_dual_mov_b32 v68, v36 :: v_dual_mov_b32 v67, v35
	;; [unrolled: 1-line block ×16, first 2 shown]
	v_mov_b32_e32 v44, v36
	v_dual_mov_b32 v46, v38 :: v_dual_mov_b32 v11, v16
	v_mov_b32_e32 v33, v32
	v_mov_b32_e32 v25, v24
.LBB243_43:
	s_or_b32 exec_lo, exec_lo, s2
	v_mov_b32_e32 v12, v4
	s_mov_b32 s2, exec_lo
	v_cmpx_lt_f32_e32 v11, v4
	s_cbranch_execz .LBB243_45
; %bb.44:
	v_mov_b32_e32 v57, v26
	v_dual_mov_b32 v3, v4 :: v_dual_mov_b32 v4, v11
	v_mov_b32_e32 v65, v34
	v_dual_mov_b32 v47, v55 :: v_dual_mov_b32 v52, v60
	v_dual_mov_b32 v48, v56 :: v_dual_mov_b32 v39, v63
	;; [unrolled: 1-line block ×3, first 2 shown]
	v_mov_b32_e32 v54, v62
	v_dual_mov_b32 v50, v58 :: v_dual_mov_b32 v51, v59
	v_mov_b32_e32 v50, v25
	v_dual_mov_b32 v53, v61 :: v_dual_mov_b32 v52, v28
	v_dual_mov_b32 v41, v65 :: v_dual_mov_b32 v44, v68
	;; [unrolled: 1-line block ×8, first 2 shown]
	v_mov_b32_e32 v12, v11
	v_mov_b32_e32 v34, v33
	;; [unrolled: 1-line block ×3, first 2 shown]
.LBB243_45:
	s_or_b32 exec_lo, exec_lo, s2
	v_mov_b32_e32 v11, v5
	s_mov_b32 s2, exec_lo
	v_cmpx_lt_f32_e32 v12, v5
	s_cbranch_execz .LBB243_47
; %bb.46:
	v_dual_mov_b32 v68, v36 :: v_dual_mov_b32 v69, v9
	v_dual_mov_b32 v58, v27 :: v_dual_mov_b32 v59, v26
	;; [unrolled: 1-line block ×4, first 2 shown]
	v_mov_b32_e32 v70, v38
	v_dual_mov_b32 v4, v5 :: v_dual_mov_b32 v5, v12
	v_dual_mov_b32 v62, v30 :: v_dual_mov_b32 v39, v63
	v_dual_mov_b32 v44, v68 :: v_dual_mov_b32 v47, v55
	v_dual_mov_b32 v40, v64 :: v_dual_mov_b32 v41, v65
	v_dual_mov_b32 v42, v66 :: v_dual_mov_b32 v45, v69
	v_dual_mov_b32 v43, v67 :: v_dual_mov_b32 v46, v70
	v_dual_mov_b32 v49, v57 :: v_dual_mov_b32 v48, v56
	v_dual_mov_b32 v51, v59 :: v_dual_mov_b32 v50, v58
	v_dual_mov_b32 v53, v61 :: v_dual_mov_b32 v52, v60
	v_dual_mov_b32 v54, v62 :: v_dual_mov_b32 v11, v12
.LBB243_47:
	s_or_b32 exec_lo, exec_lo, s2
	s_delay_alu instid0(VALU_DEP_1)
	v_cmp_lt_f32_e32 vcc_lo, v11, v6
	v_dual_mov_b32 v19, v1 :: v_dual_mov_b32 v26, v8
	v_mov_b32_e32 v21, v3
	v_mov_b32_e32 v25, v7
	v_dual_cndmask_b32 v27, v44, v43 :: v_dual_mov_b32 v20, v2
	v_dual_cndmask_b32 v43, v43, v44 :: v_dual_cndmask_b32 v28, v52, v51
	v_dual_cndmask_b32 v51, v51, v52 :: v_dual_cndmask_b32 v24, v6, v11
	v_dual_cndmask_b32 v23, v5, v6 :: v_dual_mov_b32 v22, v4
	s_mov_b32 s2, exec_lo
	v_cmpx_lt_f32_e32 v1, v2
	s_cbranch_execz .LBB243_49
; %bb.48:
	v_dual_mov_b32 v8, v25 :: v_dual_mov_b32 v9, v26
	v_dual_mov_b32 v2, v20 :: v_dual_mov_b32 v3, v19
	;; [unrolled: 1-line block ×4, first 2 shown]
	v_mov_b32_e32 v10, v39
	v_dual_mov_b32 v11, v47 :: v_dual_mov_b32 v26, v9
	v_swap_b32 v39, v40
	v_swap_b32 v47, v48
	v_dual_mov_b32 v25, v8 :: v_dual_mov_b32 v24, v7
	v_dual_mov_b32 v23, v6 :: v_dual_mov_b32 v22, v5
	;; [unrolled: 1-line block ×4, first 2 shown]
.LBB243_49:
	s_or_b32 exec_lo, exec_lo, s2
	v_mov_b32_e32 v52, v28
	v_mov_b32_e32 v44, v27
	;; [unrolled: 1-line block ×4, first 2 shown]
	v_dual_mov_b32 v11, v39 :: v_dual_mov_b32 v4, v48
	v_dual_mov_b32 v12, v40 :: v_dual_mov_b32 v13, v41
	;; [unrolled: 1-line block ×7, first 2 shown]
	v_mov_b32_e32 v10, v54
	s_mov_b32 s2, exec_lo
	v_cmpx_lt_f32_e32 v2, v21
	s_cbranch_execz .LBB243_51
; %bb.50:
	v_dual_mov_b32 v3, v47 :: v_dual_mov_b32 v4, v48
	v_dual_mov_b32 v9, v53 :: v_dual_mov_b32 v10, v54
	v_dual_mov_b32 v10, v54 :: v_dual_mov_b32 v11, v39
	v_dual_mov_b32 v5, v49 :: v_dual_mov_b32 v6, v50
	v_dual_mov_b32 v7, v51 :: v_dual_mov_b32 v8, v52
	v_dual_mov_b32 v12, v40 :: v_dual_mov_b32 v13, v41
	v_dual_mov_b32 v14, v42 :: v_dual_mov_b32 v15, v43
	v_dual_mov_b32 v16, v44 :: v_dual_mov_b32 v17, v45
	v_dual_mov_b32 v18, v46 :: v_dual_mov_b32 v13, v40
	v_dual_mov_b32 v20, v21 :: v_dual_mov_b32 v21, v2
	v_dual_mov_b32 v4, v49 :: v_dual_mov_b32 v5, v48
	v_dual_mov_b32 v6, v50 :: v_dual_mov_b32 v7, v51
	v_dual_mov_b32 v8, v28 :: v_dual_mov_b32 v9, v53
	v_dual_mov_b32 v12, v41 :: v_dual_mov_b32 v15, v43
	v_dual_mov_b32 v14, v42 :: v_dual_mov_b32 v17, v45
	v_dual_mov_b32 v16, v27 :: v_dual_mov_b32 v1, v2
	v_dual_mov_b32 v18, v46 :: v_dual_mov_b32 v41, v40
	v_mov_b32_e32 v49, v48
.LBB243_51:
	s_or_b32 exec_lo, exec_lo, s2
	v_mov_b32_e32 v29, v22
	s_mov_b32 s2, exec_lo
	v_cmpx_lt_f32_e32 v1, v22
; %bb.52:
	v_dual_mov_b32 v21, v22 :: v_dual_mov_b32 v22, v1
	v_dual_mov_b32 v5, v50 :: v_dual_mov_b32 v6, v49
	;; [unrolled: 1-line block ×7, first 2 shown]
	v_mov_b32_e32 v29, v1
; %bb.53:
	s_or_b32 exec_lo, exec_lo, s2
	s_delay_alu instid0(VALU_DEP_1)
	v_cmp_lt_f32_e32 vcc_lo, v29, v23
	v_dual_mov_b32 v28, v20 :: v_dual_mov_b32 v33, v25
	v_mov_b32_e32 v32, v24
	v_dual_mov_b32 v34, v26 :: v_dual_cndmask_b32 v1, v15, v14
	v_cndmask_b32_e32 v14, v14, v15, vcc_lo
	v_cndmask_b32_e32 v2, v7, v6, vcc_lo
	v_dual_cndmask_b32 v6, v6, v7 :: v_dual_cndmask_b32 v31, v23, v29
	v_dual_cndmask_b32 v30, v22, v23 :: v_dual_mov_b32 v27, v19
	v_mov_b32_e32 v29, v21
	s_mov_b32 s2, exec_lo
	v_cmpx_lt_f32_e32 v19, v20
	s_cbranch_execz .LBB243_55
; %bb.54:
	v_dual_mov_b32 v20, v28 :: v_dual_mov_b32 v21, v27
	v_dual_mov_b32 v26, v33 :: v_dual_mov_b32 v27, v34
	;; [unrolled: 1-line block ×4, first 2 shown]
	s_delay_alu instid0(VALU_DEP_3)
	v_mov_b32_e32 v34, v27
	v_mov_b32_e32 v7, v11
	v_dual_mov_b32 v15, v3 :: v_dual_mov_b32 v28, v21
	v_swap_b32 v11, v12
	v_swap_b32 v3, v4
	v_dual_mov_b32 v33, v26 :: v_dual_mov_b32 v30, v23
	v_dual_mov_b32 v32, v25 :: v_dual_mov_b32 v31, v24
	v_mov_b32_e32 v29, v22
	v_dual_mov_b32 v27, v20 :: v_dual_mov_b32 v20, v19
.LBB243_55:
	s_or_b32 exec_lo, exec_lo, s2
	v_mov_b32_e32 v7, v2
	v_mov_b32_e32 v15, v1
	;; [unrolled: 1-line block ×3, first 2 shown]
	s_mov_b32 s2, exec_lo
	v_cmpx_lt_f32_e32 v20, v29
	s_cbranch_execz .LBB243_57
; %bb.56:
	v_dual_mov_b32 v42, v10 :: v_dual_mov_b32 v41, v9
	v_dual_mov_b32 v40, v8 :: v_dual_mov_b32 v39, v7
	;; [unrolled: 1-line block ×16, first 2 shown]
	v_mov_b32_e32 v18, v9
	s_delay_alu instid0(VALU_DEP_3) | instskip(NEXT) | instid1(VALU_DEP_4)
	v_dual_mov_b32 v16, v7 :: v_dual_mov_b32 v15, v6
	v_dual_mov_b32 v17, v8 :: v_dual_mov_b32 v14, v5
	;; [unrolled: 1-line block ×3, first 2 shown]
	v_mov_b32_e32 v11, v2
	v_dual_mov_b32 v3, v35 :: v_dual_mov_b32 v4, v36
	v_dual_mov_b32 v5, v37 :: v_dual_mov_b32 v6, v38
	;; [unrolled: 1-line block ×4, first 2 shown]
	v_mov_b32_e32 v19, v20
.LBB243_57:
	s_or_b32 exec_lo, exec_lo, s2
	s_delay_alu instid0(VALU_DEP_1)
	v_cmp_lt_f32_e32 vcc_lo, v19, v30
	v_dual_mov_b32 v20, v7 :: v_dual_mov_b32 v21, v8
	v_dual_mov_b32 v22, v9 :: v_dual_mov_b32 v23, v10
	v_dual_cndmask_b32 v1, v14, v13 :: v_dual_cndmask_b32 v36, v5, v6
	v_dual_cndmask_b32 v35, v13, v14 :: v_dual_cndmask_b32 v2, v6, v5
	v_dual_cndmask_b32 v5, v30, v19 :: v_dual_cndmask_b32 v30, v29, v30
	v_dual_mov_b32 v6, v15 :: v_dual_mov_b32 v13, v16
	v_dual_mov_b32 v14, v17 :: v_dual_mov_b32 v19, v18
	;; [unrolled: 1-line block ×4, first 2 shown]
	v_mov_b32_e32 v29, v34
	s_mov_b32 s2, exec_lo
	v_cmpx_lt_f32_e32 v27, v28
	s_cbranch_execz .LBB243_59
; %bb.58:
	v_dual_mov_b32 v24, v28 :: v_dual_mov_b32 v37, v27
	v_dual_mov_b32 v6, v11 :: v_dual_mov_b32 v13, v16
	;; [unrolled: 1-line block ×3, first 2 shown]
	v_swap_b32 v11, v12
	v_swap_b32 v3, v4
	v_dual_mov_b32 v28, v27 :: v_dual_mov_b32 v21, v8
	v_dual_mov_b32 v6, v15 :: v_dual_mov_b32 v23, v10
	;; [unrolled: 1-line block ×5, first 2 shown]
	v_mov_b32_e32 v24, v31
	v_mov_b32_e32 v26, v33
.LBB243_59:
	s_or_b32 exec_lo, exec_lo, s2
	s_clause 0x1
	s_load_b32 s8, s[0:1], 0x28
	s_load_b128 s[4:7], s[0:1], 0x10
	v_mov_b32_e32 v8, 0
	s_waitcnt lgkmcnt(0)
	s_cmp_lt_i32 s8, 1
	s_cbranch_scc1 .LBB243_65
; %bb.60:
	v_cmp_lt_f32_e32 vcc_lo, v28, v30
	v_dual_mov_b32 v8, 0 :: v_dual_mov_b32 v9, 0
	s_mov_b32 s9, 0x76543210
	s_mov_b32 s10, s8
	v_dual_cndmask_b32 v7, v36, v4 :: v_dual_cndmask_b32 v18, v37, v30
	v_cndmask_b32_e32 v4, v4, v36, vcc_lo
	v_cndmask_b32_e32 v10, v30, v28, vcc_lo
	v_dual_cndmask_b32 v15, v35, v12 :: v_dual_cndmask_b32 v28, v12, v35
	s_delay_alu instid0(VALU_DEP_4) | instskip(NEXT) | instid1(VALU_DEP_1)
	v_cmp_lt_f32_e64 s2, v27, v18
	v_cndmask_b32_e64 v12, v4, v3, s2
	v_cndmask_b32_e64 v16, v3, v4, s2
	;; [unrolled: 1-line block ×6, first 2 shown]
	v_dual_mov_b32 v28, v0 :: v_dual_mov_b32 v3, 0
	v_mov_b32_e32 v4, 0
.LBB243_61:                             ; =>This Inner Loop Header: Depth=1
	v_cmp_eq_u32_e32 vcc_lo, 1, v9
	v_cmp_eq_u32_e64 s2, 2, v9
	v_dual_cndmask_b32 v30, v18, v17 :: v_dual_cndmask_b32 v31, v16, v12
	v_cndmask_b32_e32 v32, v11, v27, vcc_lo
	v_cmp_eq_u32_e32 vcc_lo, 3, v9
	s_delay_alu instid0(VALU_DEP_3) | instskip(NEXT) | instid1(VALU_DEP_4)
	v_cndmask_b32_e64 v30, v30, v10, s2
	v_cndmask_b32_e64 v31, v31, v7, s2
	s_delay_alu instid0(VALU_DEP_4) | instskip(SKIP_1) | instid1(VALU_DEP_3)
	v_cndmask_b32_e64 v32, v32, v15, s2
	v_cmp_eq_u32_e64 s2, 4, v9
	v_dual_cndmask_b32 v30, v30, v5 :: v_dual_cndmask_b32 v31, v31, v2
	s_delay_alu instid0(VALU_DEP_3) | instskip(SKIP_1) | instid1(VALU_DEP_3)
	v_cndmask_b32_e32 v32, v32, v1, vcc_lo
	v_cmp_eq_u32_e32 vcc_lo, 5, v9
	v_cndmask_b32_e64 v30, v30, v24, s2
	s_delay_alu instid0(VALU_DEP_4) | instskip(NEXT) | instid1(VALU_DEP_4)
	v_cndmask_b32_e64 v31, v31, v20, s2
	v_cndmask_b32_e64 v32, v32, v6, s2
	v_cmp_eq_u32_e64 s2, 6, v9
	s_delay_alu instid0(VALU_DEP_4) | instskip(NEXT) | instid1(VALU_DEP_4)
	v_cndmask_b32_e32 v30, v30, v25, vcc_lo
	v_cndmask_b32_e32 v31, v31, v21, vcc_lo
	s_delay_alu instid0(VALU_DEP_4) | instskip(SKIP_1) | instid1(VALU_DEP_4)
	v_cndmask_b32_e32 v32, v32, v13, vcc_lo
	v_cmp_eq_u32_e32 vcc_lo, 7, v9
	v_cndmask_b32_e64 v30, v30, v26, s2
	s_delay_alu instid0(VALU_DEP_4) | instskip(NEXT) | instid1(VALU_DEP_4)
	v_cndmask_b32_e64 v31, v31, v22, s2
	v_cndmask_b32_e64 v32, v32, v14, s2
	v_cmp_gt_u32_e64 s2, 8, v9
	s_delay_alu instid0(VALU_DEP_3) | instskip(NEXT) | instid1(VALU_DEP_1)
	v_dual_cndmask_b32 v30, v30, v29 :: v_dual_cndmask_b32 v31, v31, v23
	v_cndmask_b32_e64 v30, 0xff800000, v30, s2
	;;#ASMSTART
	v_max_f32 v34, v30, v30 quad_perm:[1,0,3,2] row_mask:0xf bank_mask:0xf bound_ctrl:1
	;;#ASMEND
	;;#ASMSTART
	v_max_f32 v35, v34, v34 quad_perm:[2,3,0,1] row_mask:0xf bank_mask:0xf bound_ctrl:1
	;;#ASMEND
	;;#ASMSTART
	v_max_f32 v34, v35, v35 row_half_mirror row_mask:0xf bank_mask:0xf bound_ctrl:1
	;;#ASMEND
	;;#ASMSTART
	v_max_f32 v35, v34, v34 row_mirror row_mask:0xf bank_mask:0xf bound_ctrl:1
	;;#ASMEND
	v_permlanex16_b32 v34, v35, s9, 0xfedcba98 op_sel:[1,1]
	v_max_f32_e32 v35, v35, v35
	v_cndmask_b32_e64 v33, 0, v31, s2
	s_delay_alu instid0(VALU_DEP_3) | instskip(NEXT) | instid1(VALU_DEP_1)
	v_max_f32_e32 v34, v34, v34
	v_max_f32_e32 v34, v35, v34
	s_delay_alu instid0(VALU_DEP_1) | instskip(SKIP_1) | instid1(VALU_DEP_2)
	v_cmp_eq_f32_e64 s3, v30, v34
	v_cndmask_b32_e32 v30, v32, v19, vcc_lo
	s_ctz_i32_b32 s11, s3
	s_cmp_lg_u32 s3, 0
	s_cselect_b32 s3, s11, 0
	s_add_i32 s10, s10, -1
	v_readlane_b32 s3, v33, s3
	s_delay_alu instid0(VALU_DEP_1)
	v_cmp_eq_u32_e32 vcc_lo, s3, v31
	s_and_b32 vcc_lo, s2, vcc_lo
	s_and_b32 s2, s3, 31
	v_cndmask_b32_e32 v30, 0, v30, vcc_lo
	v_add_co_ci_u32_e32 v9, vcc_lo, 0, v9, vcc_lo
	s_cmp_eq_u32 s10, 0
	s_delay_alu instid0(VALU_DEP_2) | instskip(SKIP_2) | instid1(VALU_DEP_3)
	v_readlane_b32 s11, v30, s2
	v_cmp_eq_u32_e64 s2, 0, v28
	v_add_nc_u32_e32 v28, -1, v28
	v_add_f32_e32 v8, s11, v8
	s_delay_alu instid0(VALU_DEP_3)
	v_cndmask_b32_e64 v4, v4, s11, s2
	v_cndmask_b32_e64 v3, v3, s3, s2
	s_cbranch_scc0 .LBB243_61
; %bb.62:
	s_mov_b32 s2, exec_lo
	v_cmpx_gt_i32_e64 s8, v0
	s_cbranch_execz .LBB243_64
.LBB243_63:
	s_load_b32 s2, s[0:1], 0x30
	v_max_f32_e32 v1, v8, v8
	s_load_b64 s[0:1], s[0:1], 0x20
	s_ashr_i32 s3, s15, 31
	s_delay_alu instid0(VALU_DEP_1) | instskip(SKIP_1) | instid1(VALU_DEP_1)
	v_dual_max_f32 v1, 0x1e3ce508, v1 :: v_dual_lshlrev_b32 v0, 2, v0
	s_waitcnt lgkmcnt(0)
	v_div_scale_f32 v2, null, v1, v1, s2
	v_div_scale_f32 v7, vcc_lo, s2, v1, s2
	s_mul_i32 s1, s15, s1
	s_delay_alu instid0(VALU_DEP_2)
	v_rcp_f32_e32 v5, v2
	s_mul_hi_u32 s8, s15, s0
	s_mul_i32 s3, s3, s0
	s_add_i32 s1, s8, s1
	s_mul_i32 s0, s15, s0
	s_add_i32 s1, s1, s3
	s_delay_alu instid0(SALU_CYCLE_1) | instskip(SKIP_2) | instid1(VALU_DEP_1)
	s_lshl_b64 s[0:1], s[0:1], 2
	s_waitcnt_depctr 0xfff
	v_fma_f32 v6, -v2, v5, 1.0
	v_fmac_f32_e32 v5, v6, v5
	s_delay_alu instid0(VALU_DEP_1) | instskip(NEXT) | instid1(VALU_DEP_1)
	v_mul_f32_e32 v6, v7, v5
	v_fma_f32 v8, -v2, v6, v7
	s_delay_alu instid0(VALU_DEP_1) | instskip(NEXT) | instid1(VALU_DEP_1)
	v_fmac_f32_e32 v6, v8, v5
	v_fma_f32 v2, -v2, v6, v7
	s_delay_alu instid0(VALU_DEP_1) | instskip(NEXT) | instid1(VALU_DEP_1)
	v_div_fmas_f32 v2, v2, v5, v6
	v_div_fixup_f32 v1, v2, v1, s2
	s_add_u32 s2, s4, s0
	s_addc_u32 s3, s5, s1
	s_add_u32 s0, s6, s0
	s_addc_u32 s1, s7, s1
	v_mul_f32_e32 v1, v4, v1
	s_clause 0x1
	global_store_b32 v0, v1, s[2:3]
	global_store_b32 v0, v3, s[0:1]
.LBB243_64:
	s_nop 0
	s_sendmsg sendmsg(MSG_DEALLOC_VGPRS)
	s_endpgm
.LBB243_65:
	v_dual_mov_b32 v3, 0 :: v_dual_mov_b32 v4, 0
	s_mov_b32 s2, exec_lo
	v_cmpx_gt_i32_e64 s8, v0
	s_cbranch_execnz .LBB243_63
	s_branch .LBB243_64
	.section	.rodata,"a",@progbits
	.p2align	6, 0x0
	.amdhsa_kernel _ZN5aiter24topk_softplus_kernel_optI12hip_bfloat166__halfLi256ELb1ELi1EEEvPKT_PKT0_PfPimiif
		.amdhsa_group_segment_fixed_size 0
		.amdhsa_private_segment_fixed_size 0
		.amdhsa_kernarg_size 52
		.amdhsa_user_sgpr_count 15
		.amdhsa_user_sgpr_dispatch_ptr 0
		.amdhsa_user_sgpr_queue_ptr 0
		.amdhsa_user_sgpr_kernarg_segment_ptr 1
		.amdhsa_user_sgpr_dispatch_id 0
		.amdhsa_user_sgpr_private_segment_size 0
		.amdhsa_wavefront_size32 1
		.amdhsa_uses_dynamic_stack 0
		.amdhsa_enable_private_segment 0
		.amdhsa_system_sgpr_workgroup_id_x 1
		.amdhsa_system_sgpr_workgroup_id_y 0
		.amdhsa_system_sgpr_workgroup_id_z 0
		.amdhsa_system_sgpr_workgroup_info 0
		.amdhsa_system_vgpr_workitem_id 0
		.amdhsa_next_free_vgpr 103
		.amdhsa_next_free_sgpr 16
		.amdhsa_reserve_vcc 1
		.amdhsa_float_round_mode_32 0
		.amdhsa_float_round_mode_16_64 0
		.amdhsa_float_denorm_mode_32 3
		.amdhsa_float_denorm_mode_16_64 3
		.amdhsa_dx10_clamp 1
		.amdhsa_ieee_mode 1
		.amdhsa_fp16_overflow 0
		.amdhsa_workgroup_processor_mode 1
		.amdhsa_memory_ordered 1
		.amdhsa_forward_progress 0
		.amdhsa_shared_vgpr_count 0
		.amdhsa_exception_fp_ieee_invalid_op 0
		.amdhsa_exception_fp_denorm_src 0
		.amdhsa_exception_fp_ieee_div_zero 0
		.amdhsa_exception_fp_ieee_overflow 0
		.amdhsa_exception_fp_ieee_underflow 0
		.amdhsa_exception_fp_ieee_inexact 0
		.amdhsa_exception_int_div_zero 0
	.end_amdhsa_kernel
	.section	.text._ZN5aiter24topk_softplus_kernel_optI12hip_bfloat166__halfLi256ELb1ELi1EEEvPKT_PKT0_PfPimiif,"axG",@progbits,_ZN5aiter24topk_softplus_kernel_optI12hip_bfloat166__halfLi256ELb1ELi1EEEvPKT_PKT0_PfPimiif,comdat
.Lfunc_end243:
	.size	_ZN5aiter24topk_softplus_kernel_optI12hip_bfloat166__halfLi256ELb1ELi1EEEvPKT_PKT0_PfPimiif, .Lfunc_end243-_ZN5aiter24topk_softplus_kernel_optI12hip_bfloat166__halfLi256ELb1ELi1EEEvPKT_PKT0_PfPimiif
                                        ; -- End function
	.section	.AMDGPU.csdata,"",@progbits
; Kernel info:
; codeLenInByte = 6960
; NumSgprs: 18
; NumVgprs: 103
; ScratchSize: 0
; MemoryBound: 0
; FloatMode: 240
; IeeeMode: 1
; LDSByteSize: 0 bytes/workgroup (compile time only)
; SGPRBlocks: 2
; VGPRBlocks: 12
; NumSGPRsForWavesPerEU: 18
; NumVGPRsForWavesPerEU: 103
; Occupancy: 12
; WaveLimiterHint : 0
; COMPUTE_PGM_RSRC2:SCRATCH_EN: 0
; COMPUTE_PGM_RSRC2:USER_SGPR: 15
; COMPUTE_PGM_RSRC2:TRAP_HANDLER: 0
; COMPUTE_PGM_RSRC2:TGID_X_EN: 1
; COMPUTE_PGM_RSRC2:TGID_Y_EN: 0
; COMPUTE_PGM_RSRC2:TGID_Z_EN: 0
; COMPUTE_PGM_RSRC2:TIDIG_COMP_CNT: 0
	.section	.text._ZN5aiter24topk_softplus_kernel_optI12hip_bfloat166__halfLi256ELb0ELi1EEEvPKT_PKT0_PfPimiif,"axG",@progbits,_ZN5aiter24topk_softplus_kernel_optI12hip_bfloat166__halfLi256ELb0ELi1EEEvPKT_PKT0_PfPimiif,comdat
	.protected	_ZN5aiter24topk_softplus_kernel_optI12hip_bfloat166__halfLi256ELb0ELi1EEEvPKT_PKT0_PfPimiif ; -- Begin function _ZN5aiter24topk_softplus_kernel_optI12hip_bfloat166__halfLi256ELb0ELi1EEEvPKT_PKT0_PfPimiif
	.globl	_ZN5aiter24topk_softplus_kernel_optI12hip_bfloat166__halfLi256ELb0ELi1EEEvPKT_PKT0_PfPimiif
	.p2align	8
	.type	_ZN5aiter24topk_softplus_kernel_optI12hip_bfloat166__halfLi256ELb0ELi1EEEvPKT_PKT0_PfPimiif,@function
_ZN5aiter24topk_softplus_kernel_optI12hip_bfloat166__halfLi256ELb0ELi1EEEvPKT_PKT0_PfPimiif: ; @_ZN5aiter24topk_softplus_kernel_optI12hip_bfloat166__halfLi256ELb0ELi1EEEvPKT_PKT0_PfPimiif
; %bb.0:
	s_load_b128 s[4:7], s[0:1], 0x0
	s_lshl_b32 s2, s15, 8
	v_lshlrev_b32_e32 v3, 1, v0
	s_ashr_i32 s3, s2, 31
	s_delay_alu instid0(SALU_CYCLE_1)
	s_lshl_b64 s[2:3], s[2:3], 1
	s_waitcnt lgkmcnt(0)
	s_add_u32 s4, s4, s2
	s_addc_u32 s5, s5, s3
	s_cmp_lg_u64 s[6:7], 0
	global_load_u16 v1, v3, s[4:5]
	s_cselect_b32 s2, -1, 0
	s_waitcnt vmcnt(0)
	v_lshlrev_b32_e32 v1, 16, v1
	s_delay_alu instid0(VALU_DEP_1) | instskip(NEXT) | instid1(VALU_DEP_1)
	v_mul_f32_e32 v2, 0xbfb8aa3b, v1
	v_cmp_gt_f32_e32 vcc_lo, 0xc2fc0000, v2
	v_cndmask_b32_e64 v2, 0, 0x42800000, vcc_lo
	s_delay_alu instid0(VALU_DEP_1) | instskip(NEXT) | instid1(VALU_DEP_1)
	v_fmac_f32_e32 v2, 0xbfb8aa3b, v1
	v_exp_f32_e32 v1, v2
	v_cndmask_b32_e64 v2, 1.0, 0x1f800000, vcc_lo
	s_and_b32 vcc_lo, exec_lo, s2
	s_waitcnt_depctr 0xfff
	v_fma_f32 v1, v1, v2, 1.0
	s_delay_alu instid0(VALU_DEP_1) | instskip(SKIP_1) | instid1(VALU_DEP_1)
	v_rcp_f32_e32 v48, v1
	v_add_co_u32 v1, s3, s4, v3
	v_add_co_ci_u32_e64 v2, null, s5, 0, s3
	s_waitcnt_depctr 0xfff
	v_mov_b32_e32 v32, v48
	s_cbranch_vccz .LBB244_2
; %bb.1:
	global_load_u16 v4, v3, s[6:7]
	s_waitcnt vmcnt(0)
	v_cvt_f32_f16_e32 v4, v4
	s_delay_alu instid0(VALU_DEP_1)
	v_add_f32_e32 v32, v48, v4
.LBB244_2:
	global_load_u16 v4, v[1:2], off offset:64
	s_waitcnt vmcnt(0)
	v_lshlrev_b32_e32 v4, 16, v4
	s_delay_alu instid0(VALU_DEP_1) | instskip(NEXT) | instid1(VALU_DEP_1)
	v_mul_f32_e32 v5, 0xbfb8aa3b, v4
	v_cmp_gt_f32_e32 vcc_lo, 0xc2fc0000, v5
	v_cndmask_b32_e64 v5, 0, 0x42800000, vcc_lo
	s_delay_alu instid0(VALU_DEP_1) | instskip(NEXT) | instid1(VALU_DEP_1)
	v_fmac_f32_e32 v5, 0xbfb8aa3b, v4
	v_exp_f32_e32 v4, v5
	v_cndmask_b32_e64 v5, 1.0, 0x1f800000, vcc_lo
	s_and_not1_b32 vcc_lo, exec_lo, s2
	s_waitcnt_depctr 0xfff
	v_fma_f32 v4, v4, v5, 1.0
	s_delay_alu instid0(VALU_DEP_1)
	v_rcp_f32_e32 v17, v4
	v_cndmask_b32_e64 v4, 0, 1, s2
	s_waitcnt_depctr 0xfff
	v_mov_b32_e32 v33, v17
	s_cbranch_vccnz .LBB244_4
; %bb.3:
	global_load_u16 v5, v3, s[6:7] offset:64
	s_waitcnt vmcnt(0)
	v_cvt_f32_f16_e32 v5, v5
	s_delay_alu instid0(VALU_DEP_1)
	v_add_f32_e32 v33, v17, v5
.LBB244_4:
	global_load_u16 v5, v[1:2], off offset:128
	s_waitcnt vmcnt(0)
	v_lshlrev_b32_e32 v5, 16, v5
	s_delay_alu instid0(VALU_DEP_1) | instskip(NEXT) | instid1(VALU_DEP_1)
	v_mul_f32_e32 v6, 0xbfb8aa3b, v5
	v_cmp_gt_f32_e32 vcc_lo, 0xc2fc0000, v6
	v_cndmask_b32_e64 v6, 0, 0x42800000, vcc_lo
	s_delay_alu instid0(VALU_DEP_1) | instskip(NEXT) | instid1(VALU_DEP_1)
	v_fmac_f32_e32 v6, 0xbfb8aa3b, v5
	v_exp_f32_e32 v5, v6
	v_cndmask_b32_e64 v6, 1.0, 0x1f800000, vcc_lo
	v_cmp_ne_u32_e32 vcc_lo, 1, v4
	s_waitcnt_depctr 0xfff
	v_fma_f32 v5, v5, v6, 1.0
	s_delay_alu instid0(VALU_DEP_1)
	v_rcp_f32_e32 v18, v5
	s_waitcnt_depctr 0xfff
	v_mov_b32_e32 v34, v18
	s_cbranch_vccnz .LBB244_6
; %bb.5:
	global_load_u16 v5, v3, s[6:7] offset:128
	s_waitcnt vmcnt(0)
	v_cvt_f32_f16_e32 v5, v5
	s_delay_alu instid0(VALU_DEP_1)
	v_add_f32_e32 v34, v18, v5
.LBB244_6:
	global_load_u16 v5, v[1:2], off offset:192
	s_waitcnt vmcnt(0)
	v_lshlrev_b32_e32 v5, 16, v5
	s_delay_alu instid0(VALU_DEP_1) | instskip(NEXT) | instid1(VALU_DEP_1)
	v_mul_f32_e32 v6, 0xbfb8aa3b, v5
	v_cmp_gt_f32_e32 vcc_lo, 0xc2fc0000, v6
	v_cndmask_b32_e64 v6, 0, 0x42800000, vcc_lo
	s_delay_alu instid0(VALU_DEP_1) | instskip(NEXT) | instid1(VALU_DEP_1)
	v_fmac_f32_e32 v6, 0xbfb8aa3b, v5
	v_exp_f32_e32 v5, v6
	v_cndmask_b32_e64 v6, 1.0, 0x1f800000, vcc_lo
	v_cmp_ne_u32_e32 vcc_lo, 1, v4
	s_waitcnt_depctr 0xfff
	v_fma_f32 v5, v5, v6, 1.0
	s_delay_alu instid0(VALU_DEP_1)
	v_rcp_f32_e32 v19, v5
	;; [unrolled: 26-line block ×6, first 2 shown]
	s_cbranch_vccnz .LBB244_16
; %bb.15:
	global_load_u16 v1, v3, s[6:7] offset:448
	s_waitcnt vmcnt(0)
	v_cvt_f32_f16_e32 v1, v1
	s_delay_alu instid0(VALU_DEP_1)
	v_add_f32_e32 v39, v23, v1
	s_branch .LBB244_17
.LBB244_16:
	s_waitcnt_depctr 0xfff
	v_mov_b32_e32 v39, v23
.LBB244_17:
	v_add_nc_u32_e32 v7, 0xe0, v0
	v_dual_mov_b32 v8, v32 :: v_dual_add_nc_u32 v1, 32, v0
	v_dual_mov_b32 v9, v33 :: v_dual_add_nc_u32 v2, 64, v0
	;; [unrolled: 1-line block ×6, first 2 shown]
	v_dual_mov_b32 v14, v38 :: v_dual_mov_b32 v31, v7
	s_delay_alu instid0(VALU_DEP_2)
	v_dual_mov_b32 v47, v7 :: v_dual_mov_b32 v46, v6
	v_dual_mov_b32 v78, v7 :: v_dual_mov_b32 v77, v6
	;; [unrolled: 1-line block ×9, first 2 shown]
	v_mov_b32_e32 v40, v0
	v_dual_mov_b32 v76, v5 :: v_dual_mov_b32 v75, v4
	v_dual_mov_b32 v74, v3 :: v_dual_mov_b32 v73, v2
	;; [unrolled: 1-line block ×7, first 2 shown]
	s_mov_b32 s2, exec_lo
	v_cmpx_lt_f32_e32 v32, v33
	s_xor_b32 s2, exec_lo, s2
	s_cbranch_execz .LBB244_19
; %bb.18:
	v_dual_mov_b32 v30, v6 :: v_dual_mov_b32 v31, v7
	v_dual_mov_b32 v24, v1 :: v_dual_mov_b32 v25, v0
	;; [unrolled: 1-line block ×4, first 2 shown]
	s_delay_alu instid0(VALU_DEP_4)
	v_dual_mov_b32 v47, v31 :: v_dual_mov_b32 v46, v30
	v_dual_mov_b32 v78, v31 :: v_dual_mov_b32 v77, v30
	;; [unrolled: 1-line block ×17, first 2 shown]
	v_mov_b32_e32 v17, v48
	v_mov_b32_e32 v1, v0
.LBB244_19:
	s_or_b32 exec_lo, exec_lo, s2
	v_dual_mov_b32 v62, v23 :: v_dual_mov_b32 v61, v22
	v_dual_mov_b32 v86, v23 :: v_dual_mov_b32 v85, v22
	;; [unrolled: 1-line block ×16, first 2 shown]
	v_mov_b32_e32 v32, v10
	s_mov_b32 s2, exec_lo
	v_cmpx_lt_f32_e32 v33, v10
	s_cbranch_execz .LBB244_21
; %bb.20:
	v_dual_mov_b32 v70, v31 :: v_dual_mov_b32 v69, v30
	v_dual_mov_b32 v64, v25 :: v_dual_mov_b32 v63, v24
	;; [unrolled: 1-line block ×13, first 2 shown]
	v_mov_b32_e32 v74, v3
	v_dual_mov_b32 v87, v95 :: v_dual_mov_b32 v88, v96
	v_dual_mov_b32 v76, v68 :: v_dual_mov_b32 v75, v67
	;; [unrolled: 1-line block ×5, first 2 shown]
	v_mov_b32_e32 v90, v19
	v_dual_mov_b32 v40, v71 :: v_dual_mov_b32 v45, v76
	v_mov_b32_e32 v41, v72
	v_dual_mov_b32 v43, v74 :: v_dual_mov_b32 v46, v77
	;; [unrolled: 2-line block ×3, first 2 shown]
	v_dual_mov_b32 v42, v73 :: v_dual_mov_b32 v47, v78
	v_dual_mov_b32 v44, v4 :: v_dual_mov_b32 v81, v89
	;; [unrolled: 1-line block ×5, first 2 shown]
	v_mov_b32_e32 v84, v92
	v_mov_b32_e32 v86, v94
	v_dual_mov_b32 v24, v40 :: v_dual_mov_b32 v29, v45
	v_dual_mov_b32 v30, v46 :: v_dual_mov_b32 v25, v41
	;; [unrolled: 1-line block ×6, first 2 shown]
	v_mov_b32_e32 v61, v22
	v_mov_b32_e32 v62, v86
	v_dual_mov_b32 v28, v44 :: v_dual_mov_b32 v29, v5
	v_dual_mov_b32 v31, v7 :: v_dual_mov_b32 v32, v33
	v_dual_mov_b32 v59, v83 :: v_dual_mov_b32 v56, v80
	v_mov_b32_e32 v57, v81
	v_mov_b32_e32 v60, v21
	;; [unrolled: 1-line block ×5, first 2 shown]
.LBB244_21:
	s_or_b32 exec_lo, exec_lo, s2
	v_mov_b32_e32 v1, v11
	s_mov_b32 s2, exec_lo
	v_cmpx_lt_f32_e32 v32, v11
	s_cbranch_execz .LBB244_23
; %bb.22:
	v_mov_b32_e32 v97, v19
	v_mov_b32_e32 v65, v3
	v_dual_mov_b32 v87, v95 :: v_dual_mov_b32 v88, v96
	v_mov_b32_e32 v78, v70
	v_dual_mov_b32 v92, v100 :: v_dual_mov_b32 v71, v63
	v_dual_mov_b32 v90, v98 :: v_dual_mov_b32 v91, v99
	;; [unrolled: 1-line block ×8, first 2 shown]
	v_mov_b32_e32 v80, v88
	s_delay_alu instid0(VALU_DEP_3)
	v_dual_mov_b32 v40, v71 :: v_dual_mov_b32 v41, v72
	v_dual_mov_b32 v83, v91 :: v_dual_mov_b32 v84, v92
	;; [unrolled: 1-line block ×20, first 2 shown]
	v_mov_b32_e32 v1, v32
	v_mov_b32_e32 v19, v18
	;; [unrolled: 1-line block ×3, first 2 shown]
.LBB244_23:
	s_or_b32 exec_lo, exec_lo, s2
	v_mov_b32_e32 v2, v12
	s_mov_b32 s2, exec_lo
	v_cmpx_lt_f32_e32 v1, v12
	s_cbranch_execz .LBB244_25
; %bb.24:
	v_mov_b32_e32 v98, v20
	v_dual_mov_b32 v66, v4 :: v_dual_mov_b32 v79, v95
	v_dual_mov_b32 v40, v63 :: v_dual_mov_b32 v41, v64
	;; [unrolled: 1-line block ×3, first 2 shown]
	s_delay_alu instid0(VALU_DEP_3)
	v_dual_mov_b32 v43, v66 :: v_dual_mov_b32 v80, v96
	v_mov_b32_e32 v81, v97
	v_dual_mov_b32 v46, v69 :: v_dual_mov_b32 v83, v99
	v_dual_mov_b32 v42, v65 :: v_dual_mov_b32 v45, v68
	;; [unrolled: 1-line block ×5, first 2 shown]
	v_mov_b32_e32 v44, v3
	v_dual_mov_b32 v55, v79 :: v_dual_mov_b32 v56, v80
	v_dual_mov_b32 v57, v81 :: v_dual_mov_b32 v24, v40
	;; [unrolled: 1-line block ×10, first 2 shown]
	v_mov_b32_e32 v73, v65
	v_dual_mov_b32 v12, v1 :: v_dual_mov_b32 v27, v43
	v_dual_mov_b32 v60, v21 :: v_dual_mov_b32 v61, v22
	;; [unrolled: 1-line block ×8, first 2 shown]
	v_mov_b32_e32 v74, v66
	v_mov_b32_e32 v72, v64
	;; [unrolled: 1-line block ×5, first 2 shown]
.LBB244_25:
	s_or_b32 exec_lo, exec_lo, s2
	v_mov_b32_e32 v1, v13
	s_mov_b32 s2, exec_lo
	v_cmpx_lt_f32_e32 v2, v13
	s_cbranch_execz .LBB244_27
; %bb.26:
	v_mov_b32_e32 v75, v5
	v_dual_mov_b32 v91, v21 :: v_dual_mov_b32 v24, v71
	v_mov_b32_e32 v30, v77
	v_mov_b32_e32 v30, v6
	;; [unrolled: 1-line block ×4, first 2 shown]
	v_dual_mov_b32 v55, v87 :: v_dual_mov_b32 v60, v92
	v_dual_mov_b32 v79, v87 :: v_dual_mov_b32 v82, v90
	;; [unrolled: 1-line block ×17, first 2 shown]
	v_mov_b32_e32 v21, v20
	v_mov_b32_e32 v5, v4
	;; [unrolled: 1-line block ×4, first 2 shown]
.LBB244_27:
	s_or_b32 exec_lo, exec_lo, s2
	v_mov_b32_e32 v2, v14
	s_mov_b32 s2, exec_lo
	v_cmpx_lt_f32_e32 v1, v14
	s_cbranch_execz .LBB244_29
; %bb.28:
	v_dual_mov_b32 v45, v6 :: v_dual_mov_b32 v46, v5
	v_dual_mov_b32 v84, v22 :: v_dual_mov_b32 v85, v21
	;; [unrolled: 1-line block ×12, first 2 shown]
	v_mov_b32_e32 v2, v1
.LBB244_29:
	s_or_b32 exec_lo, exec_lo, s2
	s_delay_alu instid0(VALU_DEP_1)
	v_cmp_lt_f32_e32 vcc_lo, v2, v15
	v_dual_mov_b32 v40, v56 :: v_dual_mov_b32 v43, v59
	v_cmp_lt_f32_e64 s2, v8, v9
	v_dual_mov_b32 v41, v57 :: v_dual_mov_b32 v42, v58
	v_dual_cndmask_b32 v23, v15, v2 :: v_dual_cndmask_b32 v14, v14, v15
	v_dual_cndmask_b32 v46, v62, v61 :: v_dual_mov_b32 v39, v55
	s_delay_alu instid0(VALU_DEP_2) | instskip(SKIP_3) | instid1(VALU_DEP_4)
	v_dual_mov_b32 v44, v60 :: v_dual_mov_b32 v15, v23
	v_cndmask_b32_e32 v45, v61, v62, vcc_lo
	v_dual_cndmask_b32 v54, v31, v30 :: v_dual_cndmask_b32 v53, v30, v31
	v_dual_mov_b32 v47, v24 :: v_dual_mov_b32 v50, v27
	v_mov_b32_e32 v22, v15
	v_dual_mov_b32 v21, v14 :: v_dual_mov_b32 v20, v13
	v_dual_mov_b32 v19, v12 :: v_dual_mov_b32 v18, v11
	;; [unrolled: 1-line block ×5, first 2 shown]
	v_mov_b32_e32 v51, v28
	s_and_saveexec_b32 s3, s2
	s_delay_alu instid0(SALU_CYCLE_1)
	s_xor_b32 s2, exec_lo, s3
	s_cbranch_execz .LBB244_31
; %bb.30:
	v_dual_mov_b32 v16, v9 :: v_dual_mov_b32 v17, v8
	v_dual_mov_b32 v18, v10 :: v_dual_mov_b32 v19, v11
	;; [unrolled: 1-line block ×4, first 2 shown]
	s_delay_alu instid0(VALU_DEP_4)
	v_dual_mov_b32 v15, v16 :: v_dual_mov_b32 v40, v55
	v_dual_mov_b32 v16, v17 :: v_dual_mov_b32 v39, v56
	v_dual_mov_b32 v17, v18 :: v_dual_mov_b32 v44, v60
	v_dual_mov_b32 v18, v19 :: v_dual_mov_b32 v41, v57
	v_dual_mov_b32 v19, v20 :: v_dual_mov_b32 v42, v58
	v_dual_mov_b32 v20, v21 :: v_dual_mov_b32 v43, v59
	v_dual_mov_b32 v21, v22 :: v_dual_mov_b32 v48, v24
	v_dual_mov_b32 v22, v23 :: v_dual_mov_b32 v47, v25
	v_dual_mov_b32 v49, v26 :: v_dual_mov_b32 v50, v27
	v_dual_mov_b32 v51, v28 :: v_dual_mov_b32 v52, v29
.LBB244_31:
	s_or_b32 exec_lo, exec_lo, s2
	v_dual_mov_b32 v31, v39 :: v_dual_mov_b32 v32, v40
	v_dual_mov_b32 v78, v46 :: v_dual_mov_b32 v77, v45
	;; [unrolled: 1-line block ×22, first 2 shown]
	v_mov_b32_e32 v10, v17
	s_mov_b32 s2, exec_lo
	v_dual_mov_b32 v76, v44 :: v_dual_mov_b32 v75, v43
	v_dual_mov_b32 v68, v52 :: v_dual_mov_b32 v67, v51
	v_cmpx_lt_f32_e32 v9, v17
	s_cbranch_execz .LBB244_33
; %bb.32:
	v_dual_mov_b32 v1, v47 :: v_dual_mov_b32 v2, v48
	v_dual_mov_b32 v7, v53 :: v_dual_mov_b32 v8, v54
	v_mov_b32_e32 v2, v49
	v_dual_mov_b32 v3, v49 :: v_dual_mov_b32 v4, v50
	v_dual_mov_b32 v5, v51 :: v_dual_mov_b32 v6, v52
	;; [unrolled: 1-line block ×7, first 2 shown]
	v_mov_b32_e32 v57, v40
	v_dual_mov_b32 v70, v8 :: v_dual_mov_b32 v69, v7
	v_dual_mov_b32 v64, v2 :: v_dual_mov_b32 v63, v1
	;; [unrolled: 1-line block ×6, first 2 shown]
	v_mov_b32_e32 v66, v50
	v_dual_mov_b32 v16, v17 :: v_dual_mov_b32 v75, v59
	v_dual_mov_b32 v17, v9 :: v_dual_mov_b32 v76, v60
	;; [unrolled: 1-line block ×17, first 2 shown]
.LBB244_33:
	s_or_b32 exec_lo, exec_lo, s2
	v_mov_b32_e32 v9, v18
	s_mov_b32 s2, exec_lo
	s_delay_alu instid0(VALU_DEP_2)
	v_cmpx_lt_f32_e32 v10, v18
	s_cbranch_execz .LBB244_35
; %bb.34:
	v_mov_b32_e32 v3, v50
	v_dual_mov_b32 v57, v42 :: v_dual_mov_b32 v70, v8
	v_mov_b32_e32 v66, v4
	v_dual_mov_b32 v78, v62 :: v_dual_mov_b32 v77, v61
	v_mov_b32_e32 v66, v49
	v_mov_b32_e32 v63, v1
	;; [unrolled: 1-line block ×3, first 2 shown]
	v_dual_mov_b32 v69, v7 :: v_dual_mov_b32 v68, v6
	v_dual_mov_b32 v67, v5 :: v_dual_mov_b32 v64, v2
	;; [unrolled: 1-line block ×4, first 2 shown]
	v_mov_b32_e32 v65, v3
	v_dual_mov_b32 v73, v57 :: v_dual_mov_b32 v72, v56
	v_mov_b32_e32 v74, v41
	v_dual_mov_b32 v18, v10 :: v_dual_mov_b32 v23, v63
	v_dual_mov_b32 v24, v64 :: v_dual_mov_b32 v31, v71
	s_delay_alu instid0(VALU_DEP_4)
	v_dual_mov_b32 v32, v72 :: v_dual_mov_b32 v27, v67
	v_dual_mov_b32 v28, v68 :: v_dual_mov_b32 v29, v69
	;; [unrolled: 1-line block ×10, first 2 shown]
	v_mov_b32_e32 v38, v46
	v_dual_mov_b32 v9, v10 :: v_dual_mov_b32 v42, v41
	v_mov_b32_e32 v50, v49
.LBB244_35:
	s_or_b32 exec_lo, exec_lo, s2
	v_mov_b32_e32 v4, v19
	s_mov_b32 s2, exec_lo
	v_cmpx_lt_f32_e32 v9, v19
	s_cbranch_execz .LBB244_37
; %bb.36:
	v_mov_b32_e32 v4, v51
	v_dual_mov_b32 v18, v19 :: v_dual_mov_b32 v19, v9
	v_mov_b32_e32 v58, v43
	v_dual_mov_b32 v30, v8 :: v_dual_mov_b32 v29, v7
	v_dual_mov_b32 v28, v6 :: v_dual_mov_b32 v25, v3
	v_dual_mov_b32 v23, v1 :: v_dual_mov_b32 v28, v52
	v_mov_b32_e32 v31, v55
	v_dual_mov_b32 v27, v5 :: v_dual_mov_b32 v32, v56
	v_dual_mov_b32 v35, v59 :: v_dual_mov_b32 v34, v58
	v_dual_mov_b32 v37, v61 :: v_dual_mov_b32 v36, v60
	v_mov_b32_e32 v35, v42
	v_dual_mov_b32 v38, v62 :: v_dual_mov_b32 v37, v45
	v_dual_mov_b32 v78, v62 :: v_dual_mov_b32 v73, v57
	v_dual_mov_b32 v70, v8 :: v_dual_mov_b32 v65, v3
	v_dual_mov_b32 v26, v4 :: v_dual_mov_b32 v27, v50
	;; [unrolled: 1-line block ×11, first 2 shown]
	v_mov_b32_e32 v64, v2
	v_dual_mov_b32 v4, v9 :: v_dual_mov_b32 v51, v50
.LBB244_37:
	s_or_b32 exec_lo, exec_lo, s2
	v_mov_b32_e32 v1, v20
	s_mov_b32 s2, exec_lo
	s_delay_alu instid0(VALU_DEP_2)
	v_cmpx_lt_f32_e32 v4, v20
	s_cbranch_execz .LBB244_39
; %bb.38:
	v_dual_mov_b32 v67, v52 :: v_dual_mov_b32 v68, v51
	v_dual_mov_b32 v69, v53 :: v_dual_mov_b32 v76, v43
	;; [unrolled: 1-line block ×4, first 2 shown]
	v_mov_b32_e32 v19, v20
	v_dual_mov_b32 v20, v4 :: v_dual_mov_b32 v31, v71
	v_dual_mov_b32 v23, v63 :: v_dual_mov_b32 v24, v64
	;; [unrolled: 1-line block ×9, first 2 shown]
.LBB244_39:
	s_or_b32 exec_lo, exec_lo, s2
	s_delay_alu instid0(VALU_DEP_1)
	v_cmp_lt_f32_e32 vcc_lo, v1, v21
	v_mov_b32_e32 v4, v18
	v_mov_b32_e32 v8, v22
	s_mov_b32 s2, exec_lo
	v_dual_mov_b32 v2, v16 :: v_dual_cndmask_b32 v9, v37, v36
	v_cndmask_b32_e32 v36, v36, v37, vcc_lo
	v_cndmask_b32_e32 v10, v29, v28, vcc_lo
	v_dual_cndmask_b32 v28, v28, v29 :: v_dual_mov_b32 v3, v17
	v_cndmask_b32_e32 v7, v21, v1, vcc_lo
	v_dual_cndmask_b32 v6, v20, v21 :: v_dual_mov_b32 v5, v19
	v_mov_b32_e32 v1, v15
	v_cmpx_lt_f32_e32 v15, v16
	s_cbranch_execz .LBB244_41
; %bb.40:
	s_delay_alu instid0(VALU_DEP_2)
	v_dual_mov_b32 v39, v2 :: v_dual_mov_b32 v40, v1
	v_dual_mov_b32 v41, v3 :: v_dual_mov_b32 v42, v4
	;; [unrolled: 1-line block ×4, first 2 shown]
	v_mov_b32_e32 v11, v31
	v_mov_b32_e32 v12, v23
	v_dual_mov_b32 v1, v39 :: v_dual_mov_b32 v4, v42
	v_swap_b32 v31, v32
	v_swap_b32 v23, v24
	v_dual_mov_b32 v2, v40 :: v_dual_mov_b32 v3, v41
	v_dual_mov_b32 v5, v43 :: v_dual_mov_b32 v6, v44
	;; [unrolled: 1-line block ×3, first 2 shown]
	v_mov_b32_e32 v16, v15
.LBB244_41:
	s_or_b32 exec_lo, exec_lo, s2
	v_mov_b32_e32 v29, v10
	v_dual_mov_b32 v37, v9 :: v_dual_mov_b32 v54, v30
	v_mov_b32_e32 v46, v38
	v_dual_mov_b32 v44, v36 :: v_dual_mov_b32 v39, v31
	v_dual_mov_b32 v70, v38 :: v_dual_mov_b32 v49, v25
	s_delay_alu instid0(VALU_DEP_4)
	v_dual_mov_b32 v62, v30 :: v_dual_mov_b32 v45, v37
	v_dual_mov_b32 v43, v35 :: v_dual_mov_b32 v42, v34
	;; [unrolled: 1-line block ×12, first 2 shown]
	v_mov_b32_e32 v57, v25
	v_mov_b32_e32 v55, v23
	;; [unrolled: 1-line block ×3, first 2 shown]
	s_mov_b32 s2, exec_lo
	v_cmpx_lt_f32_e32 v16, v3
	s_cbranch_execz .LBB244_43
; %bb.42:
	v_dual_mov_b32 v62, v30 :: v_dual_mov_b32 v61, v29
	v_dual_mov_b32 v58, v26 :: v_dual_mov_b32 v57, v25
	;; [unrolled: 1-line block ×7, first 2 shown]
	s_delay_alu instid0(VALU_DEP_4)
	v_dual_mov_b32 v47, v55 :: v_dual_mov_b32 v48, v56
	v_dual_mov_b32 v68, v36 :: v_dual_mov_b32 v67, v35
	;; [unrolled: 1-line block ×16, first 2 shown]
	v_mov_b32_e32 v44, v36
	v_dual_mov_b32 v46, v38 :: v_dual_mov_b32 v11, v16
	v_mov_b32_e32 v33, v32
	v_mov_b32_e32 v25, v24
.LBB244_43:
	s_or_b32 exec_lo, exec_lo, s2
	v_mov_b32_e32 v12, v4
	s_mov_b32 s2, exec_lo
	v_cmpx_lt_f32_e32 v11, v4
	s_cbranch_execz .LBB244_45
; %bb.44:
	v_mov_b32_e32 v57, v26
	v_dual_mov_b32 v3, v4 :: v_dual_mov_b32 v4, v11
	v_mov_b32_e32 v65, v34
	v_dual_mov_b32 v47, v55 :: v_dual_mov_b32 v52, v60
	v_dual_mov_b32 v48, v56 :: v_dual_mov_b32 v39, v63
	;; [unrolled: 1-line block ×3, first 2 shown]
	v_mov_b32_e32 v54, v62
	v_dual_mov_b32 v50, v58 :: v_dual_mov_b32 v51, v59
	v_mov_b32_e32 v50, v25
	v_dual_mov_b32 v53, v61 :: v_dual_mov_b32 v52, v28
	v_dual_mov_b32 v41, v65 :: v_dual_mov_b32 v44, v68
	;; [unrolled: 1-line block ×8, first 2 shown]
	v_mov_b32_e32 v12, v11
	v_mov_b32_e32 v34, v33
	;; [unrolled: 1-line block ×3, first 2 shown]
.LBB244_45:
	s_or_b32 exec_lo, exec_lo, s2
	v_mov_b32_e32 v11, v5
	s_mov_b32 s2, exec_lo
	v_cmpx_lt_f32_e32 v12, v5
	s_cbranch_execz .LBB244_47
; %bb.46:
	v_dual_mov_b32 v68, v36 :: v_dual_mov_b32 v69, v9
	v_dual_mov_b32 v58, v27 :: v_dual_mov_b32 v59, v26
	;; [unrolled: 1-line block ×4, first 2 shown]
	v_mov_b32_e32 v70, v38
	v_dual_mov_b32 v4, v5 :: v_dual_mov_b32 v5, v12
	v_dual_mov_b32 v62, v30 :: v_dual_mov_b32 v39, v63
	;; [unrolled: 1-line block ×10, first 2 shown]
.LBB244_47:
	s_or_b32 exec_lo, exec_lo, s2
	s_delay_alu instid0(VALU_DEP_1)
	v_cmp_lt_f32_e32 vcc_lo, v11, v6
	v_dual_mov_b32 v19, v1 :: v_dual_mov_b32 v26, v8
	v_mov_b32_e32 v21, v3
	v_mov_b32_e32 v25, v7
	v_dual_cndmask_b32 v27, v44, v43 :: v_dual_mov_b32 v20, v2
	v_dual_cndmask_b32 v43, v43, v44 :: v_dual_cndmask_b32 v28, v52, v51
	v_dual_cndmask_b32 v51, v51, v52 :: v_dual_cndmask_b32 v24, v6, v11
	v_dual_cndmask_b32 v23, v5, v6 :: v_dual_mov_b32 v22, v4
	s_mov_b32 s2, exec_lo
	v_cmpx_lt_f32_e32 v1, v2
	s_cbranch_execz .LBB244_49
; %bb.48:
	v_dual_mov_b32 v8, v25 :: v_dual_mov_b32 v9, v26
	v_dual_mov_b32 v2, v20 :: v_dual_mov_b32 v3, v19
	;; [unrolled: 1-line block ×4, first 2 shown]
	v_mov_b32_e32 v10, v39
	v_dual_mov_b32 v11, v47 :: v_dual_mov_b32 v26, v9
	v_swap_b32 v39, v40
	v_swap_b32 v47, v48
	v_dual_mov_b32 v25, v8 :: v_dual_mov_b32 v24, v7
	v_dual_mov_b32 v23, v6 :: v_dual_mov_b32 v22, v5
	;; [unrolled: 1-line block ×4, first 2 shown]
.LBB244_49:
	s_or_b32 exec_lo, exec_lo, s2
	v_mov_b32_e32 v52, v28
	v_mov_b32_e32 v44, v27
	;; [unrolled: 1-line block ×4, first 2 shown]
	v_dual_mov_b32 v11, v39 :: v_dual_mov_b32 v4, v48
	v_dual_mov_b32 v12, v40 :: v_dual_mov_b32 v13, v41
	;; [unrolled: 1-line block ×7, first 2 shown]
	v_mov_b32_e32 v10, v54
	s_mov_b32 s2, exec_lo
	v_cmpx_lt_f32_e32 v2, v21
	s_cbranch_execz .LBB244_51
; %bb.50:
	v_dual_mov_b32 v3, v47 :: v_dual_mov_b32 v4, v48
	v_dual_mov_b32 v9, v53 :: v_dual_mov_b32 v10, v54
	;; [unrolled: 1-line block ×17, first 2 shown]
	v_mov_b32_e32 v49, v48
.LBB244_51:
	s_or_b32 exec_lo, exec_lo, s2
	v_mov_b32_e32 v29, v22
	s_mov_b32 s2, exec_lo
	v_cmpx_lt_f32_e32 v1, v22
; %bb.52:
	v_dual_mov_b32 v21, v22 :: v_dual_mov_b32 v22, v1
	v_dual_mov_b32 v5, v50 :: v_dual_mov_b32 v6, v49
	v_dual_mov_b32 v7, v51 :: v_dual_mov_b32 v8, v28
	v_dual_mov_b32 v9, v53 :: v_dual_mov_b32 v10, v54
	v_dual_mov_b32 v13, v42 :: v_dual_mov_b32 v14, v41
	v_dual_mov_b32 v15, v43 :: v_dual_mov_b32 v18, v46
	v_dual_mov_b32 v16, v27 :: v_dual_mov_b32 v17, v45
	v_mov_b32_e32 v29, v1
; %bb.53:
	s_or_b32 exec_lo, exec_lo, s2
	s_delay_alu instid0(VALU_DEP_1)
	v_cmp_lt_f32_e32 vcc_lo, v29, v23
	v_dual_mov_b32 v28, v20 :: v_dual_mov_b32 v33, v25
	v_mov_b32_e32 v32, v24
	v_dual_mov_b32 v34, v26 :: v_dual_cndmask_b32 v1, v15, v14
	v_cndmask_b32_e32 v14, v14, v15, vcc_lo
	v_cndmask_b32_e32 v2, v7, v6, vcc_lo
	v_dual_cndmask_b32 v6, v6, v7 :: v_dual_cndmask_b32 v31, v23, v29
	v_dual_cndmask_b32 v30, v22, v23 :: v_dual_mov_b32 v27, v19
	v_mov_b32_e32 v29, v21
	s_mov_b32 s2, exec_lo
	v_cmpx_lt_f32_e32 v19, v20
	s_cbranch_execz .LBB244_55
; %bb.54:
	v_dual_mov_b32 v20, v28 :: v_dual_mov_b32 v21, v27
	v_dual_mov_b32 v26, v33 :: v_dual_mov_b32 v27, v34
	;; [unrolled: 1-line block ×4, first 2 shown]
	s_delay_alu instid0(VALU_DEP_3)
	v_mov_b32_e32 v34, v27
	v_mov_b32_e32 v7, v11
	v_dual_mov_b32 v15, v3 :: v_dual_mov_b32 v28, v21
	v_swap_b32 v11, v12
	v_swap_b32 v3, v4
	v_dual_mov_b32 v33, v26 :: v_dual_mov_b32 v30, v23
	v_dual_mov_b32 v32, v25 :: v_dual_mov_b32 v31, v24
	v_mov_b32_e32 v29, v22
	v_dual_mov_b32 v27, v20 :: v_dual_mov_b32 v20, v19
.LBB244_55:
	s_or_b32 exec_lo, exec_lo, s2
	v_mov_b32_e32 v7, v2
	v_mov_b32_e32 v15, v1
	;; [unrolled: 1-line block ×3, first 2 shown]
	s_mov_b32 s2, exec_lo
	v_cmpx_lt_f32_e32 v20, v29
	s_cbranch_execz .LBB244_57
; %bb.56:
	v_dual_mov_b32 v42, v10 :: v_dual_mov_b32 v41, v9
	v_dual_mov_b32 v40, v8 :: v_dual_mov_b32 v39, v7
	v_dual_mov_b32 v38, v6 :: v_dual_mov_b32 v37, v5
	v_dual_mov_b32 v36, v4 :: v_dual_mov_b32 v35, v3
	v_dual_mov_b32 v36, v5 :: v_dual_mov_b32 v37, v4
	v_dual_mov_b32 v38, v6 :: v_dual_mov_b32 v41, v9
	v_dual_mov_b32 v39, v2 :: v_dual_mov_b32 v40, v8
	v_dual_mov_b32 v2, v11 :: v_dual_mov_b32 v3, v12
	v_dual_mov_b32 v8, v17 :: v_dual_mov_b32 v9, v18
	v_dual_mov_b32 v4, v13 :: v_dual_mov_b32 v5, v14
	v_dual_mov_b32 v6, v15 :: v_dual_mov_b32 v7, v16
	v_dual_mov_b32 v9, v18 :: v_dual_mov_b32 v28, v29
	v_dual_mov_b32 v3, v13 :: v_dual_mov_b32 v4, v12
	v_dual_mov_b32 v5, v14 :: v_dual_mov_b32 v6, v1
	v_dual_mov_b32 v7, v16 :: v_dual_mov_b32 v8, v17
	v_dual_mov_b32 v42, v10 :: v_dual_mov_b32 v29, v20
	v_mov_b32_e32 v18, v9
	s_delay_alu instid0(VALU_DEP_3) | instskip(NEXT) | instid1(VALU_DEP_4)
	v_dual_mov_b32 v16, v7 :: v_dual_mov_b32 v15, v6
	v_dual_mov_b32 v17, v8 :: v_dual_mov_b32 v14, v5
	;; [unrolled: 1-line block ×3, first 2 shown]
	v_mov_b32_e32 v11, v2
	v_dual_mov_b32 v3, v35 :: v_dual_mov_b32 v4, v36
	v_dual_mov_b32 v5, v37 :: v_dual_mov_b32 v6, v38
	;; [unrolled: 1-line block ×4, first 2 shown]
	v_mov_b32_e32 v19, v20
.LBB244_57:
	s_or_b32 exec_lo, exec_lo, s2
	s_delay_alu instid0(VALU_DEP_1)
	v_cmp_lt_f32_e32 vcc_lo, v19, v30
	v_dual_mov_b32 v20, v7 :: v_dual_mov_b32 v21, v8
	v_dual_mov_b32 v22, v9 :: v_dual_mov_b32 v23, v10
	v_dual_cndmask_b32 v1, v14, v13 :: v_dual_cndmask_b32 v36, v5, v6
	v_dual_cndmask_b32 v35, v13, v14 :: v_dual_cndmask_b32 v2, v6, v5
	;; [unrolled: 1-line block ×3, first 2 shown]
	v_dual_mov_b32 v6, v15 :: v_dual_mov_b32 v13, v16
	v_dual_mov_b32 v14, v17 :: v_dual_mov_b32 v19, v18
	;; [unrolled: 1-line block ×4, first 2 shown]
	v_mov_b32_e32 v29, v34
	s_mov_b32 s2, exec_lo
	v_cmpx_lt_f32_e32 v27, v28
	s_cbranch_execz .LBB244_59
; %bb.58:
	v_dual_mov_b32 v24, v28 :: v_dual_mov_b32 v37, v27
	v_dual_mov_b32 v6, v11 :: v_dual_mov_b32 v13, v16
	;; [unrolled: 1-line block ×3, first 2 shown]
	v_swap_b32 v11, v12
	v_swap_b32 v3, v4
	v_dual_mov_b32 v28, v27 :: v_dual_mov_b32 v21, v8
	v_dual_mov_b32 v6, v15 :: v_dual_mov_b32 v23, v10
	;; [unrolled: 1-line block ×5, first 2 shown]
	v_mov_b32_e32 v24, v31
	v_mov_b32_e32 v26, v33
.LBB244_59:
	s_or_b32 exec_lo, exec_lo, s2
	s_clause 0x1
	s_load_b32 s8, s[0:1], 0x28
	s_load_b128 s[4:7], s[0:1], 0x10
	s_waitcnt lgkmcnt(0)
	s_cmp_lt_i32 s8, 1
	s_cbranch_scc1 .LBB244_65
; %bb.60:
	v_cmp_lt_f32_e32 vcc_lo, v28, v30
	v_mov_b32_e32 v9, 0
	s_mov_b32 s9, 0x76543210
	s_mov_b32 s10, s8
	v_mov_b32_e32 v8, 0
	v_dual_cndmask_b32 v10, v35, v12 :: v_dual_cndmask_b32 v17, v37, v30
	v_cndmask_b32_e32 v7, v36, v4, vcc_lo
	v_cndmask_b32_e32 v15, v4, v36, vcc_lo
	;; [unrolled: 1-line block ×4, first 2 shown]
	v_cmp_lt_f32_e64 s2, v27, v17
	s_delay_alu instid0(VALU_DEP_1)
	v_cndmask_b32_e64 v12, v15, v3, s2
	v_cndmask_b32_e64 v15, v3, v15, s2
	v_mov_b32_e32 v3, 0
	v_cndmask_b32_e64 v16, v17, v27, s2
	v_cndmask_b32_e64 v17, v27, v17, s2
	;; [unrolled: 1-line block ×4, first 2 shown]
	v_mov_b32_e32 v27, v0
.LBB244_61:                             ; =>This Inner Loop Header: Depth=1
	v_cmp_eq_u32_e32 vcc_lo, 1, v9
	v_cmp_eq_u32_e64 s2, 2, v9
	v_cmp_gt_u32_e64 s3, 8, v9
	v_dual_cndmask_b32 v28, v17, v16 :: v_dual_cndmask_b32 v31, v11, v18
	v_cndmask_b32_e32 v30, v15, v12, vcc_lo
	v_cmp_eq_u32_e32 vcc_lo, 3, v9
	s_delay_alu instid0(VALU_DEP_3) | instskip(NEXT) | instid1(VALU_DEP_4)
	v_cndmask_b32_e64 v28, v28, v4, s2
	v_cndmask_b32_e64 v31, v31, v10, s2
	s_delay_alu instid0(VALU_DEP_4) | instskip(SKIP_1) | instid1(VALU_DEP_4)
	v_cndmask_b32_e64 v30, v30, v7, s2
	v_cmp_eq_u32_e64 s2, 4, v9
	v_cndmask_b32_e32 v28, v28, v5, vcc_lo
	s_delay_alu instid0(VALU_DEP_3) | instskip(SKIP_1) | instid1(VALU_DEP_3)
	v_dual_cndmask_b32 v31, v31, v1 :: v_dual_cndmask_b32 v30, v30, v2
	v_cmp_eq_u32_e32 vcc_lo, 5, v9
	v_cndmask_b32_e64 v28, v28, v24, s2
	s_delay_alu instid0(VALU_DEP_3) | instskip(NEXT) | instid1(VALU_DEP_4)
	v_cndmask_b32_e64 v31, v31, v6, s2
	v_cndmask_b32_e64 v30, v30, v20, s2
	v_cmp_eq_u32_e64 s2, 6, v9
	s_delay_alu instid0(VALU_DEP_4) | instskip(NEXT) | instid1(VALU_DEP_4)
	v_cndmask_b32_e32 v28, v28, v25, vcc_lo
	v_cndmask_b32_e32 v31, v31, v13, vcc_lo
	s_delay_alu instid0(VALU_DEP_4) | instskip(SKIP_1) | instid1(VALU_DEP_4)
	v_cndmask_b32_e32 v30, v30, v21, vcc_lo
	v_cmp_eq_u32_e32 vcc_lo, 7, v9
	v_cndmask_b32_e64 v28, v28, v26, s2
	s_delay_alu instid0(VALU_DEP_3) | instskip(NEXT) | instid1(VALU_DEP_2)
	v_cndmask_b32_e64 v30, v30, v22, s2
	v_cndmask_b32_e32 v28, v28, v29, vcc_lo
	s_delay_alu instid0(VALU_DEP_2) | instskip(NEXT) | instid1(VALU_DEP_2)
	v_cndmask_b32_e32 v30, v30, v23, vcc_lo
	v_cndmask_b32_e64 v28, 0xff800000, v28, s3
	;;#ASMSTART
	v_max_f32 v32, v28, v28 quad_perm:[1,0,3,2] row_mask:0xf bank_mask:0xf bound_ctrl:1
	;;#ASMEND
	;;#ASMSTART
	v_max_f32 v33, v32, v32 quad_perm:[2,3,0,1] row_mask:0xf bank_mask:0xf bound_ctrl:1
	;;#ASMEND
	;;#ASMSTART
	v_max_f32 v32, v33, v33 row_half_mirror row_mask:0xf bank_mask:0xf bound_ctrl:1
	;;#ASMEND
	;;#ASMSTART
	v_max_f32 v33, v32, v32 row_mirror row_mask:0xf bank_mask:0xf bound_ctrl:1
	;;#ASMEND
	v_permlanex16_b32 v32, v33, s9, 0xfedcba98 op_sel:[1,1]
	s_delay_alu instid0(VALU_DEP_1) | instskip(SKIP_1) | instid1(VALU_DEP_2)
	v_dual_max_f32 v33, v33, v33 :: v_dual_max_f32 v32, v32, v32
	v_cndmask_b32_e64 v31, v31, v14, s2
	v_max_f32_e32 v32, v33, v32
	s_delay_alu instid0(VALU_DEP_1) | instskip(SKIP_1) | instid1(VALU_DEP_2)
	v_cmp_eq_f32_e64 s2, v28, v32
	v_cndmask_b32_e64 v28, 0, v30, s3
	s_ctz_i32_b32 s11, s2
	s_cmp_lg_u32 s2, 0
	s_cselect_b32 s2, s11, 0
	s_add_i32 s10, s10, -1
	v_readlane_b32 s11, v28, s2
	v_cndmask_b32_e32 v28, v31, v19, vcc_lo
	s_delay_alu instid0(VALU_DEP_2)
	v_cmp_eq_u32_e32 vcc_lo, s11, v30
	s_and_b32 s2, s11, 31
	s_and_b32 vcc_lo, s3, vcc_lo
	s_cmp_eq_u32 s10, 0
	v_cndmask_b32_e32 v28, 0, v28, vcc_lo
	v_add_co_ci_u32_e32 v9, vcc_lo, 0, v9, vcc_lo
	s_delay_alu instid0(VALU_DEP_2) | instskip(SKIP_2) | instid1(VALU_DEP_2)
	v_readlane_b32 s3, v28, s2
	v_cmp_eq_u32_e64 s2, 0, v27
	v_add_nc_u32_e32 v27, -1, v27
	v_cndmask_b32_e64 v8, v8, s3, s2
	v_cndmask_b32_e64 v3, v3, s11, s2
	s_cbranch_scc0 .LBB244_61
; %bb.62:
	s_mov_b32 s2, exec_lo
	v_cmpx_gt_i32_e64 s8, v0
	s_cbranch_execz .LBB244_64
.LBB244_63:
	s_clause 0x1
	s_load_b64 s[2:3], s[0:1], 0x20
	s_load_b32 s8, s[0:1], 0x30
	s_ashr_i32 s0, s15, 31
	v_lshlrev_b32_e32 v0, 2, v0
	s_waitcnt lgkmcnt(0)
	s_mul_i32 s1, s15, s3
	s_mul_hi_u32 s3, s15, s2
	s_mul_i32 s0, s0, s2
	s_add_i32 s1, s3, s1
	v_mul_f32_e32 v1, s8, v8
	s_add_i32 s1, s1, s0
	s_mul_i32 s0, s15, s2
	s_delay_alu instid0(SALU_CYCLE_1) | instskip(NEXT) | instid1(SALU_CYCLE_1)
	s_lshl_b64 s[0:1], s[0:1], 2
	s_add_u32 s2, s4, s0
	s_addc_u32 s3, s5, s1
	s_add_u32 s0, s6, s0
	s_addc_u32 s1, s7, s1
	s_clause 0x1
	global_store_b32 v0, v1, s[2:3]
	global_store_b32 v0, v3, s[0:1]
.LBB244_64:
	s_nop 0
	s_sendmsg sendmsg(MSG_DEALLOC_VGPRS)
	s_endpgm
.LBB244_65:
	v_dual_mov_b32 v3, 0 :: v_dual_mov_b32 v8, 0
	s_mov_b32 s2, exec_lo
	v_cmpx_gt_i32_e64 s8, v0
	s_cbranch_execnz .LBB244_63
	s_branch .LBB244_64
	.section	.rodata,"a",@progbits
	.p2align	6, 0x0
	.amdhsa_kernel _ZN5aiter24topk_softplus_kernel_optI12hip_bfloat166__halfLi256ELb0ELi1EEEvPKT_PKT0_PfPimiif
		.amdhsa_group_segment_fixed_size 0
		.amdhsa_private_segment_fixed_size 0
		.amdhsa_kernarg_size 52
		.amdhsa_user_sgpr_count 15
		.amdhsa_user_sgpr_dispatch_ptr 0
		.amdhsa_user_sgpr_queue_ptr 0
		.amdhsa_user_sgpr_kernarg_segment_ptr 1
		.amdhsa_user_sgpr_dispatch_id 0
		.amdhsa_user_sgpr_private_segment_size 0
		.amdhsa_wavefront_size32 1
		.amdhsa_uses_dynamic_stack 0
		.amdhsa_enable_private_segment 0
		.amdhsa_system_sgpr_workgroup_id_x 1
		.amdhsa_system_sgpr_workgroup_id_y 0
		.amdhsa_system_sgpr_workgroup_id_z 0
		.amdhsa_system_sgpr_workgroup_info 0
		.amdhsa_system_vgpr_workitem_id 0
		.amdhsa_next_free_vgpr 103
		.amdhsa_next_free_sgpr 16
		.amdhsa_reserve_vcc 1
		.amdhsa_float_round_mode_32 0
		.amdhsa_float_round_mode_16_64 0
		.amdhsa_float_denorm_mode_32 3
		.amdhsa_float_denorm_mode_16_64 3
		.amdhsa_dx10_clamp 1
		.amdhsa_ieee_mode 1
		.amdhsa_fp16_overflow 0
		.amdhsa_workgroup_processor_mode 1
		.amdhsa_memory_ordered 1
		.amdhsa_forward_progress 0
		.amdhsa_shared_vgpr_count 0
		.amdhsa_exception_fp_ieee_invalid_op 0
		.amdhsa_exception_fp_denorm_src 0
		.amdhsa_exception_fp_ieee_div_zero 0
		.amdhsa_exception_fp_ieee_overflow 0
		.amdhsa_exception_fp_ieee_underflow 0
		.amdhsa_exception_fp_ieee_inexact 0
		.amdhsa_exception_int_div_zero 0
	.end_amdhsa_kernel
	.section	.text._ZN5aiter24topk_softplus_kernel_optI12hip_bfloat166__halfLi256ELb0ELi1EEEvPKT_PKT0_PfPimiif,"axG",@progbits,_ZN5aiter24topk_softplus_kernel_optI12hip_bfloat166__halfLi256ELb0ELi1EEEvPKT_PKT0_PfPimiif,comdat
.Lfunc_end244:
	.size	_ZN5aiter24topk_softplus_kernel_optI12hip_bfloat166__halfLi256ELb0ELi1EEEvPKT_PKT0_PfPimiif, .Lfunc_end244-_ZN5aiter24topk_softplus_kernel_optI12hip_bfloat166__halfLi256ELb0ELi1EEEvPKT_PKT0_PfPimiif
                                        ; -- End function
	.section	.AMDGPU.csdata,"",@progbits
; Kernel info:
; codeLenInByte = 6840
; NumSgprs: 18
; NumVgprs: 103
; ScratchSize: 0
; MemoryBound: 0
; FloatMode: 240
; IeeeMode: 1
; LDSByteSize: 0 bytes/workgroup (compile time only)
; SGPRBlocks: 2
; VGPRBlocks: 12
; NumSGPRsForWavesPerEU: 18
; NumVGPRsForWavesPerEU: 103
; Occupancy: 12
; WaveLimiterHint : 0
; COMPUTE_PGM_RSRC2:SCRATCH_EN: 0
; COMPUTE_PGM_RSRC2:USER_SGPR: 15
; COMPUTE_PGM_RSRC2:TRAP_HANDLER: 0
; COMPUTE_PGM_RSRC2:TGID_X_EN: 1
; COMPUTE_PGM_RSRC2:TGID_Y_EN: 0
; COMPUTE_PGM_RSRC2:TGID_Z_EN: 0
; COMPUTE_PGM_RSRC2:TIDIG_COMP_CNT: 0
	.section	.text._ZN5aiter24topk_softplus_kernel_optI12hip_bfloat166__halfLi384ELb1ELi1EEEvPKT_PKT0_PfPimiif,"axG",@progbits,_ZN5aiter24topk_softplus_kernel_optI12hip_bfloat166__halfLi384ELb1ELi1EEEvPKT_PKT0_PfPimiif,comdat
	.protected	_ZN5aiter24topk_softplus_kernel_optI12hip_bfloat166__halfLi384ELb1ELi1EEEvPKT_PKT0_PfPimiif ; -- Begin function _ZN5aiter24topk_softplus_kernel_optI12hip_bfloat166__halfLi384ELb1ELi1EEEvPKT_PKT0_PfPimiif
	.globl	_ZN5aiter24topk_softplus_kernel_optI12hip_bfloat166__halfLi384ELb1ELi1EEEvPKT_PKT0_PfPimiif
	.p2align	8
	.type	_ZN5aiter24topk_softplus_kernel_optI12hip_bfloat166__halfLi384ELb1ELi1EEEvPKT_PKT0_PfPimiif,@function
_ZN5aiter24topk_softplus_kernel_optI12hip_bfloat166__halfLi384ELb1ELi1EEEvPKT_PKT0_PfPimiif: ; @_ZN5aiter24topk_softplus_kernel_optI12hip_bfloat166__halfLi384ELb1ELi1EEEvPKT_PKT0_PfPimiif
; %bb.0:
	s_load_b128 s[4:7], s[0:1], 0x0
	s_mul_i32 s2, s15, 0x180
	v_lshlrev_b32_e32 v3, 1, v0
	s_ashr_i32 s3, s2, 31
	s_delay_alu instid0(SALU_CYCLE_1)
	s_lshl_b64 s[2:3], s[2:3], 1
	s_waitcnt lgkmcnt(0)
	s_add_u32 s4, s4, s2
	s_addc_u32 s5, s5, s3
	s_cmp_lg_u64 s[6:7], 0
	global_load_u16 v1, v3, s[4:5]
	s_cselect_b32 s2, -1, 0
	s_waitcnt vmcnt(0)
	v_lshlrev_b32_e32 v1, 16, v1
	s_delay_alu instid0(VALU_DEP_1) | instskip(NEXT) | instid1(VALU_DEP_1)
	v_mul_f32_e32 v2, 0xbfb8aa3b, v1
	v_cmp_gt_f32_e32 vcc_lo, 0xc2fc0000, v2
	v_cndmask_b32_e64 v2, 0, 0x42800000, vcc_lo
	s_delay_alu instid0(VALU_DEP_1) | instskip(NEXT) | instid1(VALU_DEP_1)
	v_fmac_f32_e32 v2, 0xbfb8aa3b, v1
	v_exp_f32_e32 v1, v2
	v_cndmask_b32_e64 v2, 1.0, 0x1f800000, vcc_lo
	s_and_b32 vcc_lo, exec_lo, s2
	s_waitcnt_depctr 0xfff
	v_fma_f32 v1, v1, v2, 1.0
	s_delay_alu instid0(VALU_DEP_1) | instskip(SKIP_1) | instid1(VALU_DEP_1)
	v_rcp_f32_e32 v37, v1
	v_add_co_u32 v1, s3, s4, v3
	v_add_co_ci_u32_e64 v2, null, s5, 0, s3
	s_waitcnt_depctr 0xfff
	v_mov_b32_e32 v48, v37
	s_cbranch_vccz .LBB245_2
; %bb.1:
	global_load_u16 v4, v3, s[6:7]
	s_waitcnt vmcnt(0)
	v_cvt_f32_f16_e32 v4, v4
	s_delay_alu instid0(VALU_DEP_1)
	v_add_f32_e32 v48, v37, v4
.LBB245_2:
	global_load_u16 v4, v[1:2], off offset:64
	s_waitcnt vmcnt(0)
	v_lshlrev_b32_e32 v4, 16, v4
	s_delay_alu instid0(VALU_DEP_1) | instskip(NEXT) | instid1(VALU_DEP_1)
	v_mul_f32_e32 v5, 0xbfb8aa3b, v4
	v_cmp_gt_f32_e32 vcc_lo, 0xc2fc0000, v5
	v_cndmask_b32_e64 v5, 0, 0x42800000, vcc_lo
	s_delay_alu instid0(VALU_DEP_1) | instskip(NEXT) | instid1(VALU_DEP_1)
	v_fmac_f32_e32 v5, 0xbfb8aa3b, v4
	v_exp_f32_e32 v4, v5
	v_cndmask_b32_e64 v5, 1.0, 0x1f800000, vcc_lo
	s_and_not1_b32 vcc_lo, exec_lo, s2
	s_waitcnt_depctr 0xfff
	v_fma_f32 v4, v4, v5, 1.0
	s_delay_alu instid0(VALU_DEP_1)
	v_rcp_f32_e32 v14, v4
	v_cndmask_b32_e64 v4, 0, 1, s2
	s_waitcnt_depctr 0xfff
	v_mov_b32_e32 v49, v14
	s_cbranch_vccnz .LBB245_4
; %bb.3:
	global_load_u16 v5, v3, s[6:7] offset:64
	s_waitcnt vmcnt(0)
	v_cvt_f32_f16_e32 v5, v5
	s_delay_alu instid0(VALU_DEP_1)
	v_add_f32_e32 v49, v14, v5
.LBB245_4:
	global_load_u16 v5, v[1:2], off offset:128
	s_waitcnt vmcnt(0)
	v_lshlrev_b32_e32 v5, 16, v5
	s_delay_alu instid0(VALU_DEP_1) | instskip(NEXT) | instid1(VALU_DEP_1)
	v_mul_f32_e32 v6, 0xbfb8aa3b, v5
	v_cmp_gt_f32_e32 vcc_lo, 0xc2fc0000, v6
	v_cndmask_b32_e64 v6, 0, 0x42800000, vcc_lo
	s_delay_alu instid0(VALU_DEP_1) | instskip(NEXT) | instid1(VALU_DEP_1)
	v_fmac_f32_e32 v6, 0xbfb8aa3b, v5
	v_exp_f32_e32 v5, v6
	v_cndmask_b32_e64 v6, 1.0, 0x1f800000, vcc_lo
	v_cmp_ne_u32_e32 vcc_lo, 1, v4
	s_waitcnt_depctr 0xfff
	v_fma_f32 v5, v5, v6, 1.0
	s_delay_alu instid0(VALU_DEP_1)
	v_rcp_f32_e32 v15, v5
	s_waitcnt_depctr 0xfff
	v_mov_b32_e32 v50, v15
	s_cbranch_vccnz .LBB245_6
; %bb.5:
	global_load_u16 v5, v3, s[6:7] offset:128
	s_waitcnt vmcnt(0)
	v_cvt_f32_f16_e32 v5, v5
	s_delay_alu instid0(VALU_DEP_1)
	v_add_f32_e32 v50, v15, v5
.LBB245_6:
	global_load_u16 v5, v[1:2], off offset:192
	s_waitcnt vmcnt(0)
	v_lshlrev_b32_e32 v5, 16, v5
	s_delay_alu instid0(VALU_DEP_1) | instskip(NEXT) | instid1(VALU_DEP_1)
	v_mul_f32_e32 v6, 0xbfb8aa3b, v5
	v_cmp_gt_f32_e32 vcc_lo, 0xc2fc0000, v6
	v_cndmask_b32_e64 v6, 0, 0x42800000, vcc_lo
	s_delay_alu instid0(VALU_DEP_1) | instskip(NEXT) | instid1(VALU_DEP_1)
	v_fmac_f32_e32 v6, 0xbfb8aa3b, v5
	v_exp_f32_e32 v5, v6
	v_cndmask_b32_e64 v6, 1.0, 0x1f800000, vcc_lo
	v_cmp_ne_u32_e32 vcc_lo, 1, v4
	s_waitcnt_depctr 0xfff
	v_fma_f32 v5, v5, v6, 1.0
	s_delay_alu instid0(VALU_DEP_1)
	v_rcp_f32_e32 v16, v5
	;; [unrolled: 26-line block ×10, first 2 shown]
	s_cbranch_vccnz .LBB245_24
; %bb.23:
	global_load_u16 v1, v3, s[6:7] offset:704
	s_waitcnt vmcnt(0)
	v_cvt_f32_f16_e32 v1, v1
	s_delay_alu instid0(VALU_DEP_1)
	v_add_f32_e32 v59, v24, v1
	s_branch .LBB245_25
.LBB245_24:
	s_waitcnt_depctr 0xfff
	v_mov_b32_e32 v59, v24
.LBB245_25:
	v_dual_mov_b32 v1, v48 :: v_dual_add_nc_u32 v26, 32, v0
	v_dual_mov_b32 v2, v49 :: v_dual_add_nc_u32 v27, 64, v0
	;; [unrolled: 1-line block ×11, first 2 shown]
	v_dual_mov_b32 v12, v59 :: v_dual_mov_b32 v13, v37
	v_mov_b32_e32 v25, v0
	s_mov_b32 s2, exec_lo
	v_cmpx_lt_f32_e32 v48, v49
	s_xor_b32 s2, exec_lo, s2
; %bb.26:
	v_dual_mov_b32 v1, v49 :: v_dual_mov_b32 v2, v48
	v_dual_mov_b32 v3, v50 :: v_dual_mov_b32 v4, v51
	;; [unrolled: 1-line block ×6, first 2 shown]
	v_mov_b32_e32 v49, v48
	v_dual_mov_b32 v13, v14 :: v_dual_mov_b32 v14, v37
	v_dual_mov_b32 v25, v26 :: v_dual_mov_b32 v26, v0
; %bb.27:
	s_or_b32 exec_lo, exec_lo, s2
	v_dual_mov_b32 v122, v24 :: v_dual_mov_b32 v119, v21
	v_dual_mov_b32 v86, v24 :: v_dual_mov_b32 v85, v23
	v_dual_mov_b32 v146, v24 :: v_dual_mov_b32 v143, v21
	v_dual_mov_b32 v112, v14 :: v_dual_mov_b32 v61, v24
	v_dual_mov_b32 v134, v24 :: v_dual_mov_b32 v131, v21
	v_dual_mov_b32 v74, v36 :: v_dual_mov_b32 v71, v33
	v_dual_mov_b32 v98, v36 :: v_dual_mov_b32 v95, v33
	v_dual_mov_b32 v48, v36 :: v_dual_mov_b32 v45, v33
	v_dual_mov_b32 v110, v36 :: v_dual_mov_b32 v107, v33
	v_dual_mov_b32 v158, v36 :: v_dual_mov_b32 v155, v33
	v_dual_mov_b32 v170, v36 :: v_dual_mov_b32 v167, v33
	v_dual_mov_b32 v62, v3 :: v_dual_mov_b32 v83, v21
	v_dual_mov_b32 v84, v22 :: v_dual_mov_b32 v81, v19
	v_dual_mov_b32 v82, v20 :: v_dual_mov_b32 v79, v17
	v_dual_mov_b32 v80, v18 :: v_dual_mov_b32 v77, v15
	v_dual_mov_b32 v78, v16 :: v_dual_mov_b32 v75, v13
	v_dual_mov_b32 v76, v14 :: v_dual_mov_b32 v145, v23
	v_dual_mov_b32 v144, v22 :: v_dual_mov_b32 v141, v19
	v_dual_mov_b32 v142, v20 :: v_dual_mov_b32 v139, v17
	v_dual_mov_b32 v140, v18 :: v_dual_mov_b32 v137, v15
	v_dual_mov_b32 v138, v16 :: v_dual_mov_b32 v135, v13
	v_dual_mov_b32 v136, v14 :: v_dual_mov_b32 v121, v23
	v_dual_mov_b32 v120, v22 :: v_dual_mov_b32 v117, v19
	v_dual_mov_b32 v118, v20 :: v_dual_mov_b32 v115, v17
	v_dual_mov_b32 v116, v18 :: v_dual_mov_b32 v113, v15
	v_dual_mov_b32 v114, v16 :: v_dual_mov_b32 v111, v13
	v_dual_mov_b32 v60, v23 :: v_dual_mov_b32 v59, v22
	v_dual_mov_b32 v58, v21 :: v_dual_mov_b32 v57, v20
	v_dual_mov_b32 v56, v19 :: v_dual_mov_b32 v55, v18
	v_dual_mov_b32 v54, v17 :: v_dual_mov_b32 v53, v16
	v_dual_mov_b32 v52, v15 :: v_dual_mov_b32 v51, v14
	v_dual_mov_b32 v50, v13 :: v_dual_mov_b32 v133, v23
	v_dual_mov_b32 v132, v22 :: v_dual_mov_b32 v129, v19
	v_dual_mov_b32 v130, v20 :: v_dual_mov_b32 v127, v17
	v_dual_mov_b32 v128, v18 :: v_dual_mov_b32 v125, v15
	v_dual_mov_b32 v126, v16 :: v_dual_mov_b32 v123, v13
	v_dual_mov_b32 v124, v14 :: v_dual_mov_b32 v73, v35
	s_clause 0x8
	scratch_store_b128 off, v[13:16], off
	scratch_store_b128 off, v[17:20], off offset:16
	scratch_store_b128 off, v[21:24], off offset:32
	;; [unrolled: 1-line block ×8, first 2 shown]
	v_dual_mov_b32 v72, v34 :: v_dual_mov_b32 v69, v31
	v_dual_mov_b32 v70, v32 :: v_dual_mov_b32 v67, v29
	;; [unrolled: 1-line block ×29, first 2 shown]
	v_mov_b32_e32 v160, v26
	s_clause 0x2
	scratch_store_b128 off, v[25:28], off offset:144
	scratch_store_b128 off, v[29:32], off offset:160
	;; [unrolled: 1-line block ×3, first 2 shown]
	s_mov_b32 s2, exec_lo
	v_dual_mov_b32 v182, v36 :: v_dual_mov_b32 v179, v33
	v_dual_mov_b32 v181, v35 :: v_dual_mov_b32 v180, v34
	;; [unrolled: 1-line block ×6, first 2 shown]
	v_cmpx_lt_f32_e32 v49, v3
	s_cbranch_execz .LBB245_29
; %bb.28:
	v_dual_mov_b32 v182, v36 :: v_dual_mov_b32 v179, v33
	v_dual_mov_b32 v174, v28 :: v_dual_mov_b32 v171, v25
	;; [unrolled: 1-line block ×3, first 2 shown]
	v_mov_b32_e32 v172, v26
	v_dual_mov_b32 v62, v49 :: v_dual_mov_b32 v181, v35
	v_dual_mov_b32 v180, v34 :: v_dual_mov_b32 v177, v31
	;; [unrolled: 1-line block ×11, first 2 shown]
	v_mov_b32_e32 v125, v14
	v_dual_mov_b32 v162, v174 :: v_dual_mov_b32 v163, v175
	v_dual_mov_b32 v164, v176 :: v_dual_mov_b32 v165, v177
	;; [unrolled: 1-line block ×5, first 2 shown]
	v_mov_b32_e32 v162, v28
	v_dual_mov_b32 v170, v182 :: v_dual_mov_b32 v37, v159
	s_clause 0x2
	scratch_store_b128 off, v[123:126], off offset:96
	scratch_store_b128 off, v[127:130], off offset:112
	scratch_store_b128 off, v[131:134], off offset:128
	v_dual_mov_b32 v42, v164 :: v_dual_mov_b32 v47, v169
	v_dual_mov_b32 v126, v16 :: v_dual_mov_b32 v45, v167
	;; [unrolled: 1-line block ×5, first 2 shown]
	v_mov_b32_e32 v38, v160
	v_mov_b32_e32 v40, v162
	s_clause 0x2
	scratch_store_b128 off, v[37:40], off offset:144
	scratch_store_b128 off, v[41:44], off offset:160
	;; [unrolled: 1-line block ×3, first 2 shown]
	v_dual_mov_b32 v2, v3 :: v_dual_mov_b32 v3, v49
	v_mov_b32_e32 v147, v159
	v_mov_b32_e32 v127, v17
	;; [unrolled: 1-line block ×3, first 2 shown]
	v_dual_mov_b32 v151, v163 :: v_dual_mov_b32 v148, v160
	v_dual_mov_b32 v153, v165 :: v_dual_mov_b32 v152, v164
	;; [unrolled: 1-line block ×3, first 2 shown]
	v_mov_b32_e32 v158, v170
	v_dual_mov_b32 v150, v162 :: v_dual_mov_b32 v155, v167
	v_mov_b32_e32 v156, v168
	v_mov_b32_e32 v152, v30
	;; [unrolled: 1-line block ×3, first 2 shown]
	v_dual_mov_b32 v27, v26 :: v_dual_mov_b32 v42, v128
	v_mov_b32_e32 v37, v123
	v_dual_mov_b32 v43, v129 :: v_dual_mov_b32 v44, v130
	v_mov_b32_e32 v39, v125
	v_dual_mov_b32 v45, v131 :: v_dual_mov_b32 v46, v132
	v_dual_mov_b32 v47, v133 :: v_dual_mov_b32 v48, v134
	v_mov_b32_e32 v38, v124
	v_mov_b32_e32 v40, v126
	s_clause 0x2
	scratch_store_b128 off, v[37:40], off offset:48
	scratch_store_b128 off, v[41:44], off offset:64
	;; [unrolled: 1-line block ×3, first 2 shown]
	v_mov_b32_e32 v37, v123
	v_mov_b32_e32 v39, v125
	v_dual_mov_b32 v41, v127 :: v_dual_mov_b32 v38, v124
	v_mov_b32_e32 v99, v147
	v_mov_b32_e32 v105, v153
	v_dual_mov_b32 v105, v31 :: v_dual_mov_b32 v106, v154
	v_dual_mov_b32 v40, v126 :: v_dual_mov_b32 v101, v149
	;; [unrolled: 1-line block ×3, first 2 shown]
	v_mov_b32_e32 v110, v158
	v_mov_b32_e32 v50, v123
	v_dual_mov_b32 v100, v148 :: v_dual_mov_b32 v107, v155
	v_dual_mov_b32 v102, v150 :: v_dual_mov_b32 v109, v157
	;; [unrolled: 1-line block ×7, first 2 shown]
	v_mov_b32_e32 v58, v131
	v_mov_b32_e32 v56, v19
	s_clause 0x2
	scratch_store_b128 off, v[37:40], off
	scratch_store_b128 off, v[41:44], off offset:16
	scratch_store_b128 off, v[45:48], off offset:32
	v_dual_mov_b32 v60, v133 :: v_dual_mov_b32 v55, v128
	v_mov_b32_e32 v37, v99
	v_mov_b32_e32 v41, v103
	;; [unrolled: 1-line block ×3, first 2 shown]
	v_dual_mov_b32 v43, v105 :: v_dual_mov_b32 v48, v110
	v_dual_mov_b32 v38, v100 :: v_dual_mov_b32 v45, v107
	v_mov_b32_e32 v44, v106
	v_dual_mov_b32 v122, v61 :: v_dual_mov_b32 v113, v52
	v_dual_mov_b32 v40, v102 :: v_dual_mov_b32 v47, v109
	;; [unrolled: 1-line block ×7, first 2 shown]
	v_mov_b32_e32 v114, v53
	v_mov_b32_e32 v116, v55
	;; [unrolled: 1-line block ×4, first 2 shown]
	v_dual_mov_b32 v98, v48 :: v_dual_mov_b32 v95, v45
	v_mov_b32_e32 v95, v33
	v_mov_b32_e32 v93, v43
	;; [unrolled: 1-line block ×4, first 2 shown]
	v_dual_mov_b32 v87, v37 :: v_dual_mov_b32 v146, v122
	v_dual_mov_b32 v137, v113 :: v_dual_mov_b32 v96, v46
	;; [unrolled: 1-line block ×3, first 2 shown]
	v_mov_b32_e32 v135, v111
	v_dual_mov_b32 v97, v47 :: v_dual_mov_b32 v94, v44
	v_dual_mov_b32 v92, v42 :: v_dual_mov_b32 v143, v119
	;; [unrolled: 1-line block ×4, first 2 shown]
	v_mov_b32_e32 v138, v114
	v_dual_mov_b32 v142, v118 :: v_dual_mov_b32 v143, v21
	v_dual_mov_b32 v140, v116 :: v_dual_mov_b32 v63, v87
	;; [unrolled: 1-line block ×8, first 2 shown]
	v_mov_b32_e32 v86, v146
	v_dual_mov_b32 v64, v88 :: v_dual_mov_b32 v69, v93
	v_dual_mov_b32 v66, v90 :: v_dual_mov_b32 v71, v95
	v_dual_mov_b32 v70, v94 :: v_dual_mov_b32 v73, v35
	v_dual_mov_b32 v72, v34 :: v_dual_mov_b32 v79, v139
	v_dual_mov_b32 v74, v36 :: v_dual_mov_b32 v81, v141
	v_dual_mov_b32 v76, v136 :: v_dual_mov_b32 v83, v143
	v_dual_mov_b32 v80, v140 :: v_dual_mov_b32 v85, v23
	v_mov_b32_e32 v82, v142
	v_mov_b32_e32 v84, v22
	;; [unrolled: 1-line block ×3, first 2 shown]
.LBB245_29:
	s_or_b32 exec_lo, exec_lo, s2
	v_mov_b32_e32 v13, v4
	s_mov_b32 s2, exec_lo
	v_cmpx_lt_f32_e32 v62, v4
	s_cbranch_execz .LBB245_31
; %bb.30:
	s_clause 0x2
	scratch_load_b128 v[37:40], off, off offset:96
	scratch_load_b128 v[41:44], off, off offset:112
	;; [unrolled: 1-line block ×3, first 2 shown]
	v_dual_mov_b32 v173, v28 :: v_dual_mov_b32 v28, v27
	v_mov_b32_e32 v3, v4
	s_waitcnt vmcnt(0)
	v_dual_mov_b32 v13, v62 :: v_dual_mov_b32 v134, v48
	v_dual_mov_b32 v133, v47 :: v_dual_mov_b32 v124, v38
	;; [unrolled: 1-line block ×3, first 2 shown]
	v_mov_b32_e32 v125, v16
	v_dual_mov_b32 v159, v171 :: v_dual_mov_b32 v160, v172
	s_delay_alu instid0(VALU_DEP_3) | instskip(NEXT) | instid1(VALU_DEP_3)
	v_dual_mov_b32 v162, v174 :: v_dual_mov_b32 v37, v123
	v_dual_mov_b32 v38, v124 :: v_dual_mov_b32 v39, v125
	;; [unrolled: 1-line block ×5, first 2 shown]
	v_mov_b32_e32 v126, v15
	s_clause 0x2
	scratch_store_b128 off, v[37:40], off offset:96
	scratch_store_b128 off, v[41:44], off offset:112
	;; [unrolled: 1-line block ×3, first 2 shown]
	v_dual_mov_b32 v161, v173 :: v_dual_mov_b32 v164, v176
	v_dual_mov_b32 v167, v179 :: v_dual_mov_b32 v170, v182
	;; [unrolled: 1-line block ×5, first 2 shown]
	s_delay_alu instid0(VALU_DEP_2) | instskip(SKIP_2) | instid1(VALU_DEP_4)
	v_dual_mov_b32 v42, v164 :: v_dual_mov_b32 v43, v165
	v_dual_mov_b32 v48, v170 :: v_dual_mov_b32 v37, v159
	v_dual_mov_b32 v44, v166 :: v_dual_mov_b32 v45, v167
	v_dual_mov_b32 v46, v168 :: v_dual_mov_b32 v47, v169
	v_dual_mov_b32 v38, v160 :: v_dual_mov_b32 v39, v161
	v_dual_mov_b32 v40, v162 :: v_dual_mov_b32 v163, v29
	s_clause 0x2
	scratch_store_b128 off, v[37:40], off offset:144
	scratch_store_b128 off, v[41:44], off offset:160
	;; [unrolled: 1-line block ×3, first 2 shown]
	v_dual_mov_b32 v42, v128 :: v_dual_mov_b32 v43, v129
	v_dual_mov_b32 v48, v134 :: v_dual_mov_b32 v37, v123
	;; [unrolled: 1-line block ×6, first 2 shown]
	s_clause 0x2
	scratch_store_b128 off, v[37:40], off offset:48
	scratch_store_b128 off, v[41:44], off offset:64
	;; [unrolled: 1-line block ×3, first 2 shown]
	v_dual_mov_b32 v147, v159 :: v_dual_mov_b32 v148, v160
	v_dual_mov_b32 v151, v163 :: v_dual_mov_b32 v152, v164
	;; [unrolled: 1-line block ×10, first 2 shown]
	s_delay_alu instid0(VALU_DEP_4)
	v_dual_mov_b32 v106, v154 :: v_dual_mov_b32 v107, v155
	v_mov_b32_e32 v110, v158
	v_dual_mov_b32 v100, v148 :: v_dual_mov_b32 v101, v149
	v_dual_mov_b32 v104, v152 :: v_dual_mov_b32 v105, v153
	;; [unrolled: 1-line block ×5, first 2 shown]
	v_mov_b32_e32 v61, v134
	s_clause 0x2
	scratch_store_b128 off, v[37:40], off
	scratch_store_b128 off, v[41:44], off offset:16
	scratch_store_b128 off, v[45:48], off offset:32
	v_dual_mov_b32 v54, v127 :: v_dual_mov_b32 v55, v128
	v_dual_mov_b32 v56, v129 :: v_dual_mov_b32 v57, v130
	v_dual_mov_b32 v102, v150 :: v_dual_mov_b32 v103, v151
	v_dual_mov_b32 v58, v131 :: v_dual_mov_b32 v59, v132
	v_dual_mov_b32 v37, v99 :: v_dual_mov_b32 v38, v100
	v_dual_mov_b32 v52, v125 :: v_dual_mov_b32 v53, v126
	v_dual_mov_b32 v56, v19 :: v_dual_mov_b32 v39, v101
	v_dual_mov_b32 v44, v106 :: v_dual_mov_b32 v45, v107
	v_mov_b32_e32 v48, v110
	v_mov_b32_e32 v44, v32
	v_dual_mov_b32 v42, v104 :: v_dual_mov_b32 v43, v105
	v_dual_mov_b32 v46, v108 :: v_dual_mov_b32 v47, v109
	;; [unrolled: 1-line block ×9, first 2 shown]
	v_mov_b32_e32 v114, v53
	v_mov_b32_e32 v112, v51
	v_dual_mov_b32 v98, v48 :: v_dual_mov_b32 v91, v41
	v_dual_mov_b32 v94, v44 :: v_dual_mov_b32 v87, v37
	;; [unrolled: 1-line block ×3, first 2 shown]
	v_mov_b32_e32 v89, v39
	v_mov_b32_e32 v95, v45
	v_dual_mov_b32 v93, v43 :: v_dual_mov_b32 v146, v122
	v_dual_mov_b32 v143, v119 :: v_dual_mov_b32 v140, v116
	;; [unrolled: 1-line block ×15, first 2 shown]
	v_mov_b32_e32 v86, v146
	v_dual_mov_b32 v64, v88 :: v_dual_mov_b32 v65, v89
	v_dual_mov_b32 v66, v90 :: v_dual_mov_b32 v67, v91
	;; [unrolled: 1-line block ×8, first 2 shown]
	v_mov_b32_e32 v84, v22
	v_mov_b32_e32 v86, v24
.LBB245_31:
	s_or_b32 exec_lo, exec_lo, s2
	v_mov_b32_e32 v14, v5
	s_mov_b32 s2, exec_lo
	v_cmpx_lt_f32_e32 v13, v5
	s_cbranch_execz .LBB245_33
; %bb.32:
	s_clause 0x2
	scratch_load_b128 v[37:40], off, off offset:96
	scratch_load_b128 v[41:44], off, off offset:112
	;; [unrolled: 1-line block ×3, first 2 shown]
	v_mov_b32_e32 v174, v29
	v_mov_b32_e32 v14, v13
	v_mov_b32_e32 v65, v17
	v_dual_mov_b32 v17, v16 :: v_dual_mov_b32 v4, v5
	v_mov_b32_e32 v29, v28
	s_waitcnt vmcnt(0)
	v_dual_mov_b32 v73, v48 :: v_dual_mov_b32 v64, v39
	v_dual_mov_b32 v70, v45 :: v_dual_mov_b32 v69, v44
	;; [unrolled: 1-line block ×18, first 2 shown]
	v_mov_b32_e32 v127, v16
	v_dual_mov_b32 v147, v159 :: v_dual_mov_b32 v148, v160
	v_dual_mov_b32 v149, v161 :: v_dual_mov_b32 v152, v164
	;; [unrolled: 1-line block ×19, first 2 shown]
	v_mov_b32_e32 v61, v134
	s_clause 0x2
	scratch_store_b128 off, v[37:40], off
	scratch_store_b128 off, v[41:44], off offset:16
	scratch_store_b128 off, v[45:48], off offset:32
	v_dual_mov_b32 v53, v126 :: v_dual_mov_b32 v54, v127
	v_dual_mov_b32 v101, v149 :: v_dual_mov_b32 v102, v150
	;; [unrolled: 1-line block ×10, first 2 shown]
	v_mov_b32_e32 v46, v108
	v_dual_mov_b32 v122, v61 :: v_dual_mov_b32 v121, v60
	v_dual_mov_b32 v43, v105 :: v_dual_mov_b32 v44, v106
	v_dual_mov_b32 v114, v53 :: v_dual_mov_b32 v111, v50
	v_dual_mov_b32 v39, v101 :: v_dual_mov_b32 v40, v102
	v_dual_mov_b32 v44, v32 :: v_dual_mov_b32 v119, v58
	v_dual_mov_b32 v120, v59 :: v_dual_mov_b32 v117, v56
	v_dual_mov_b32 v118, v57 :: v_dual_mov_b32 v115, v54
	v_dual_mov_b32 v116, v55 :: v_dual_mov_b32 v113, v52
	v_mov_b32_e32 v112, v51
	v_mov_b32_e32 v118, v20
	v_dual_mov_b32 v98, v48 :: v_dual_mov_b32 v93, v43
	v_dual_mov_b32 v92, v42 :: v_dual_mov_b32 v87, v37
	v_mov_b32_e32 v97, v47
	v_dual_mov_b32 v95, v45 :: v_dual_mov_b32 v146, v122
	v_dual_mov_b32 v143, v119 :: v_dual_mov_b32 v138, v114
	;; [unrolled: 1-line block ×7, first 2 shown]
	v_mov_b32_e32 v89, v39
	s_clause 0x5
	scratch_store_b128 off, v[62:65], off offset:48
	scratch_store_b128 off, v[66:69], off offset:64
	;; [unrolled: 1-line block ×6, first 2 shown]
	v_dual_mov_b32 v142, v118 :: v_dual_mov_b32 v139, v115
	v_dual_mov_b32 v140, v116 :: v_dual_mov_b32 v137, v113
	;; [unrolled: 1-line block ×17, first 2 shown]
	v_mov_b32_e32 v84, v22
	v_mov_b32_e32 v86, v24
.LBB245_33:
	s_or_b32 exec_lo, exec_lo, s2
	v_mov_b32_e32 v13, v6
	s_mov_b32 s2, exec_lo
	v_cmpx_lt_f32_e32 v14, v6
	s_cbranch_execz .LBB245_35
; %bb.34:
	s_clause 0x2
	scratch_load_b128 v[37:40], off, off offset:144
	scratch_load_b128 v[41:44], off, off offset:160
	;; [unrolled: 1-line block ×3, first 2 shown]
	v_mov_b32_e32 v5, v6
	s_waitcnt vmcnt(0)
	v_dual_mov_b32 v13, v14 :: v_dual_mov_b32 v170, v48
	v_dual_mov_b32 v169, v47 :: v_dual_mov_b32 v162, v40
	;; [unrolled: 1-line block ×6, first 2 shown]
	s_clause 0x2
	scratch_load_b128 v[37:40], off, off offset:48
	scratch_load_b128 v[41:44], off, off offset:64
	;; [unrolled: 1-line block ×3, first 2 shown]
	v_dual_mov_b32 v163, v30 :: v_dual_mov_b32 v30, v29
	s_waitcnt vmcnt(0)
	v_dual_mov_b32 v73, v48 :: v_dual_mov_b32 v72, v47
	v_dual_mov_b32 v65, v40 :: v_dual_mov_b32 v62, v37
	v_mov_b32_e32 v63, v38
	v_dual_mov_b32 v67, v42 :: v_dual_mov_b32 v64, v39
	v_dual_mov_b32 v71, v46 :: v_dual_mov_b32 v70, v45
	;; [unrolled: 1-line block ×4, first 2 shown]
	v_mov_b32_e32 v148, v160
	v_dual_mov_b32 v134, v73 :: v_dual_mov_b32 v133, v72
	v_dual_mov_b32 v124, v63 :: v_dual_mov_b32 v123, v62
	;; [unrolled: 1-line block ×11, first 2 shown]
	v_mov_b32_e32 v128, v17
	v_mov_b32_e32 v152, v29
	v_dual_mov_b32 v50, v123 :: v_dual_mov_b32 v51, v124
	v_mov_b32_e32 v99, v147
	s_delay_alu instid0(VALU_DEP_3)
	v_dual_mov_b32 v53, v126 :: v_dual_mov_b32 v104, v152
	v_dual_mov_b32 v105, v153 :: v_dual_mov_b32 v100, v148
	;; [unrolled: 1-line block ×7, first 2 shown]
	v_mov_b32_e32 v57, v130
	v_dual_mov_b32 v102, v150 :: v_dual_mov_b32 v103, v151
	v_dual_mov_b32 v108, v156 :: v_dual_mov_b32 v109, v157
	;; [unrolled: 1-line block ×3, first 2 shown]
	v_mov_b32_e32 v58, v131
	v_mov_b32_e32 v56, v19
	v_dual_mov_b32 v37, v99 :: v_dual_mov_b32 v38, v100
	v_mov_b32_e32 v39, v101
	v_dual_mov_b32 v43, v105 :: v_dual_mov_b32 v48, v110
	s_delay_alu instid0(VALU_DEP_4)
	v_dual_mov_b32 v122, v61 :: v_dual_mov_b32 v117, v56
	v_dual_mov_b32 v42, v104 :: v_dual_mov_b32 v45, v107
	;; [unrolled: 1-line block ×9, first 2 shown]
	v_mov_b32_e32 v118, v20
	v_mov_b32_e32 v44, v32
	;; [unrolled: 1-line block ×3, first 2 shown]
	v_dual_mov_b32 v98, v48 :: v_dual_mov_b32 v95, v45
	v_dual_mov_b32 v146, v122 :: v_dual_mov_b32 v145, v121
	s_delay_alu instid0(VALU_DEP_4)
	v_dual_mov_b32 v94, v44 :: v_dual_mov_b32 v87, v37
	v_dual_mov_b32 v97, v47 :: v_dual_mov_b32 v144, v120
	;; [unrolled: 1-line block ×5, first 2 shown]
	v_mov_b32_e32 v93, v43
	v_dual_mov_b32 v91, v41 :: v_dual_mov_b32 v90, v40
	v_dual_mov_b32 v141, v117 :: v_dual_mov_b32 v88, v38
	;; [unrolled: 1-line block ×6, first 2 shown]
	s_clause 0x2
	scratch_store_b128 off, v[62:65], off
	scratch_store_b128 off, v[66:69], off offset:16
	scratch_store_b128 off, v[70:73], off offset:32
	v_dual_mov_b32 v63, v87 :: v_dual_mov_b32 v74, v98
	v_dual_mov_b32 v75, v135 :: v_dual_mov_b32 v72, v96
	;; [unrolled: 1-line block ×14, first 2 shown]
	v_mov_b32_e32 v84, v22
	v_mov_b32_e32 v86, v24
	;; [unrolled: 1-line block ×3, first 2 shown]
.LBB245_35:
	s_or_b32 exec_lo, exec_lo, s2
	v_mov_b32_e32 v14, v7
	s_mov_b32 s2, exec_lo
	v_cmpx_lt_f32_e32 v13, v7
	s_cbranch_execz .LBB245_37
; %bb.36:
	s_clause 0x2
	scratch_load_b128 v[37:40], off, off
	scratch_load_b128 v[41:44], off, off offset:16
	scratch_load_b128 v[45:48], off, off offset:32
	v_mov_b32_e32 v164, v31
	v_dual_mov_b32 v14, v13 :: v_dual_mov_b32 v31, v30
	s_waitcnt vmcnt(0)
	v_dual_mov_b32 v134, v48 :: v_dual_mov_b32 v133, v47
	v_dual_mov_b32 v130, v44 :: v_dual_mov_b32 v127, v41
	;; [unrolled: 1-line block ×5, first 2 shown]
	v_mov_b32_e32 v125, v39
	v_dual_mov_b32 v99, v159 :: v_dual_mov_b32 v100, v160
	v_dual_mov_b32 v128, v19 :: v_dual_mov_b32 v101, v161
	v_mov_b32_e32 v110, v170
	v_dual_mov_b32 v50, v123 :: v_dual_mov_b32 v53, v126
	v_dual_mov_b32 v106, v166 :: v_dual_mov_b32 v107, v167
	;; [unrolled: 1-line block ×19, first 2 shown]
	v_mov_b32_e32 v47, v109
	v_dual_mov_b32 v114, v53 :: v_dual_mov_b32 v111, v50
	v_mov_b32_e32 v118, v20
	v_dual_mov_b32 v120, v59 :: v_dual_mov_b32 v117, v56
	v_dual_mov_b32 v116, v55 :: v_dual_mov_b32 v113, v52
	v_mov_b32_e32 v44, v32
	v_mov_b32_e32 v112, v51
	v_dual_mov_b32 v98, v48 :: v_dual_mov_b32 v95, v45
	v_dual_mov_b32 v146, v122 :: v_dual_mov_b32 v145, v121
	;; [unrolled: 1-line block ×8, first 2 shown]
	v_mov_b32_e32 v89, v39
	v_dual_mov_b32 v93, v43 :: v_dual_mov_b32 v88, v38
	v_dual_mov_b32 v141, v117 :: v_dual_mov_b32 v140, v116
	v_mov_b32_e32 v95, v33
	v_dual_mov_b32 v139, v115 :: v_dual_mov_b32 v138, v114
	v_dual_mov_b32 v143, v21 :: v_dual_mov_b32 v136, v112
	;; [unrolled: 1-line block ×24, first 2 shown]
	v_mov_b32_e32 v158, v170
.LBB245_37:
	s_or_b32 exec_lo, exec_lo, s2
	v_mov_b32_e32 v13, v8
	s_mov_b32 s2, exec_lo
	v_cmpx_lt_f32_e32 v14, v8
	s_cbranch_execz .LBB245_39
; %bb.38:
	v_mov_b32_e32 v129, v20
	v_mov_b32_e32 v153, v32
	v_dual_mov_b32 v111, v123 :: v_dual_mov_b32 v114, v126
	v_dual_mov_b32 v37, v147 :: v_dual_mov_b32 v38, v148
	;; [unrolled: 1-line block ×10, first 2 shown]
	v_mov_b32_e32 v120, v132
	v_dual_mov_b32 v116, v128 :: v_dual_mov_b32 v121, v133
	v_mov_b32_e32 v44, v31
	v_dual_mov_b32 v119, v131 :: v_dual_mov_b32 v98, v48
	v_dual_mov_b32 v118, v19 :: v_dual_mov_b32 v95, v45
	;; [unrolled: 1-line block ×13, first 2 shown]
	v_mov_b32_e32 v95, v33
	v_dual_mov_b32 v7, v8 :: v_dual_mov_b32 v8, v14
	v_mov_b32_e32 v143, v21
	v_dual_mov_b32 v63, v87 :: v_dual_mov_b32 v68, v92
	v_dual_mov_b32 v64, v88 :: v_dual_mov_b32 v75, v135
	v_dual_mov_b32 v80, v140 :: v_dual_mov_b32 v67, v91
	v_dual_mov_b32 v72, v96 :: v_dual_mov_b32 v69, v93
	v_dual_mov_b32 v74, v98 :: v_dual_mov_b32 v73, v97
	v_dual_mov_b32 v78, v138 :: v_dual_mov_b32 v79, v139
	v_dual_mov_b32 v84, v144 :: v_dual_mov_b32 v81, v141
	v_dual_mov_b32 v86, v146 :: v_dual_mov_b32 v85, v145
	v_mov_b32_e32 v74, v36
	v_dual_mov_b32 v50, v123 :: v_dual_mov_b32 v51, v124
	v_dual_mov_b32 v99, v147 :: v_dual_mov_b32 v100, v148
	v_dual_mov_b32 v65, v89 :: v_dual_mov_b32 v70, v94
	v_dual_mov_b32 v66, v90 :: v_dual_mov_b32 v71, v95
	v_dual_mov_b32 v76, v136 :: v_dual_mov_b32 v77, v137
	v_dual_mov_b32 v82, v142 :: v_dual_mov_b32 v83, v143
	v_dual_mov_b32 v72, v34 :: v_dual_mov_b32 v73, v35
	;; [unrolled: 9-line block ×3, first 2 shown]
	v_dual_mov_b32 v105, v153 :: v_dual_mov_b32 v106, v154
	v_dual_mov_b32 v107, v155 :: v_dual_mov_b32 v108, v156
	;; [unrolled: 1-line block ×4, first 2 shown]
	v_mov_b32_e32 v32, v31
.LBB245_39:
	s_or_b32 exec_lo, exec_lo, s2
	v_mov_b32_e32 v14, v9
	s_mov_b32 s2, exec_lo
	v_cmpx_lt_f32_e32 v13, v9
	s_cbranch_execz .LBB245_41
; %bb.40:
	v_mov_b32_e32 v57, v21
	v_mov_b32_e32 v106, v33
	v_dual_mov_b32 v146, v61 :: v_dual_mov_b32 v145, v60
	v_dual_mov_b32 v87, v99 :: v_dual_mov_b32 v90, v102
	v_mov_b32_e32 v88, v100
	v_dual_mov_b32 v136, v51 :: v_dual_mov_b32 v135, v50
	v_dual_mov_b32 v91, v103 :: v_dual_mov_b32 v94, v106
	v_dual_mov_b32 v93, v105 :: v_dual_mov_b32 v96, v108
	v_dual_mov_b32 v95, v107 :: v_dual_mov_b32 v98, v110
	v_dual_mov_b32 v97, v109 :: v_dual_mov_b32 v144, v59
	v_dual_mov_b32 v143, v58 :: v_dual_mov_b32 v142, v57
	v_dual_mov_b32 v141, v56 :: v_dual_mov_b32 v140, v55
	v_mov_b32_e32 v139, v54
	v_dual_mov_b32 v89, v101 :: v_dual_mov_b32 v92, v104
	v_dual_mov_b32 v138, v53 :: v_dual_mov_b32 v137, v52
	;; [unrolled: 1-line block ×3, first 2 shown]
	v_mov_b32_e32 v143, v20
	s_delay_alu instid0(VALU_DEP_4)
	v_dual_mov_b32 v63, v87 :: v_dual_mov_b32 v68, v92
	v_dual_mov_b32 v66, v90 :: v_dual_mov_b32 v75, v135
	;; [unrolled: 1-line block ×8, first 2 shown]
	v_mov_b32_e32 v74, v36
	v_dual_mov_b32 v122, v61 :: v_dual_mov_b32 v121, v60
	v_dual_mov_b32 v37, v99 :: v_dual_mov_b32 v38, v100
	v_dual_mov_b32 v9, v13 :: v_dual_mov_b32 v64, v88
	v_dual_mov_b32 v65, v89 :: v_dual_mov_b32 v70, v94
	v_dual_mov_b32 v71, v95 :: v_dual_mov_b32 v76, v136
	v_dual_mov_b32 v77, v137 :: v_dual_mov_b32 v82, v142
	v_dual_mov_b32 v83, v143 :: v_dual_mov_b32 v72, v34
	v_dual_mov_b32 v73, v35 :: v_dual_mov_b32 v84, v22
	v_dual_mov_b32 v85, v23 :: v_dual_mov_b32 v86, v24
	v_dual_mov_b32 v120, v59 :: v_dual_mov_b32 v119, v58
	v_dual_mov_b32 v118, v57 :: v_dual_mov_b32 v117, v56
	v_dual_mov_b32 v116, v55 :: v_dual_mov_b32 v115, v54
	v_dual_mov_b32 v114, v53 :: v_dual_mov_b32 v113, v52
	v_dual_mov_b32 v112, v51 :: v_dual_mov_b32 v111, v50
	v_dual_mov_b32 v39, v101 :: v_dual_mov_b32 v40, v102
	v_dual_mov_b32 v41, v103 :: v_dual_mov_b32 v42, v104
	v_dual_mov_b32 v43, v105 :: v_dual_mov_b32 v44, v106
	v_dual_mov_b32 v45, v107 :: v_dual_mov_b32 v46, v108
	v_dual_mov_b32 v47, v109 :: v_dual_mov_b32 v48, v110
	v_dual_mov_b32 v14, v13 :: v_dual_mov_b32 v21, v20
	v_mov_b32_e32 v33, v32
.LBB245_41:
	s_or_b32 exec_lo, exec_lo, s2
	v_mov_b32_e32 v15, v10
	s_mov_b32 s2, exec_lo
	v_cmpx_lt_f32_e32 v14, v10
	s_cbranch_execz .LBB245_43
; %bb.42:
	v_mov_b32_e32 v45, v34
	v_dual_mov_b32 v9, v10 :: v_dual_mov_b32 v74, v48
	v_mov_b32_e32 v72, v46
	v_mov_b32_e32 v72, v33
	s_delay_alu instid0(VALU_DEP_4) | instskip(SKIP_4) | instid1(VALU_DEP_4)
	v_mov_b32_e32 v71, v45
	v_dual_mov_b32 v119, v22 :: v_dual_mov_b32 v70, v44
	v_dual_mov_b32 v75, v111 :: v_dual_mov_b32 v78, v114
	;; [unrolled: 1-line block ×27, first 2 shown]
	v_mov_b32_e32 v34, v33
.LBB245_43:
	s_or_b32 exec_lo, exec_lo, s2
	v_mov_b32_e32 v13, v11
	s_mov_b32 s2, exec_lo
	v_cmpx_lt_f32_e32 v15, v11
	s_cbranch_execz .LBB245_45
; %bb.44:
	v_dual_mov_b32 v144, v23 :: v_dual_mov_b32 v145, v22
	v_dual_mov_b32 v96, v35 :: v_dual_mov_b32 v97, v34
	v_mov_b32_e32 v146, v24
	v_mov_b32_e32 v10, v11
	v_dual_mov_b32 v11, v15 :: v_dual_mov_b32 v98, v36
	v_dual_mov_b32 v75, v135 :: v_dual_mov_b32 v84, v144
	;; [unrolled: 1-line block ×3, first 2 shown]
	v_mov_b32_e32 v79, v139
	v_dual_mov_b32 v77, v137 :: v_dual_mov_b32 v78, v138
	v_dual_mov_b32 v81, v141 :: v_dual_mov_b32 v80, v140
	;; [unrolled: 1-line block ×10, first 2 shown]
.LBB245_45:
	s_or_b32 exec_lo, exec_lo, s2
	s_delay_alu instid0(VALU_DEP_1)
	v_cmp_lt_f32_e32 vcc_lo, v13, v12
	v_cmp_lt_f32_e64 s2, v1, v2
	v_dual_mov_b32 v40, v76 :: v_dual_mov_b32 v41, v77
	v_dual_mov_b32 v43, v79 :: v_dual_mov_b32 v44, v80
	v_dual_cndmask_b32 v23, v12, v13 :: v_dual_mov_b32 v42, v78
	v_dual_cndmask_b32 v11, v11, v12 :: v_dual_cndmask_b32 v62, v74, v73
	s_delay_alu instid0(VALU_DEP_2) | instskip(SKIP_3) | instid1(VALU_DEP_4)
	v_dual_cndmask_b32 v49, v85, v86 :: v_dual_mov_b32 v12, v23
	v_dual_cndmask_b32 v61, v73, v74 :: v_dual_cndmask_b32 v50, v86, v85
	v_mov_b32_e32 v39, v75
	v_dual_mov_b32 v45, v81 :: v_dual_mov_b32 v48, v84
	v_dual_mov_b32 v38, v12 :: v_dual_mov_b32 v37, v11
	;; [unrolled: 1-line block ×13, first 2 shown]
	s_and_saveexec_b32 s3, s2
	s_delay_alu instid0(SALU_CYCLE_1)
	s_xor_b32 s2, exec_lo, s3
	s_cbranch_execz .LBB245_47
; %bb.46:
	v_dual_mov_b32 v12, v2 :: v_dual_mov_b32 v13, v1
	v_dual_mov_b32 v14, v3 :: v_dual_mov_b32 v15, v4
	;; [unrolled: 1-line block ×6, first 2 shown]
	s_delay_alu instid0(VALU_DEP_2) | instskip(NEXT) | instid1(VALU_DEP_2)
	v_dual_mov_b32 v38, v23 :: v_dual_mov_b32 v35, v20
	v_dual_mov_b32 v36, v21 :: v_dual_mov_b32 v37, v22
	;; [unrolled: 1-line block ×15, first 2 shown]
	v_mov_b32_e32 v58, v70
	v_mov_b32_e32 v60, v72
.LBB245_47:
	s_or_b32 exec_lo, exec_lo, s2
	v_dual_mov_b32 v1, v29 :: v_dual_mov_b32 v122, v50
	v_dual_mov_b32 v15, v39 :: v_dual_mov_b32 v16, v40
	;; [unrolled: 1-line block ×30, first 2 shown]
	v_mov_b32_e32 v135, v39
	s_clause 0x2
	scratch_store_b128 off, v[39:42], off offset:48
	scratch_store_b128 off, v[43:46], off offset:64
	;; [unrolled: 1-line block ×3, first 2 shown]
	v_dual_mov_b32 v3, v51 :: v_dual_mov_b32 v6, v54
	v_dual_mov_b32 v13, v61 :: v_dual_mov_b32 v74, v62
	;; [unrolled: 1-line block ×34, first 2 shown]
	v_mov_b32_e32 v159, v51
	s_mov_b32 s2, exec_lo
	v_dual_mov_b32 v73, v61 :: v_dual_mov_b32 v72, v60
	v_mov_b32_e32 v4, v52
	s_clause 0x2
	scratch_store_b128 off, v[51:54], off
	scratch_store_b128 off, v[55:58], off offset:16
	scratch_store_b128 off, v[59:62], off offset:32
	v_dual_mov_b32 v182, v50 :: v_dual_mov_b32 v181, v49
	v_dual_mov_b32 v180, v48 :: v_dual_mov_b32 v179, v47
	;; [unrolled: 1-line block ×6, first 2 shown]
	v_cmpx_lt_f32_e32 v2, v29
	s_cbranch_execz .LBB245_49
; %bb.48:
	v_dual_mov_b32 v170, v62 :: v_dual_mov_b32 v169, v61
	v_dual_mov_b32 v162, v54 :: v_dual_mov_b32 v161, v53
	;; [unrolled: 1-line block ×7, first 2 shown]
	s_clause 0x2
	scratch_store_b128 off, v[159:162], off
	scratch_store_b128 off, v[163:166], off offset:16
	scratch_store_b128 off, v[167:170], off offset:32
	v_dual_mov_b32 v182, v50 :: v_dual_mov_b32 v181, v49
	v_dual_mov_b32 v172, v40 :: v_dual_mov_b32 v171, v39
	;; [unrolled: 1-line block ×8, first 2 shown]
	s_delay_alu instid0(VALU_DEP_3)
	v_dual_mov_b32 v140, v176 :: v_dual_mov_b32 v141, v177
	v_dual_mov_b32 v138, v174 :: v_dual_mov_b32 v139, v175
	;; [unrolled: 1-line block ×3, first 2 shown]
	v_mov_b32_e32 v146, v182
	v_dual_mov_b32 v136, v172 :: v_dual_mov_b32 v137, v173
	v_mov_b32_e32 v138, v42
	v_dual_mov_b32 v142, v178 :: v_dual_mov_b32 v143, v179
	v_mov_b32_e32 v53, v52
	v_mov_b32_e32 v139, v43
	;; [unrolled: 1-line block ×3, first 2 shown]
	v_dual_mov_b32 v147, v159 :: v_dual_mov_b32 v148, v160
	v_mov_b32_e32 v151, v163
	v_dual_mov_b32 v149, v161 :: v_dual_mov_b32 v150, v162
	v_dual_mov_b32 v153, v165 :: v_dual_mov_b32 v152, v164
	;; [unrolled: 1-line block ×16, first 2 shown]
	v_mov_b32_e32 v122, v146
	v_dual_mov_b32 v114, v138 :: v_dual_mov_b32 v117, v141
	v_dual_mov_b32 v116, v140 :: v_dual_mov_b32 v119, v143
	;; [unrolled: 1-line block ×14, first 2 shown]
	v_mov_b32_e32 v82, v118
	v_dual_mov_b32 v76, v112 :: v_dual_mov_b32 v81, v117
	v_dual_mov_b32 v80, v116 :: v_dual_mov_b32 v85, v121
	;; [unrolled: 1-line block ×6, first 2 shown]
	v_mov_b32_e32 v81, v45
	v_dual_mov_b32 v65, v89 :: v_dual_mov_b32 v72, v96
	v_mov_b32_e32 v29, v2
	s_delay_alu instid0(VALU_DEP_3)
	v_dual_mov_b32 v110, v86 :: v_dual_mov_b32 v105, v81
	v_dual_mov_b32 v70, v94 :: v_dual_mov_b32 v73, v97
	;; [unrolled: 1-line block ×11, first 2 shown]
	v_mov_b32_e32 v106, v46
	s_clause 0x2
	scratch_store_b128 off, v[3:6], off offset:48
	scratch_store_b128 off, v[7:10], off offset:64
	;; [unrolled: 1-line block ×3, first 2 shown]
	v_dual_mov_b32 v100, v76 :: v_dual_mov_b32 v3, v63
	v_dual_mov_b32 v12, v72 :: v_dual_mov_b32 v5, v65
	v_dual_mov_b32 v12, v60 :: v_dual_mov_b32 v15, v99
	v_dual_mov_b32 v8, v68 :: v_dual_mov_b32 v11, v71
	v_dual_mov_b32 v10, v70 :: v_dual_mov_b32 v13, v73
	v_dual_mov_b32 v14, v74 :: v_dual_mov_b32 v13, v61
	v_dual_mov_b32 v20, v104 :: v_dual_mov_b32 v23, v107
	v_dual_mov_b32 v22, v106 :: v_dual_mov_b32 v25, v109
	v_dual_mov_b32 v24, v108 :: v_dual_mov_b32 v23, v47
	v_dual_mov_b32 v26, v110 :: v_dual_mov_b32 v25, v49
	v_dual_mov_b32 v4, v64 :: v_dual_mov_b32 v7, v67
	v_dual_mov_b32 v6, v66 :: v_dual_mov_b32 v9, v69
	v_dual_mov_b32 v11, v59 :: v_dual_mov_b32 v14, v62
	v_dual_mov_b32 v17, v101 :: v_dual_mov_b32 v16, v100
	v_dual_mov_b32 v19, v103 :: v_dual_mov_b32 v18, v102
	v_dual_mov_b32 v21, v105 :: v_dual_mov_b32 v24, v48
	v_mov_b32_e32 v26, v50
.LBB245_49:
	s_or_b32 exec_lo, exec_lo, s2
	v_mov_b32_e32 v2, v30
	s_mov_b32 s2, exec_lo
	v_cmpx_lt_f32_e32 v1, v30
	s_cbranch_execz .LBB245_51
; %bb.50:
	s_clause 0x2
	scratch_load_b128 v[2:5], off, off
	scratch_load_b128 v[6:9], off, off offset:16
	scratch_load_b128 v[10:13], off, off offset:32
	v_dual_mov_b32 v29, v30 :: v_dual_mov_b32 v30, v1
	v_dual_mov_b32 v161, v54 :: v_dual_mov_b32 v54, v53
	s_waitcnt vmcnt(0)
	v_dual_mov_b32 v170, v13 :: v_dual_mov_b32 v169, v12
	v_mov_b32_e32 v160, v3
	v_dual_mov_b32 v162, v5 :: v_dual_mov_b32 v159, v2
	v_dual_mov_b32 v173, v42 :: v_dual_mov_b32 v168, v11
	;; [unrolled: 1-line block ×3, first 2 shown]
	s_delay_alu instid0(VALU_DEP_3)
	v_dual_mov_b32 v165, v8 :: v_dual_mov_b32 v2, v159
	v_dual_mov_b32 v3, v160 :: v_dual_mov_b32 v4, v161
	;; [unrolled: 1-line block ×3, first 2 shown]
	s_clause 0x2
	scratch_store_b128 off, v[2:5], off
	scratch_store_b128 off, v[6:9], off offset:16
	scratch_store_b128 off, v[10:13], off offset:32
	v_dual_mov_b32 v162, v53 :: v_dual_mov_b32 v135, v171
	v_dual_mov_b32 v140, v176 :: v_dual_mov_b32 v141, v177
	;; [unrolled: 1-line block ×14, first 2 shown]
	v_mov_b32_e32 v137, v173
	v_dual_mov_b32 v123, v147 :: v_dual_mov_b32 v126, v150
	v_dual_mov_b32 v124, v148 :: v_dual_mov_b32 v111, v135
	s_delay_alu instid0(VALU_DEP_4)
	v_dual_mov_b32 v112, v136 :: v_dual_mov_b32 v125, v149
	v_dual_mov_b32 v128, v152 :: v_dual_mov_b32 v115, v139
	;; [unrolled: 1-line block ×7, first 2 shown]
	v_mov_b32_e32 v128, v56
	v_dual_mov_b32 v116, v44 :: v_dual_mov_b32 v87, v123
	v_dual_mov_b32 v113, v137 :: v_dual_mov_b32 v114, v138
	;; [unrolled: 1-line block ×21, first 2 shown]
	v_mov_b32_e32 v81, v45
	v_dual_mov_b32 v63, v87 :: v_dual_mov_b32 v66, v90
	v_mov_b32_e32 v64, v88
	v_dual_mov_b32 v110, v86 :: v_dual_mov_b32 v109, v85
	v_dual_mov_b32 v65, v89 :: v_dual_mov_b32 v68, v92
	;; [unrolled: 1-line block ×9, first 2 shown]
	v_mov_b32_e32 v102, v78
	v_dual_mov_b32 v42, v41 :: v_dual_mov_b32 v103, v79
	v_mov_b32_e32 v100, v76
	v_mov_b32_e32 v106, v46
	s_clause 0x2
	scratch_store_b128 off, v[2:5], off offset:48
	scratch_store_b128 off, v[6:9], off offset:64
	;; [unrolled: 1-line block ×3, first 2 shown]
	v_dual_mov_b32 v2, v1 :: v_dual_mov_b32 v107, v83
	v_mov_b32_e32 v3, v63
	v_mov_b32_e32 v5, v65
	v_dual_mov_b32 v7, v67 :: v_dual_mov_b32 v14, v74
	v_dual_mov_b32 v15, v99 :: v_dual_mov_b32 v6, v66
	;; [unrolled: 1-line block ×14, first 2 shown]
	v_mov_b32_e32 v24, v48
	v_mov_b32_e32 v26, v50
.LBB245_51:
	s_or_b32 exec_lo, exec_lo, s2
	v_mov_b32_e32 v1, v31
	s_mov_b32 s2, exec_lo
	v_cmpx_lt_f32_e32 v2, v31
	s_cbranch_execz .LBB245_53
; %bb.52:
	s_clause 0x2
	scratch_load_b128 v[3:6], off, off
	scratch_load_b128 v[7:10], off, off offset:16
	scratch_load_b128 v[11:14], off, off offset:32
	v_dual_mov_b32 v30, v31 :: v_dual_mov_b32 v31, v2
	v_mov_b32_e32 v1, v2
	s_waitcnt vmcnt(0)
	v_dual_mov_b32 v170, v14 :: v_dual_mov_b32 v169, v13
	v_dual_mov_b32 v161, v5 :: v_dual_mov_b32 v160, v4
	;; [unrolled: 1-line block ×5, first 2 shown]
	v_mov_b32_e32 v174, v43
	v_mov_b32_e32 v159, v3
	;; [unrolled: 1-line block ×3, first 2 shown]
	v_dual_mov_b32 v135, v171 :: v_dual_mov_b32 v136, v172
	v_mov_b32_e32 v137, v173
	s_delay_alu instid0(VALU_DEP_4) | instskip(NEXT) | instid1(VALU_DEP_4)
	v_dual_mov_b32 v147, v159 :: v_dual_mov_b32 v148, v160
	v_dual_mov_b32 v149, v161 :: v_dual_mov_b32 v150, v162
	;; [unrolled: 1-line block ×10, first 2 shown]
	v_mov_b32_e32 v139, v42
	v_mov_b32_e32 v151, v54
	v_dual_mov_b32 v146, v182 :: v_dual_mov_b32 v123, v147
	v_dual_mov_b32 v111, v135 :: v_dual_mov_b32 v112, v136
	;; [unrolled: 1-line block ×3, first 2 shown]
	s_delay_alu instid0(VALU_DEP_4)
	v_dual_mov_b32 v124, v148 :: v_dual_mov_b32 v127, v151
	v_dual_mov_b32 v128, v152 :: v_dual_mov_b32 v131, v155
	;; [unrolled: 1-line block ×9, first 2 shown]
	v_mov_b32_e32 v120, v144
	v_dual_mov_b32 v116, v44 :: v_dual_mov_b32 v87, v123
	v_mov_b32_e32 v114, v138
	v_dual_mov_b32 v98, v134 :: v_dual_mov_b32 v75, v111
	v_dual_mov_b32 v88, v124 :: v_dual_mov_b32 v89, v125
	;; [unrolled: 1-line block ×3, first 2 shown]
	v_mov_b32_e32 v86, v122
	v_dual_mov_b32 v90, v126 :: v_dual_mov_b32 v91, v127
	v_dual_mov_b32 v92, v128 :: v_dual_mov_b32 v93, v129
	;; [unrolled: 1-line block ×8, first 2 shown]
	v_mov_b32_e32 v79, v115
	v_mov_b32_e32 v81, v45
	v_dual_mov_b32 v63, v87 :: v_dual_mov_b32 v66, v90
	v_dual_mov_b32 v64, v88 :: v_dual_mov_b32 v73, v97
	;; [unrolled: 1-line block ×9, first 2 shown]
	v_mov_b32_e32 v108, v84
	v_dual_mov_b32 v106, v46 :: v_dual_mov_b32 v3, v63
	v_dual_mov_b32 v105, v81 :: v_dual_mov_b32 v104, v80
	v_dual_mov_b32 v103, v79 :: v_dual_mov_b32 v102, v78
	v_dual_mov_b32 v101, v77 :: v_dual_mov_b32 v100, v76
	v_dual_mov_b32 v14, v74 :: v_dual_mov_b32 v15, v99
	v_dual_mov_b32 v10, v70 :: v_dual_mov_b32 v11, v71
	v_dual_mov_b32 v12, v72 :: v_dual_mov_b32 v13, v73
	v_dual_mov_b32 v22, v106 :: v_dual_mov_b32 v23, v107
	v_dual_mov_b32 v24, v108 :: v_dual_mov_b32 v25, v109
	v_dual_mov_b32 v26, v110 :: v_dual_mov_b32 v11, v59
	v_dual_mov_b32 v4, v64 :: v_dual_mov_b32 v5, v65
	v_dual_mov_b32 v6, v66 :: v_dual_mov_b32 v7, v67
	v_dual_mov_b32 v8, v68 :: v_dual_mov_b32 v9, v69
	v_dual_mov_b32 v16, v100 :: v_dual_mov_b32 v17, v101
	v_dual_mov_b32 v18, v102 :: v_dual_mov_b32 v19, v103
	v_dual_mov_b32 v20, v104 :: v_dual_mov_b32 v21, v105
	v_dual_mov_b32 v12, v60 :: v_dual_mov_b32 v13, v61
	v_dual_mov_b32 v14, v62 :: v_dual_mov_b32 v23, v47
	v_dual_mov_b32 v24, v48 :: v_dual_mov_b32 v25, v49
	v_mov_b32_e32 v26, v50
	v_mov_b32_e32 v43, v42
	;; [unrolled: 1-line block ×3, first 2 shown]
	s_clause 0x2
	scratch_store_b128 off, v[171:174], off offset:48
	scratch_store_b128 off, v[175:178], off offset:64
	;; [unrolled: 1-line block ×3, first 2 shown]
.LBB245_53:
	s_or_b32 exec_lo, exec_lo, s2
	v_mov_b32_e32 v2, v32
	s_mov_b32 s2, exec_lo
	v_cmpx_lt_f32_e32 v1, v32
	s_cbranch_execz .LBB245_55
; %bb.54:
	s_clause 0x2
	scratch_load_b128 v[2:5], off, off offset:48
	scratch_load_b128 v[6:9], off, off offset:64
	scratch_load_b128 v[10:13], off, off offset:80
	v_dual_mov_b32 v163, v56 :: v_dual_mov_b32 v56, v55
	s_waitcnt vmcnt(0)
	v_dual_mov_b32 v31, v32 :: v_dual_mov_b32 v146, v13
	v_dual_mov_b32 v138, v5 :: v_dual_mov_b32 v137, v4
	;; [unrolled: 1-line block ×6, first 2 shown]
	v_mov_b32_e32 v139, v44
	v_dual_mov_b32 v123, v159 :: v_dual_mov_b32 v124, v160
	v_dual_mov_b32 v125, v161 :: v_dual_mov_b32 v128, v164
	;; [unrolled: 1-line block ×12, first 2 shown]
	v_mov_b32_e32 v120, v144
	v_mov_b32_e32 v116, v43
	v_dual_mov_b32 v87, v123 :: v_dual_mov_b32 v88, v124
	v_dual_mov_b32 v89, v125 :: v_dual_mov_b32 v98, v134
	;; [unrolled: 1-line block ×12, first 2 shown]
	v_mov_b32_e32 v79, v115
	v_mov_b32_e32 v81, v45
	v_dual_mov_b32 v63, v87 :: v_dual_mov_b32 v66, v90
	v_dual_mov_b32 v64, v88 :: v_dual_mov_b32 v73, v97
	;; [unrolled: 1-line block ×8, first 2 shown]
	v_mov_b32_e32 v70, v58
	v_dual_mov_b32 v106, v46 :: v_dual_mov_b32 v65, v89
	v_dual_mov_b32 v68, v92 :: v_dual_mov_b32 v105, v81
	;; [unrolled: 1-line block ×4, first 2 shown]
	v_mov_b32_e32 v100, v76
	v_dual_mov_b32 v32, v1 :: v_dual_mov_b32 v3, v63
	v_dual_mov_b32 v14, v74 :: v_dual_mov_b32 v15, v99
	v_mov_b32_e32 v26, v110
	v_dual_mov_b32 v10, v70 :: v_dual_mov_b32 v11, v71
	v_dual_mov_b32 v12, v72 :: v_dual_mov_b32 v13, v73
	;; [unrolled: 1-line block ×20, first 2 shown]
	v_mov_b32_e32 v2, v1
	v_mov_b32_e32 v44, v43
.LBB245_55:
	s_or_b32 exec_lo, exec_lo, s2
	v_mov_b32_e32 v1, v33
	s_mov_b32 s2, exec_lo
	v_cmpx_lt_f32_e32 v2, v33
	s_cbranch_execz .LBB245_57
; %bb.56:
	v_mov_b32_e32 v140, v45
	v_dual_mov_b32 v152, v57 :: v_dual_mov_b32 v75, v135
	v_dual_mov_b32 v87, v147 :: v_dual_mov_b32 v90, v150
	;; [unrolled: 1-line block ×3, first 2 shown]
	s_delay_alu instid0(VALU_DEP_3)
	v_dual_mov_b32 v92, v152 :: v_dual_mov_b32 v93, v153
	v_dual_mov_b32 v76, v136 :: v_dual_mov_b32 v79, v139
	;; [unrolled: 1-line block ×6, first 2 shown]
	v_mov_b32_e32 v93, v56
	v_dual_mov_b32 v84, v144 :: v_dual_mov_b32 v63, v87
	v_dual_mov_b32 v78, v138 :: v_dual_mov_b32 v81, v141
	;; [unrolled: 1-line block ×5, first 2 shown]
	s_delay_alu instid0(VALU_DEP_3) | instskip(SKIP_1) | instid1(VALU_DEP_4)
	v_dual_mov_b32 v110, v86 :: v_dual_mov_b32 v109, v85
	v_dual_mov_b32 v100, v76 :: v_dual_mov_b32 v99, v75
	;; [unrolled: 1-line block ×11, first 2 shown]
	v_mov_b32_e32 v106, v46
	v_dual_mov_b32 v70, v58 :: v_dual_mov_b32 v15, v99
	v_dual_mov_b32 v3, v63 :: v_dual_mov_b32 v24, v108
	;; [unrolled: 1-line block ×3, first 2 shown]
	s_delay_alu instid0(VALU_DEP_3)
	v_dual_mov_b32 v10, v70 :: v_dual_mov_b32 v11, v71
	v_dual_mov_b32 v12, v72 :: v_dual_mov_b32 v13, v73
	;; [unrolled: 1-line block ×26, first 2 shown]
	v_mov_b32_e32 v1, v2
	v_dual_mov_b32 v134, v158 :: v_dual_mov_b32 v45, v44
	v_mov_b32_e32 v57, v56
.LBB245_57:
	s_or_b32 exec_lo, exec_lo, s2
	v_mov_b32_e32 v2, v34
	s_mov_b32 s2, exec_lo
	v_cmpx_lt_f32_e32 v1, v34
	s_cbranch_execz .LBB245_59
; %bb.58:
	v_mov_b32_e32 v129, v58
	v_dual_mov_b32 v63, v123 :: v_dual_mov_b32 v70, v130
	v_dual_mov_b32 v70, v57 :: v_dual_mov_b32 v71, v131
	v_dual_mov_b32 v117, v46 :: v_dual_mov_b32 v64, v124
	v_dual_mov_b32 v99, v111 :: v_dual_mov_b32 v102, v114
	v_dual_mov_b32 v65, v125 :: v_dual_mov_b32 v68, v128
	v_dual_mov_b32 v66, v126 :: v_dual_mov_b32 v67, v127
	v_dual_mov_b32 v72, v132 :: v_dual_mov_b32 v69, v129
	v_dual_mov_b32 v74, v134 :: v_dual_mov_b32 v73, v133
	v_dual_mov_b32 v100, v112 :: v_dual_mov_b32 v103, v115
	v_dual_mov_b32 v106, v118 :: v_dual_mov_b32 v105, v117
	v_dual_mov_b32 v108, v120 :: v_dual_mov_b32 v107, v119
	v_dual_mov_b32 v110, v122 :: v_dual_mov_b32 v109, v121
	v_dual_mov_b32 v101, v113 :: v_dual_mov_b32 v104, v116
	v_dual_mov_b32 v106, v45 :: v_dual_mov_b32 v3, v63
	v_dual_mov_b32 v4, v64 :: v_dual_mov_b32 v15, v99
	v_dual_mov_b32 v16, v100 :: v_dual_mov_b32 v11, v71
	v_dual_mov_b32 v12, v72 :: v_dual_mov_b32 v13, v73
	v_dual_mov_b32 v14, v74 :: v_dual_mov_b32 v23, v107
	v_dual_mov_b32 v24, v108 :: v_dual_mov_b32 v25, v109
	v_dual_mov_b32 v26, v110 :: v_dual_mov_b32 v75, v111
	v_dual_mov_b32 v76, v112 :: v_dual_mov_b32 v87, v123
	v_dual_mov_b32 v88, v124 :: v_dual_mov_b32 v33, v34
	v_mov_b32_e32 v34, v1
	v_dual_mov_b32 v5, v65 :: v_dual_mov_b32 v6, v66
	v_dual_mov_b32 v7, v67 :: v_dual_mov_b32 v8, v68
	v_dual_mov_b32 v9, v69 :: v_dual_mov_b32 v10, v70
	v_dual_mov_b32 v11, v59 :: v_dual_mov_b32 v12, v60
	v_dual_mov_b32 v13, v61 :: v_dual_mov_b32 v14, v62
	v_dual_mov_b32 v17, v101 :: v_dual_mov_b32 v18, v102
	v_dual_mov_b32 v19, v103 :: v_dual_mov_b32 v20, v104
	v_dual_mov_b32 v21, v105 :: v_dual_mov_b32 v22, v106
	v_dual_mov_b32 v23, v47 :: v_dual_mov_b32 v24, v48
	v_dual_mov_b32 v25, v49 :: v_dual_mov_b32 v26, v50
	v_dual_mov_b32 v77, v113 :: v_dual_mov_b32 v78, v114
	v_dual_mov_b32 v79, v115 :: v_dual_mov_b32 v80, v116
	v_dual_mov_b32 v81, v117 :: v_dual_mov_b32 v82, v118
	v_dual_mov_b32 v83, v119 :: v_dual_mov_b32 v84, v120
	v_dual_mov_b32 v85, v121 :: v_dual_mov_b32 v86, v122
	v_dual_mov_b32 v89, v125 :: v_dual_mov_b32 v90, v126
	v_dual_mov_b32 v91, v127 :: v_dual_mov_b32 v92, v128
	v_dual_mov_b32 v93, v129 :: v_dual_mov_b32 v94, v130
	v_dual_mov_b32 v95, v131 :: v_dual_mov_b32 v96, v132
	v_dual_mov_b32 v97, v133 :: v_dual_mov_b32 v98, v134
	v_mov_b32_e32 v2, v1
	v_mov_b32_e32 v46, v45
	;; [unrolled: 1-line block ×3, first 2 shown]
.LBB245_59:
	s_or_b32 exec_lo, exec_lo, s2
	v_mov_b32_e32 v1, v35
	s_mov_b32 s2, exec_lo
	v_cmpx_lt_f32_e32 v2, v35
	s_cbranch_execz .LBB245_61
; %bb.60:
	v_mov_b32_e32 v94, v59
	v_dual_mov_b32 v34, v35 :: v_dual_mov_b32 v35, v2
	v_mov_b32_e32 v82, v47
	v_dual_mov_b32 v3, v87 :: v_dual_mov_b32 v4, v88
	v_dual_mov_b32 v12, v96 :: v_dual_mov_b32 v9, v93
	;; [unrolled: 1-line block ×13, first 2 shown]
	v_mov_b32_e32 v7, v91
	v_mov_b32_e32 v11, v58
	v_dual_mov_b32 v14, v62 :: v_dual_mov_b32 v17, v77
	v_dual_mov_b32 v16, v76 :: v_dual_mov_b32 v19, v79
	;; [unrolled: 1-line block ×14, first 2 shown]
	v_mov_b32_e32 v47, v46
	v_mov_b32_e32 v59, v58
	;; [unrolled: 1-line block ×3, first 2 shown]
.LBB245_61:
	s_or_b32 exec_lo, exec_lo, s2
	v_mov_b32_e32 v39, v36
	s_mov_b32 s2, exec_lo
	v_cmpx_lt_f32_e32 v1, v36
	s_cbranch_execz .LBB245_63
; %bb.62:
	v_dual_mov_b32 v71, v60 :: v_dual_mov_b32 v72, v59
	v_dual_mov_b32 v73, v61 :: v_dual_mov_b32 v108, v47
	;; [unrolled: 1-line block ×17, first 2 shown]
	v_mov_b32_e32 v39, v1
.LBB245_63:
	s_or_b32 exec_lo, exec_lo, s2
	s_delay_alu instid0(VALU_DEP_1)
	v_cmp_lt_f32_e32 vcc_lo, v39, v37
	v_dual_mov_b32 v40, v28 :: v_dual_mov_b32 v43, v31
	v_dual_mov_b32 v42, v30 :: v_dual_mov_b32 v45, v33
	v_dual_cndmask_b32 v1, v25, v24 :: v_dual_cndmask_b32 v24, v24, v25
	v_cndmask_b32_e32 v2, v13, v12, vcc_lo
	v_dual_cndmask_b32 v12, v12, v13 :: v_dual_cndmask_b32 v49, v37, v39
	v_dual_cndmask_b32 v48, v36, v37 :: v_dual_mov_b32 v41, v29
	v_dual_mov_b32 v39, v27 :: v_dual_mov_b32 v44, v32
	v_dual_mov_b32 v47, v35 :: v_dual_mov_b32 v46, v34
	v_mov_b32_e32 v50, v38
	s_mov_b32 s2, exec_lo
	v_cmpx_lt_f32_e32 v27, v28
	s_cbranch_execz .LBB245_65
; %bb.64:
	v_dual_mov_b32 v28, v40 :: v_dual_mov_b32 v29, v39
	v_dual_mov_b32 v38, v49 :: v_dual_mov_b32 v39, v50
	;; [unrolled: 1-line block ×6, first 2 shown]
	v_mov_b32_e32 v50, v39
	v_mov_b32_e32 v13, v15
	v_dual_mov_b32 v25, v3 :: v_dual_mov_b32 v44, v33
	v_swap_b32 v15, v16
	v_swap_b32 v3, v4
	v_dual_mov_b32 v49, v38 :: v_dual_mov_b32 v46, v35
	v_dual_mov_b32 v48, v37 :: v_dual_mov_b32 v47, v36
	;; [unrolled: 1-line block ×4, first 2 shown]
	v_mov_b32_e32 v41, v30
	v_dual_mov_b32 v39, v28 :: v_dual_mov_b32 v28, v27
.LBB245_65:
	s_or_b32 exec_lo, exec_lo, s2
	v_mov_b32_e32 v13, v2
	v_dual_mov_b32 v25, v1 :: v_dual_mov_b32 v62, v14
	v_dual_mov_b32 v74, v26 :: v_dual_mov_b32 v63, v15
	v_mov_b32_e32 v86, v26
	v_dual_mov_b32 v72, v24 :: v_dual_mov_b32 v75, v15
	v_dual_mov_b32 v110, v26 :: v_dual_mov_b32 v53, v5
	;; [unrolled: 1-line block ×61, first 2 shown]
	v_mov_b32_e32 v149, v5
	v_mov_b32_e32 v147, v3
	;; [unrolled: 1-line block ×3, first 2 shown]
	s_mov_b32 s2, exec_lo
	v_dual_mov_b32 v85, v25 :: v_dual_mov_b32 v84, v24
	v_dual_mov_b32 v83, v23 :: v_dual_mov_b32 v82, v22
	s_clause 0x2
	scratch_store_b128 off, v[3:6], off
	scratch_store_b128 off, v[7:10], off offset:16
	scratch_store_b128 off, v[11:14], off offset:32
	v_cmpx_lt_f32_e32 v28, v41
	s_cbranch_execz .LBB245_67
; %bb.66:
	v_dual_mov_b32 v158, v14 :: v_dual_mov_b32 v157, v13
	v_dual_mov_b32 v150, v6 :: v_dual_mov_b32 v149, v5
	;; [unrolled: 1-line block ×7, first 2 shown]
	s_clause 0x2
	scratch_store_b128 off, v[147:150], off
	scratch_store_b128 off, v[151:154], off offset:16
	scratch_store_b128 off, v[155:158], off offset:32
	v_dual_mov_b32 v182, v26 :: v_dual_mov_b32 v181, v25
	v_dual_mov_b32 v172, v16 :: v_dual_mov_b32 v171, v15
	;; [unrolled: 1-line block ×8, first 2 shown]
	s_delay_alu instid0(VALU_DEP_4) | instskip(SKIP_1) | instid1(VALU_DEP_4)
	v_dual_mov_b32 v160, v172 :: v_dual_mov_b32 v161, v173
	v_dual_mov_b32 v162, v174 :: v_dual_mov_b32 v163, v175
	;; [unrolled: 1-line block ×4, first 2 shown]
	v_mov_b32_e32 v170, v182
	v_dual_mov_b32 v166, v178 :: v_dual_mov_b32 v167, v179
	v_mov_b32_e32 v162, v18
	v_dual_mov_b32 v40, v41 :: v_dual_mov_b32 v41, v28
	v_mov_b32_e32 v5, v4
	v_mov_b32_e32 v17, v16
	;; [unrolled: 1-line block ×3, first 2 shown]
	v_dual_mov_b32 v137, v149 :: v_dual_mov_b32 v144, v156
	v_dual_mov_b32 v123, v159 :: v_dual_mov_b32 v136, v148
	;; [unrolled: 1-line block ×12, first 2 shown]
	v_mov_b32_e32 v133, v169
	v_dual_mov_b32 v111, v135 :: v_dual_mov_b32 v112, v136
	v_dual_mov_b32 v99, v123 :: v_dual_mov_b32 v100, v124
	;; [unrolled: 1-line block ×12, first 2 shown]
	v_mov_b32_e32 v104, v20
	v_dual_mov_b32 v116, v8 :: v_dual_mov_b32 v75, v99
	v_mov_b32_e32 v87, v111
	v_dual_mov_b32 v93, v117 :: v_dual_mov_b32 v78, v102
	s_delay_alu instid0(VALU_DEP_3)
	v_dual_mov_b32 v81, v105 :: v_dual_mov_b32 v92, v116
	v_dual_mov_b32 v90, v114 :: v_dual_mov_b32 v91, v115
	;; [unrolled: 1-line block ×11, first 2 shown]
	v_mov_b32_e32 v51, v87
	v_dual_mov_b32 v63, v75 :: v_dual_mov_b32 v66, v78
	v_dual_mov_b32 v55, v91 :: v_dual_mov_b32 v58, v94
	;; [unrolled: 1-line block ×14, first 2 shown]
	v_mov_b32_e32 v72, v24
	v_dual_mov_b32 v62, v14 :: v_dual_mov_b32 v71, v23
	v_dual_mov_b32 v70, v22 :: v_dual_mov_b32 v73, v1
	v_mov_b32_e32 v74, v26
.LBB245_67:
	s_or_b32 exec_lo, exec_lo, s2
	v_mov_b32_e32 v3, v42
	v_cmp_lt_f32_e32 vcc_lo, v13, v42
	s_mov_b32 s2, exec_lo
	s_clause 0x2
	scratch_load_b128 v[27:30], off, off
	scratch_load_b128 v[31:34], off, off offset:16
	scratch_load_b128 v[35:38], off, off offset:32
	s_and_b32 s3, s2, vcc_lo
	s_delay_alu instid0(SALU_CYCLE_1)
	s_mov_b32 exec_lo, s3
	s_cbranch_execz .LBB245_69
; %bb.68:
	v_mov_b32_e32 v173, v18
	s_waitcnt vmcnt(2)
	v_mov_b32_e32 v29, v6
	v_dual_mov_b32 v159, v171 :: v_dual_mov_b32 v160, v172
	s_waitcnt vmcnt(0)
	v_dual_mov_b32 v158, v38 :: v_dual_mov_b32 v157, v37
	v_dual_mov_b32 v156, v36 :: v_dual_mov_b32 v147, v27
	;; [unrolled: 1-line block ×6, first 2 shown]
	v_mov_b32_e32 v168, v180
	v_dual_mov_b32 v164, v176 :: v_dual_mov_b32 v165, v177
	v_dual_mov_b32 v170, v182 :: v_dual_mov_b32 v155, v35
	;; [unrolled: 1-line block ×4, first 2 shown]
	v_mov_b32_e32 v150, v5
	v_mov_b32_e32 v169, v181
	v_dual_mov_b32 v162, v17 :: v_dual_mov_b32 v135, v147
	v_dual_mov_b32 v136, v148 :: v_dual_mov_b32 v123, v159
	;; [unrolled: 1-line block ×13, first 2 shown]
	v_mov_b32_e32 v139, v7
	v_dual_mov_b32 v99, v123 :: v_dual_mov_b32 v100, v124
	v_dual_mov_b32 v111, v135 :: v_dual_mov_b32 v114, v138
	;; [unrolled: 1-line block ×4, first 2 shown]
	v_mov_b32_e32 v120, v144
	v_dual_mov_b32 v104, v128 :: v_dual_mov_b32 v105, v129
	v_dual_mov_b32 v110, v134 :: v_dual_mov_b32 v115, v139
	;; [unrolled: 1-line block ×21, first 2 shown]
	v_mov_b32_e32 v93, v9
	v_dual_mov_b32 v63, v75 :: v_dual_mov_b32 v64, v76
	v_dual_mov_b32 v51, v87 :: v_dual_mov_b32 v54, v90
	;; [unrolled: 1-line block ×3, first 2 shown]
	s_delay_alu instid0(VALU_DEP_4)
	v_dual_mov_b32 v58, v94 :: v_dual_mov_b32 v57, v93
	v_dual_mov_b32 v60, v96 :: v_dual_mov_b32 v59, v95
	;; [unrolled: 1-line block ×9, first 2 shown]
	v_mov_b32_e32 v42, v13
	v_dual_mov_b32 v53, v89 :: v_dual_mov_b32 v56, v92
	v_dual_mov_b32 v68, v80 :: v_dual_mov_b32 v59, v11
	v_mov_b32_e32 v62, v14
	v_dual_mov_b32 v61, v2 :: v_dual_mov_b32 v72, v24
	v_dual_mov_b32 v70, v22 :: v_dual_mov_b32 v71, v23
	;; [unrolled: 1-line block ×3, first 2 shown]
	v_mov_b32_e32 v3, v13
	v_mov_b32_e32 v18, v17
	;; [unrolled: 1-line block ×3, first 2 shown]
.LBB245_69:
	s_or_b32 exec_lo, exec_lo, s2
	v_mov_b32_e32 v4, v43
	s_mov_b32 s2, exec_lo
	v_cmpx_lt_f32_e32 v3, v43
	s_cbranch_execz .LBB245_71
; %bb.70:
	v_mov_b32_e32 v174, v19
	s_waitcnt vmcnt(2)
	v_mov_b32_e32 v30, v7
	v_mov_b32_e32 v123, v171
	s_waitcnt vmcnt(0)
	v_dual_mov_b32 v125, v173 :: v_dual_mov_b32 v146, v38
	s_delay_alu instid0(VALU_DEP_3)
	v_dual_mov_b32 v143, v35 :: v_dual_mov_b32 v138, v30
	v_mov_b32_e32 v135, v27
	v_dual_mov_b32 v145, v37 :: v_dual_mov_b32 v142, v34
	v_dual_mov_b32 v139, v31 :: v_dual_mov_b32 v136, v28
	;; [unrolled: 1-line block ×6, first 2 shown]
	v_mov_b32_e32 v139, v6
	v_dual_mov_b32 v127, v18 :: v_dual_mov_b32 v124, v172
	v_dual_mov_b32 v126, v174 :: v_dual_mov_b32 v129, v177
	;; [unrolled: 1-line block ×15, first 2 shown]
	v_mov_b32_e32 v110, v134
	v_mov_b32_e32 v104, v20
	v_dual_mov_b32 v116, v8 :: v_dual_mov_b32 v75, v99
	v_mov_b32_e32 v87, v111
	v_dual_mov_b32 v93, v117 :: v_dual_mov_b32 v78, v102
	s_delay_alu instid0(VALU_DEP_3)
	v_dual_mov_b32 v81, v105 :: v_dual_mov_b32 v92, v116
	v_dual_mov_b32 v80, v104 :: v_dual_mov_b32 v83, v107
	;; [unrolled: 1-line block ×11, first 2 shown]
	v_mov_b32_e32 v63, v75
	s_delay_alu instid0(VALU_DEP_3)
	v_dual_mov_b32 v51, v87 :: v_dual_mov_b32 v54, v90
	v_dual_mov_b32 v71, v83 :: v_dual_mov_b32 v72, v84
	;; [unrolled: 1-line block ×14, first 2 shown]
	v_mov_b32_e32 v68, v80
	v_dual_mov_b32 v58, v10 :: v_dual_mov_b32 v59, v11
	v_dual_mov_b32 v60, v12 :: v_dual_mov_b32 v61, v2
	v_dual_mov_b32 v62, v14 :: v_dual_mov_b32 v71, v23
	v_dual_mov_b32 v70, v22 :: v_dual_mov_b32 v73, v1
	v_dual_mov_b32 v74, v26 :: v_dual_mov_b32 v161, v173
	v_dual_mov_b32 v160, v172 :: v_dual_mov_b32 v163, v175
	v_dual_mov_b32 v162, v174 :: v_dual_mov_b32 v165, v177
	v_dual_mov_b32 v164, v176 :: v_dual_mov_b32 v167, v179
	v_dual_mov_b32 v166, v178 :: v_dual_mov_b32 v169, v181
	v_dual_mov_b32 v168, v180 :: v_dual_mov_b32 v157, v37
	v_dual_mov_b32 v170, v182 :: v_dual_mov_b32 v155, v35
	v_dual_mov_b32 v156, v36 :: v_dual_mov_b32 v151, v31
	v_dual_mov_b32 v154, v34 :: v_dual_mov_b32 v149, v29
	v_dual_mov_b32 v152, v32 :: v_dual_mov_b32 v147, v27
	v_mov_b32_e32 v150, v30
	v_dual_mov_b32 v148, v28 :: v_dual_mov_b32 v19, v18
	v_dual_mov_b32 v4, v3 :: v_dual_mov_b32 v7, v6
.LBB245_71:
	s_or_b32 exec_lo, exec_lo, s2
	v_mov_b32_e32 v3, v44
	s_mov_b32 s2, exec_lo
	s_delay_alu instid0(VALU_DEP_2)
	v_cmpx_lt_f32_e32 v4, v44
	s_cbranch_execz .LBB245_73
; %bb.72:
	v_mov_b32_e32 v163, v20
	v_mov_b32_e32 v151, v8
	v_dual_mov_b32 v99, v159 :: v_dual_mov_b32 v102, v162
	v_dual_mov_b32 v111, v147 :: v_dual_mov_b32 v112, v148
	;; [unrolled: 1-line block ×10, first 2 shown]
	v_mov_b32_e32 v108, v168
	v_dual_mov_b32 v104, v164 :: v_dual_mov_b32 v109, v169
	v_mov_b32_e32 v116, v7
	v_mov_b32_e32 v107, v167
	;; [unrolled: 1-line block ×3, first 2 shown]
	v_dual_mov_b32 v87, v111 :: v_dual_mov_b32 v90, v114
	v_dual_mov_b32 v88, v112 :: v_dual_mov_b32 v89, v113
	;; [unrolled: 1-line block ×12, first 2 shown]
	v_mov_b32_e32 v93, v9
	v_mov_b32_e32 v43, v44
	v_dual_mov_b32 v44, v4 :: v_dual_mov_b32 v81, v21
	v_dual_mov_b32 v51, v87 :: v_dual_mov_b32 v56, v92
	;; [unrolled: 1-line block ×15, first 2 shown]
	v_mov_b32_e32 v136, v148
	v_dual_mov_b32 v54, v90 :: v_dual_mov_b32 v59, v11
	v_mov_b32_e32 v62, v14
	v_dual_mov_b32 v61, v2 :: v_dual_mov_b32 v72, v24
	v_dual_mov_b32 v70, v22 :: v_dual_mov_b32 v71, v23
	;; [unrolled: 1-line block ×14, first 2 shown]
	v_mov_b32_e32 v8, v7
.LBB245_73:
	s_or_b32 exec_lo, exec_lo, s2
	v_mov_b32_e32 v4, v45
	s_mov_b32 s2, exec_lo
	v_cmpx_lt_f32_e32 v3, v45
	s_cbranch_execz .LBB245_75
; %bb.74:
	v_mov_b32_e32 v140, v9
	v_dual_mov_b32 v128, v21 :: v_dual_mov_b32 v87, v135
	v_mov_b32_e32 v93, v141
	v_dual_mov_b32 v93, v8 :: v_dual_mov_b32 v94, v142
	v_dual_mov_b32 v96, v144 :: v_dual_mov_b32 v97, v145
	v_mov_b32_e32 v98, v146
	v_dual_mov_b32 v44, v45 :: v_dual_mov_b32 v75, v123
	v_dual_mov_b32 v84, v132 :: v_dual_mov_b32 v85, v133
	;; [unrolled: 1-line block ×8, first 2 shown]
	v_mov_b32_e32 v81, v20
	v_dual_mov_b32 v51, v87 :: v_dual_mov_b32 v52, v88
	v_dual_mov_b32 v76, v124 :: v_dual_mov_b32 v77, v125
	;; [unrolled: 1-line block ×30, first 2 shown]
	v_mov_b32_e32 v120, v144
	v_dual_mov_b32 v122, v146 :: v_dual_mov_b32 v21, v20
	v_dual_mov_b32 v4, v3 :: v_dual_mov_b32 v9, v8
.LBB245_75:
	s_or_b32 exec_lo, exec_lo, s2
	v_mov_b32_e32 v3, v46
	s_mov_b32 s2, exec_lo
	s_delay_alu instid0(VALU_DEP_2)
	v_cmpx_lt_f32_e32 v4, v46
	s_cbranch_execz .LBB245_77
; %bb.76:
	v_mov_b32_e32 v117, v10
	v_dual_mov_b32 v45, v46 :: v_dual_mov_b32 v46, v4
	v_mov_b32_e32 v105, v22
	v_dual_mov_b32 v51, v111 :: v_dual_mov_b32 v54, v114
	v_dual_mov_b32 v56, v116 :: v_dual_mov_b32 v63, v99
	v_dual_mov_b32 v66, v102 :: v_dual_mov_b32 v53, v113
	v_dual_mov_b32 v58, v118 :: v_dual_mov_b32 v55, v115
	v_dual_mov_b32 v60, v120 :: v_dual_mov_b32 v57, v117
	v_dual_mov_b32 v62, v122 :: v_dual_mov_b32 v59, v119
	v_mov_b32_e32 v58, v9
	v_dual_mov_b32 v61, v121 :: v_dual_mov_b32 v60, v12
	v_dual_mov_b32 v67, v103 :: v_dual_mov_b32 v70, v106
	;; [unrolled: 1-line block ×8, first 2 shown]
	v_mov_b32_e32 v62, v14
	v_dual_mov_b32 v61, v2 :: v_dual_mov_b32 v64, v100
	v_dual_mov_b32 v65, v101 :: v_dual_mov_b32 v68, v104
	;; [unrolled: 1-line block ×15, first 2 shown]
	v_mov_b32_e32 v98, v122
.LBB245_77:
	s_or_b32 exec_lo, exec_lo, s2
	v_mov_b32_e32 v4, v47
	s_mov_b32 s2, exec_lo
	v_cmpx_lt_f32_e32 v3, v47
	s_cbranch_execz .LBB245_79
; %bb.78:
	v_dual_mov_b32 v84, v24 :: v_dual_mov_b32 v85, v1
	v_dual_mov_b32 v94, v11 :: v_dual_mov_b32 v95, v10
	;; [unrolled: 1-line block ×4, first 2 shown]
	v_mov_b32_e32 v86, v26
	v_mov_b32_e32 v46, v47
	v_dual_mov_b32 v47, v3 :: v_dual_mov_b32 v98, v14
	v_dual_mov_b32 v63, v75 :: v_dual_mov_b32 v72, v84
	;; [unrolled: 1-line block ×3, first 2 shown]
	v_mov_b32_e32 v67, v79
	v_dual_mov_b32 v65, v77 :: v_dual_mov_b32 v66, v78
	v_dual_mov_b32 v69, v81 :: v_dual_mov_b32 v68, v80
	;; [unrolled: 1-line block ×9, first 2 shown]
	v_mov_b32_e32 v62, v98
	v_mov_b32_e32 v4, v3
.LBB245_79:
	s_or_b32 exec_lo, exec_lo, s2
	s_delay_alu instid0(VALU_DEP_1)
	v_cmp_lt_f32_e32 vcc_lo, v4, v48
	v_dual_mov_b32 v3, v41 :: v_dual_mov_b32 v8, v46
	v_dual_mov_b32 v5, v43 :: v_dual_mov_b32 v12, v50
	s_waitcnt vmcnt(0)
	v_cndmask_b32_e32 v37, v72, v71, vcc_lo
	v_dual_cndmask_b32 v71, v71, v72 :: v_dual_cndmask_b32 v38, v60, v59
	v_dual_cndmask_b32 v59, v59, v60 :: v_dual_mov_b32 v2, v40
	v_dual_cndmask_b32 v10, v48, v4 :: v_dual_mov_b32 v1, v39
	;; [unrolled: 1-line block ×3, first 2 shown]
	v_dual_mov_b32 v4, v42 :: v_dual_mov_b32 v7, v45
	v_mov_b32_e32 v11, v49
	s_mov_b32 s2, exec_lo
	v_cmpx_lt_f32_e32 v39, v40
	s_cbranch_execz .LBB245_81
; %bb.80:
	v_dual_mov_b32 v13, v2 :: v_dual_mov_b32 v14, v1
	v_dual_mov_b32 v15, v3 :: v_dual_mov_b32 v16, v4
	;; [unrolled: 1-line block ×6, first 2 shown]
	v_mov_b32_e32 v25, v63
	v_dual_mov_b32 v26, v51 :: v_dual_mov_b32 v1, v13
	v_swap_b32 v63, v64
	v_swap_b32 v51, v52
	v_dual_mov_b32 v2, v14 :: v_dual_mov_b32 v3, v15
	v_dual_mov_b32 v4, v16 :: v_dual_mov_b32 v5, v17
	;; [unrolled: 1-line block ×5, first 2 shown]
	v_mov_b32_e32 v12, v24
	v_mov_b32_e32 v40, v39
.LBB245_81:
	s_or_b32 exec_lo, exec_lo, s2
	v_mov_b32_e32 v60, v38
	v_dual_mov_b32 v72, v37 :: v_dual_mov_b32 v13, v51
	v_dual_mov_b32 v25, v63 :: v_dual_mov_b32 v98, v74
	;; [unrolled: 1-line block ×60, first 2 shown]
	s_mov_b32 s2, exec_lo
	v_dual_mov_b32 v96, v72 :: v_dual_mov_b32 v93, v69
	v_cmpx_lt_f32_e32 v40, v3
	s_cbranch_execz .LBB245_83
; %bb.82:
	v_dual_mov_b32 v134, v62 :: v_dual_mov_b32 v133, v61
	v_dual_mov_b32 v124, v52 :: v_dual_mov_b32 v123, v51
	v_mov_b32_e32 v124, v53
	v_dual_mov_b32 v128, v56 :: v_dual_mov_b32 v127, v55
	v_dual_mov_b32 v132, v60 :: v_dual_mov_b32 v131, v59
	;; [unrolled: 1-line block ×11, first 2 shown]
	v_mov_b32_e32 v141, v69
	v_dual_mov_b32 v136, v65 :: v_dual_mov_b32 v137, v64
	v_dual_mov_b32 v160, v124 :: v_dual_mov_b32 v159, v123
	;; [unrolled: 1-line block ×40, first 2 shown]
	v_mov_b32_e32 v22, v84
	v_dual_mov_b32 v22, v38 :: v_dual_mov_b32 v25, v87
	v_dual_mov_b32 v16, v78 :: v_dual_mov_b32 v19, v81
	;; [unrolled: 1-line block ×16, first 2 shown]
	v_mov_b32_e32 v35, v73
	v_dual_mov_b32 v34, v37 :: v_dual_mov_b32 v39, v40
	v_dual_mov_b32 v36, v74 :: v_dual_mov_b32 v65, v64
	v_mov_b32_e32 v53, v52
.LBB245_83:
	s_or_b32 exec_lo, exec_lo, s2
	v_mov_b32_e32 v40, v4
	s_mov_b32 s2, exec_lo
	v_cmpx_lt_f32_e32 v39, v4
	s_cbranch_execz .LBB245_85
; %bb.84:
	v_mov_b32_e32 v137, v66
	v_mov_b32_e32 v125, v54
	;; [unrolled: 1-line block ×4, first 2 shown]
	v_dual_mov_b32 v170, v134 :: v_dual_mov_b32 v169, v133
	v_dual_mov_b32 v168, v132 :: v_dual_mov_b32 v159, v123
	;; [unrolled: 1-line block ×9, first 2 shown]
	v_mov_b32_e32 v157, v145
	v_dual_mov_b32 v155, v143 :: v_dual_mov_b32 v152, v140
	v_mov_b32_e32 v162, v53
	v_mov_b32_e32 v149, v137
	v_dual_mov_b32 v150, v65 :: v_dual_mov_b32 v111, v159
	v_dual_mov_b32 v112, v160 :: v_dual_mov_b32 v99, v147
	;; [unrolled: 1-line block ×13, first 2 shown]
	v_mov_b32_e32 v115, v55
	v_dual_mov_b32 v87, v99 :: v_dual_mov_b32 v88, v100
	v_dual_mov_b32 v75, v111 :: v_dual_mov_b32 v78, v114
	;; [unrolled: 1-line block ×3, first 2 shown]
	s_delay_alu instid0(VALU_DEP_4)
	v_dual_mov_b32 v80, v116 :: v_dual_mov_b32 v79, v115
	v_dual_mov_b32 v82, v118 :: v_dual_mov_b32 v81, v117
	;; [unrolled: 1-line block ×6, first 2 shown]
	v_mov_b32_e32 v96, v108
	v_dual_mov_b32 v92, v104 :: v_dual_mov_b32 v93, v105
	v_dual_mov_b32 v98, v110 :: v_dual_mov_b32 v95, v107
	;; [unrolled: 1-line block ×21, first 2 shown]
	v_mov_b32_e32 v34, v37
	v_dual_mov_b32 v35, v73 :: v_dual_mov_b32 v36, v74
	v_mov_b32_e32 v40, v39
	v_mov_b32_e32 v66, v65
	;; [unrolled: 1-line block ×3, first 2 shown]
.LBB245_85:
	s_or_b32 exec_lo, exec_lo, s2
	v_mov_b32_e32 v39, v5
	s_mov_b32 s2, exec_lo
	v_cmpx_lt_f32_e32 v40, v5
	s_cbranch_execz .LBB245_87
; %bb.86:
	v_mov_b32_e32 v126, v55
	v_mov_b32_e32 v111, v123
	;; [unrolled: 1-line block ×3, first 2 shown]
	v_dual_mov_b32 v115, v54 :: v_dual_mov_b32 v116, v128
	v_dual_mov_b32 v138, v67 :: v_dual_mov_b32 v113, v125
	v_mov_b32_e32 v112, v124
	v_dual_mov_b32 v118, v130 :: v_dual_mov_b32 v119, v131
	v_dual_mov_b32 v120, v132 :: v_dual_mov_b32 v121, v133
	;; [unrolled: 1-line block ×24, first 2 shown]
	v_mov_b32_e32 v22, v84
	v_dual_mov_b32 v22, v38 :: v_dual_mov_b32 v25, v87
	v_dual_mov_b32 v16, v78 :: v_dual_mov_b32 v19, v81
	v_dual_mov_b32 v18, v80 :: v_dual_mov_b32 v21, v83
	v_dual_mov_b32 v20, v82 :: v_dual_mov_b32 v23, v85
	v_dual_mov_b32 v24, v86 :: v_dual_mov_b32 v21, v59
	v_dual_mov_b32 v28, v90 :: v_dual_mov_b32 v31, v93
	v_dual_mov_b32 v30, v92 :: v_dual_mov_b32 v33, v95
	v_dual_mov_b32 v32, v94 :: v_dual_mov_b32 v35, v97
	v_dual_mov_b32 v34, v96 :: v_dual_mov_b32 v31, v69
	v_dual_mov_b32 v36, v98 :: v_dual_mov_b32 v33, v71
	v_dual_mov_b32 v158, v146 :: v_dual_mov_b32 v153, v141
	v_dual_mov_b32 v170, v134 :: v_dual_mov_b32 v165, v129
	v_dual_mov_b32 v4, v5 :: v_dual_mov_b32 v5, v40
	v_dual_mov_b32 v14, v76 :: v_dual_mov_b32 v17, v79
	v_dual_mov_b32 v19, v57 :: v_dual_mov_b32 v20, v58
	v_dual_mov_b32 v23, v61 :: v_dual_mov_b32 v24, v62
	v_dual_mov_b32 v27, v89 :: v_dual_mov_b32 v26, v88
	v_dual_mov_b32 v29, v91 :: v_dual_mov_b32 v32, v70
	v_mov_b32_e32 v35, v73
	v_dual_mov_b32 v34, v37 :: v_dual_mov_b32 v155, v143
	v_dual_mov_b32 v36, v74 :: v_dual_mov_b32 v157, v145
	;; [unrolled: 1-line block ×12, first 2 shown]
	v_mov_b32_e32 v55, v54
.LBB245_87:
	s_or_b32 exec_lo, exec_lo, s2
	v_mov_b32_e32 v40, v6
	s_mov_b32 s2, exec_lo
	v_cmpx_lt_f32_e32 v39, v6
	s_cbranch_execz .LBB245_89
; %bb.88:
	v_mov_b32_e32 v163, v56
	v_dual_mov_b32 v75, v159 :: v_dual_mov_b32 v80, v164
	v_dual_mov_b32 v80, v55 :: v_dual_mov_b32 v81, v165
	;; [unrolled: 1-line block ×7, first 2 shown]
	v_mov_b32_e32 v85, v169
	v_dual_mov_b32 v89, v149 :: v_dual_mov_b32 v92, v152
	v_dual_mov_b32 v91, v151 :: v_dual_mov_b32 v94, v154
	;; [unrolled: 1-line block ×6, first 2 shown]
	v_mov_b32_e32 v88, v148
	v_mov_b32_e32 v6, v39
	s_delay_alu instid0(VALU_DEP_3) | instskip(NEXT) | instid1(VALU_DEP_3)
	v_dual_mov_b32 v13, v75 :: v_dual_mov_b32 v14, v76
	v_dual_mov_b32 v25, v87 :: v_dual_mov_b32 v26, v88
	;; [unrolled: 1-line block ×30, first 2 shown]
	v_mov_b32_e32 v40, v39
	v_mov_b32_e32 v68, v67
	;; [unrolled: 1-line block ×3, first 2 shown]
.LBB245_89:
	s_or_b32 exec_lo, exec_lo, s2
	v_mov_b32_e32 v39, v7
	s_mov_b32 s2, exec_lo
	v_cmpx_lt_f32_e32 v40, v7
	s_cbranch_execz .LBB245_91
; %bb.90:
	v_mov_b32_e32 v116, v57
	v_dual_mov_b32 v6, v7 :: v_dual_mov_b32 v7, v40
	v_dual_mov_b32 v104, v69 :: v_dual_mov_b32 v13, v111
	v_mov_b32_e32 v22, v120
	v_dual_mov_b32 v22, v38 :: v_dual_mov_b32 v25, v99
	v_mov_b32_e32 v34, v108
	v_dual_mov_b32 v34, v37 :: v_dual_mov_b32 v87, v99
	v_dual_mov_b32 v16, v114 :: v_dual_mov_b32 v19, v117
	;; [unrolled: 1-line block ×12, first 2 shown]
	v_mov_b32_e32 v23, v61
	v_dual_mov_b32 v21, v59 :: v_dual_mov_b32 v24, v62
	v_dual_mov_b32 v27, v101 :: v_dual_mov_b32 v26, v100
	;; [unrolled: 1-line block ×3, first 2 shown]
	v_mov_b32_e32 v35, v73
	v_dual_mov_b32 v33, v71 :: v_dual_mov_b32 v36, v74
	v_dual_mov_b32 v89, v101 :: v_dual_mov_b32 v88, v100
	;; [unrolled: 1-line block ×9, first 2 shown]
	v_mov_b32_e32 v39, v40
	v_mov_b32_e32 v69, v68
	v_dual_mov_b32 v57, v56 :: v_dual_mov_b32 v94, v106
	v_dual_mov_b32 v97, v109 :: v_dual_mov_b32 v82, v118
	;; [unrolled: 1-line block ×3, first 2 shown]
.LBB245_91:
	s_or_b32 exec_lo, exec_lo, s2
	v_mov_b32_e32 v40, v8
	s_mov_b32 s2, exec_lo
	v_cmpx_lt_f32_e32 v39, v8
	s_cbranch_execz .LBB245_93
; %bb.92:
	v_dual_mov_b32 v81, v58 :: v_dual_mov_b32 v82, v57
	v_dual_mov_b32 v83, v59 :: v_dual_mov_b32 v84, v38
	;; [unrolled: 1-line block ×19, first 2 shown]
	v_mov_b32_e32 v40, v39
.LBB245_93:
	s_or_b32 exec_lo, exec_lo, s2
	s_delay_alu instid0(VALU_DEP_1)
	v_cmp_lt_f32_e32 vcc_lo, v40, v9
	v_dual_mov_b32 v38, v2 :: v_dual_mov_b32 v41, v5
	v_dual_mov_b32 v42, v6 :: v_dual_mov_b32 v47, v11
	v_dual_cndmask_b32 v145, v33, v32 :: v_dual_cndmask_b32 v32, v32, v33
	v_dual_cndmask_b32 v146, v21, v20 :: v_dual_mov_b32 v39, v3
	v_dual_cndmask_b32 v20, v20, v21 :: v_dual_cndmask_b32 v45, v9, v40
	v_dual_cndmask_b32 v44, v8, v9 :: v_dual_mov_b32 v37, v1
	v_dual_mov_b32 v40, v4 :: v_dual_mov_b32 v43, v7
	v_mov_b32_e32 v46, v10
	v_mov_b32_e32 v48, v12
	s_mov_b32 s2, exec_lo
	v_cmpx_lt_f32_e32 v1, v2
	s_cbranch_execz .LBB245_95
; %bb.94:
	v_dual_mov_b32 v49, v38 :: v_dual_mov_b32 v50, v37
	v_dual_mov_b32 v51, v39 :: v_dual_mov_b32 v52, v40
	;; [unrolled: 1-line block ×6, first 2 shown]
	v_mov_b32_e32 v3, v25
	v_mov_b32_e32 v4, v13
	v_dual_mov_b32 v37, v49 :: v_dual_mov_b32 v40, v52
	v_swap_b32 v25, v26
	v_swap_b32 v13, v14
	v_dual_mov_b32 v38, v50 :: v_dual_mov_b32 v39, v51
	v_dual_mov_b32 v41, v53 :: v_dual_mov_b32 v42, v54
	;; [unrolled: 1-line block ×5, first 2 shown]
	v_mov_b32_e32 v2, v1
.LBB245_95:
	s_or_b32 exec_lo, exec_lo, s2
	v_mov_b32_e32 v21, v146
	v_dual_mov_b32 v33, v145 :: v_dual_mov_b32 v60, v24
	v_dual_mov_b32 v72, v36 :: v_dual_mov_b32 v61, v25
	;; [unrolled: 1-line block ×43, first 2 shown]
	v_mov_b32_e32 v97, v13
	v_mov_b32_e32 v1, v39
	s_mov_b32 s2, exec_lo
	v_dual_mov_b32 v95, v35 :: v_dual_mov_b32 v94, v34
	v_dual_mov_b32 v93, v33 :: v_dual_mov_b32 v92, v32
	;; [unrolled: 1-line block ×5, first 2 shown]
	v_cmpx_lt_f32_e32 v2, v39
	s_cbranch_execz .LBB245_97
; %bb.96:
	v_dual_mov_b32 v108, v24 :: v_dual_mov_b32 v107, v23
	v_dual_mov_b32 v98, v14 :: v_dual_mov_b32 v97, v13
	v_mov_b32_e32 v98, v15
	v_dual_mov_b32 v104, v20 :: v_dual_mov_b32 v103, v19
	v_dual_mov_b32 v100, v16 :: v_dual_mov_b32 v99, v15
	v_dual_mov_b32 v120, v36 :: v_dual_mov_b32 v119, v35
	v_dual_mov_b32 v102, v18 :: v_dual_mov_b32 v101, v17
	v_dual_mov_b32 v99, v14 :: v_dual_mov_b32 v112, v28
	v_dual_mov_b32 v111, v27 :: v_dual_mov_b32 v110, v26
	v_dual_mov_b32 v109, v25 :: v_dual_mov_b32 v106, v22
	v_dual_mov_b32 v105, v21 :: v_dual_mov_b32 v118, v34
	v_dual_mov_b32 v117, v33 :: v_dual_mov_b32 v116, v32
	v_dual_mov_b32 v115, v31 :: v_dual_mov_b32 v114, v30
	v_dual_mov_b32 v113, v29 :: v_dual_mov_b32 v110, v27
	v_dual_mov_b32 v111, v26 :: v_dual_mov_b32 v144, v108
	v_dual_mov_b32 v143, v107 :: v_dual_mov_b32 v134, v98
	v_dual_mov_b32 v133, v97 :: v_dual_mov_b32 v140, v104
	v_dual_mov_b32 v139, v103 :: v_dual_mov_b32 v132, v120
	v_dual_mov_b32 v129, v117 :: v_dual_mov_b32 v138, v102
	v_dual_mov_b32 v137, v101 :: v_dual_mov_b32 v136, v100
	v_dual_mov_b32 v135, v99 :: v_dual_mov_b32 v124, v112
	v_dual_mov_b32 v121, v109 :: v_dual_mov_b32 v142, v106
	v_dual_mov_b32 v141, v105 :: v_dual_mov_b32 v136, v16
	v_dual_mov_b32 v131, v119 :: v_dual_mov_b32 v130, v118
	v_dual_mov_b32 v127, v115 :: v_dual_mov_b32 v128, v116
	v_dual_mov_b32 v125, v113 :: v_dual_mov_b32 v126, v114
	v_dual_mov_b32 v123, v111 :: v_dual_mov_b32 v124, v28
	v_dual_mov_b32 v122, v110 :: v_dual_mov_b32 v73, v133
	v_dual_mov_b32 v80, v140 :: v_dual_mov_b32 v83, v143
	v_mov_b32_e32 v84, v144
	v_dual_mov_b32 v74, v134 :: v_dual_mov_b32 v77, v137
	v_mov_b32_e32 v75, v135
	v_dual_mov_b32 v38, v39 :: v_dual_mov_b32 v85, v121
	v_dual_mov_b32 v76, v136 :: v_dual_mov_b32 v79, v139
	;; [unrolled: 1-line block ×10, first 2 shown]
	v_mov_b32_e32 v39, v2
	v_dual_mov_b32 v49, v73 :: v_dual_mov_b32 v50, v74
	v_dual_mov_b32 v59, v83 :: v_dual_mov_b32 v60, v84
	;; [unrolled: 1-line block ×18, first 2 shown]
	v_mov_b32_e32 v70, v34
	v_dual_mov_b32 v72, v36 :: v_dual_mov_b32 v1, v2
	v_mov_b32_e32 v27, v26
	v_mov_b32_e32 v15, v14
.LBB245_97:
	s_or_b32 exec_lo, exec_lo, s2
	v_mov_b32_e32 v2, v40
	s_mov_b32 s2, exec_lo
	v_cmpx_lt_f32_e32 v1, v40
	s_cbranch_execz .LBB245_99
; %bb.98:
	v_mov_b32_e32 v99, v16
	v_mov_b32_e32 v144, v108
	;; [unrolled: 1-line block ×3, first 2 shown]
	v_dual_mov_b32 v136, v15 :: v_dual_mov_b32 v111, v28
	v_dual_mov_b32 v142, v106 :: v_dual_mov_b32 v133, v97
	;; [unrolled: 1-line block ×4, first 2 shown]
	v_mov_b32_e32 v135, v99
	v_dual_mov_b32 v125, v113 :: v_dual_mov_b32 v124, v112
	v_mov_b32_e32 v143, v107
	v_dual_mov_b32 v141, v105 :: v_dual_mov_b32 v140, v104
	v_dual_mov_b32 v139, v103 :: v_dual_mov_b32 v138, v102
	;; [unrolled: 1-line block ×18, first 2 shown]
	v_mov_b32_e32 v95, v131
	v_dual_mov_b32 v89, v29 :: v_dual_mov_b32 v88, v124
	v_dual_mov_b32 v49, v73 :: v_dual_mov_b32 v54, v78
	v_mov_b32_e32 v50, v74
	v_dual_mov_b32 v52, v76 :: v_dual_mov_b32 v61, v85
	s_delay_alu instid0(VALU_DEP_4)
	v_dual_mov_b32 v64, v88 :: v_dual_mov_b32 v51, v75
	v_dual_mov_b32 v56, v80 :: v_dual_mov_b32 v53, v77
	;; [unrolled: 1-line block ×12, first 2 shown]
	v_mov_b32_e32 v58, v22
	v_dual_mov_b32 v57, v146 :: v_dual_mov_b32 v60, v24
	v_dual_mov_b32 v59, v23 :: v_dual_mov_b32 v62, v86
	;; [unrolled: 1-line block ×5, first 2 shown]
	v_mov_b32_e32 v2, v1
	v_mov_b32_e32 v28, v27
	;; [unrolled: 1-line block ×3, first 2 shown]
.LBB245_99:
	s_or_b32 exec_lo, exec_lo, s2
	v_mov_b32_e32 v1, v41
	s_mov_b32 s2, exec_lo
	v_cmpx_lt_f32_e32 v2, v41
	s_cbranch_execz .LBB245_101
; %bb.100:
	v_mov_b32_e32 v100, v17
	v_mov_b32_e32 v73, v97
	;; [unrolled: 1-line block ×3, first 2 shown]
	v_dual_mov_b32 v77, v16 :: v_dual_mov_b32 v78, v102
	v_dual_mov_b32 v112, v29 :: v_dual_mov_b32 v75, v99
	v_dual_mov_b32 v82, v106 :: v_dual_mov_b32 v83, v107
	v_mov_b32_e32 v84, v108
	v_dual_mov_b32 v74, v98 :: v_dual_mov_b32 v85, v109
	v_mov_b32_e32 v86, v110
	v_dual_mov_b32 v76, v100 :: v_dual_mov_b32 v79, v103
	v_dual_mov_b32 v80, v104 :: v_dual_mov_b32 v81, v105
	;; [unrolled: 1-line block ×8, first 2 shown]
	v_mov_b32_e32 v49, v73
	v_dual_mov_b32 v89, v28 :: v_dual_mov_b32 v50, v74
	v_dual_mov_b32 v59, v83 :: v_dual_mov_b32 v60, v84
	;; [unrolled: 1-line block ×32, first 2 shown]
	v_mov_b32_e32 v17, v16
.LBB245_101:
	s_or_b32 exec_lo, exec_lo, s2
	v_mov_b32_e32 v2, v42
	s_mov_b32 s2, exec_lo
	v_cmpx_lt_f32_e32 v1, v42
	s_cbranch_execz .LBB245_103
; %bb.102:
	v_mov_b32_e32 v137, v18
	v_mov_b32_e32 v125, v30
	v_dual_mov_b32 v41, v42 :: v_dual_mov_b32 v42, v1
	v_dual_mov_b32 v49, v133 :: v_dual_mov_b32 v50, v134
	;; [unrolled: 1-line block ×13, first 2 shown]
	v_mov_b32_e32 v66, v29
	v_dual_mov_b32 v85, v121 :: v_dual_mov_b32 v86, v122
	v_dual_mov_b32 v73, v133 :: v_dual_mov_b32 v74, v134
	;; [unrolled: 1-line block ×4, first 2 shown]
	v_mov_b32_e32 v64, v124
	v_dual_mov_b32 v58, v22 :: v_dual_mov_b32 v59, v23
	v_dual_mov_b32 v67, v31 :: v_dual_mov_b32 v68, v32
	;; [unrolled: 1-line block ×8, first 2 shown]
	v_mov_b32_e32 v2, v1
	v_mov_b32_e32 v30, v29
	v_dual_mov_b32 v18, v17 :: v_dual_mov_b32 v91, v127
	v_dual_mov_b32 v92, v128 :: v_dual_mov_b32 v93, v129
	;; [unrolled: 1-line block ×6, first 2 shown]
	v_mov_b32_e32 v84, v144
.LBB245_103:
	s_or_b32 exec_lo, exec_lo, s2
	v_mov_b32_e32 v1, v43
	s_mov_b32 s2, exec_lo
	v_cmpx_lt_f32_e32 v2, v43
	s_cbranch_execz .LBB245_105
; %bb.104:
	v_dual_mov_b32 v94, v34 :: v_dual_mov_b32 v95, v35
	v_dual_mov_b32 v78, v19 :: v_dual_mov_b32 v79, v18
	;; [unrolled: 1-line block ×6, first 2 shown]
	v_mov_b32_e32 v96, v36
	v_dual_mov_b32 v42, v43 :: v_dual_mov_b32 v43, v2
	v_dual_mov_b32 v84, v24 :: v_dual_mov_b32 v61, v85
	;; [unrolled: 1-line block ×14, first 2 shown]
.LBB245_105:
	s_or_b32 exec_lo, exec_lo, s2
	s_delay_alu instid0(VALU_DEP_1)
	v_cmp_lt_f32_e32 vcc_lo, v1, v44
	v_dual_mov_b32 v3, v39 :: v_dual_mov_b32 v10, v46
	v_dual_mov_b32 v5, v41 :: v_dual_mov_b32 v12, v48
	v_dual_cndmask_b32 v121, v68, v67 :: v_dual_mov_b32 v2, v38
	v_dual_cndmask_b32 v67, v67, v68 :: v_dual_cndmask_b32 v122, v56, v55
	v_dual_cndmask_b32 v55, v55, v56 :: v_dual_cndmask_b32 v8, v44, v1
	v_dual_cndmask_b32 v7, v43, v44 :: v_dual_mov_b32 v4, v40
	v_dual_mov_b32 v1, v37 :: v_dual_mov_b32 v6, v42
	v_mov_b32_e32 v9, v45
	v_mov_b32_e32 v11, v47
	s_mov_b32 s2, exec_lo
	v_cmpx_lt_f32_e32 v37, v38
	s_cbranch_execz .LBB245_107
; %bb.106:
	v_dual_mov_b32 v13, v2 :: v_dual_mov_b32 v14, v1
	v_dual_mov_b32 v15, v3 :: v_dual_mov_b32 v16, v4
	;; [unrolled: 1-line block ×6, first 2 shown]
	v_mov_b32_e32 v25, v61
	v_mov_b32_e32 v26, v49
	v_dual_mov_b32 v1, v13 :: v_dual_mov_b32 v4, v16
	v_swap_b32 v61, v62
	v_swap_b32 v49, v50
	v_dual_mov_b32 v2, v14 :: v_dual_mov_b32 v3, v15
	v_dual_mov_b32 v5, v17 :: v_dual_mov_b32 v6, v18
	v_dual_mov_b32 v7, v19 :: v_dual_mov_b32 v8, v20
	v_dual_mov_b32 v9, v21 :: v_dual_mov_b32 v10, v22
	v_dual_mov_b32 v11, v23 :: v_dual_mov_b32 v12, v24
	v_mov_b32_e32 v38, v37
.LBB245_107:
	s_or_b32 exec_lo, exec_lo, s2
	v_mov_b32_e32 v56, v122
	v_mov_b32_e32 v68, v121
	;; [unrolled: 1-line block ×3, first 2 shown]
	v_dual_mov_b32 v27, v51 :: v_dual_mov_b32 v84, v72
	v_mov_b32_e32 v81, v69
	v_dual_mov_b32 v83, v71 :: v_dual_mov_b32 v96, v60
	v_dual_mov_b32 v91, v55 :: v_dual_mov_b32 v120, v72
	;; [unrolled: 1-line block ×31, first 2 shown]
	v_mov_b32_e32 v24, v60
	s_mov_b32 s2, exec_lo
	v_dual_mov_b32 v118, v70 :: v_dual_mov_b32 v115, v67
	v_dual_mov_b32 v116, v68 :: v_dual_mov_b32 v113, v65
	;; [unrolled: 1-line block ×3, first 2 shown]
	v_cmpx_lt_f32_e32 v38, v3
	s_cbranch_execz .LBB245_109
; %bb.108:
	v_dual_mov_b32 v13, v49 :: v_dual_mov_b32 v14, v50
	v_dual_mov_b32 v23, v59 :: v_dual_mov_b32 v24, v60
	v_dual_mov_b32 v15, v51 :: v_dual_mov_b32 v16, v52
	v_dual_mov_b32 v17, v53 :: v_dual_mov_b32 v18, v54
	v_dual_mov_b32 v19, v55 :: v_dual_mov_b32 v20, v56
	v_dual_mov_b32 v21, v57 :: v_dual_mov_b32 v22, v58
	v_dual_mov_b32 v14, v51 :: v_dual_mov_b32 v15, v50
	v_dual_mov_b32 v96, v24 :: v_dual_mov_b32 v95, v23
	v_dual_mov_b32 v88, v16 :: v_dual_mov_b32 v85, v13
	v_dual_mov_b32 v108, v72 :: v_dual_mov_b32 v105, v69
	v_dual_mov_b32 v2, v3 :: v_dual_mov_b32 v93, v21
	v_dual_mov_b32 v94, v22 :: v_dual_mov_b32 v91, v19
	v_dual_mov_b32 v92, v20 :: v_dual_mov_b32 v89, v17
	v_dual_mov_b32 v90, v18 :: v_dual_mov_b32 v87, v15
	v_dual_mov_b32 v86, v14 :: v_dual_mov_b32 v107, v71
	v_dual_mov_b32 v88, v52 :: v_dual_mov_b32 v3, v38
	v_dual_mov_b32 v100, v64 :: v_dual_mov_b32 v97, v61
	v_dual_mov_b32 v98, v62 :: v_dual_mov_b32 v25, v85
	v_dual_mov_b32 v106, v70 :: v_dual_mov_b32 v103, v67
	v_dual_mov_b32 v104, v68 :: v_dual_mov_b32 v101, v65
	v_dual_mov_b32 v102, v66 :: v_dual_mov_b32 v99, v63
	v_dual_mov_b32 v98, v63 :: v_dual_mov_b32 v99, v62
	v_dual_mov_b32 v120, v108 :: v_dual_mov_b32 v117, v105
	v_dual_mov_b32 v32, v92 :: v_dual_mov_b32 v33, v93
	v_dual_mov_b32 v112, v100 :: v_dual_mov_b32 v109, v97
	v_dual_mov_b32 v32, v122 :: v_dual_mov_b32 v119, v107
	v_dual_mov_b32 v118, v106 :: v_dual_mov_b32 v115, v103
	v_dual_mov_b32 v116, v104 :: v_dual_mov_b32 v113, v101
	v_dual_mov_b32 v114, v102 :: v_dual_mov_b32 v111, v99
	v_dual_mov_b32 v110, v98 :: v_dual_mov_b32 v33, v57
	v_mov_b32_e32 v112, v64
	v_dual_mov_b32 v34, v94 :: v_dual_mov_b32 v35, v95
	v_dual_mov_b32 v35, v59 :: v_dual_mov_b32 v34, v58
	;; [unrolled: 1-line block ×15, first 2 shown]
	v_mov_b32_e32 v81, v69
	v_dual_mov_b32 v80, v121 :: v_dual_mov_b32 v83, v71
	v_mov_b32_e32 v82, v70
	v_dual_mov_b32 v84, v72 :: v_dual_mov_b32 v37, v38
	v_mov_b32_e32 v63, v62
	v_mov_b32_e32 v51, v50
.LBB245_109:
	s_or_b32 exec_lo, exec_lo, s2
	v_mov_b32_e32 v38, v4
	s_mov_b32 s2, exec_lo
	v_cmpx_lt_f32_e32 v37, v4
	s_cbranch_execz .LBB245_111
; %bb.110:
	v_mov_b32_e32 v15, v52
	v_mov_b32_e32 v96, v24
	;; [unrolled: 1-line block ×3, first 2 shown]
	v_dual_mov_b32 v88, v51 :: v_dual_mov_b32 v99, v64
	v_dual_mov_b32 v94, v22 :: v_dual_mov_b32 v85, v13
	;; [unrolled: 1-line block ×3, first 2 shown]
	v_mov_b32_e32 v95, v23
	v_dual_mov_b32 v93, v21 :: v_dual_mov_b32 v92, v20
	v_dual_mov_b32 v91, v19 :: v_dual_mov_b32 v90, v18
	;; [unrolled: 1-line block ×7, first 2 shown]
	v_mov_b32_e32 v87, v15
	v_dual_mov_b32 v111, v99 :: v_dual_mov_b32 v110, v98
	v_dual_mov_b32 v112, v63 :: v_dual_mov_b32 v25, v85
	;; [unrolled: 1-line block ×3, first 2 shown]
	s_delay_alu instid0(VALU_DEP_3)
	v_dual_mov_b32 v74, v110 :: v_dual_mov_b32 v29, v89
	v_dual_mov_b32 v30, v90 :: v_dual_mov_b32 v31, v91
	;; [unrolled: 1-line block ×8, first 2 shown]
	v_mov_b32_e32 v84, v120
	v_dual_mov_b32 v3, v4 :: v_dual_mov_b32 v4, v37
	v_dual_mov_b32 v27, v87 :: v_dual_mov_b32 v28, v88
	;; [unrolled: 1-line block ×11, first 2 shown]
	v_mov_b32_e32 v38, v37
	v_mov_b32_e32 v64, v63
	;; [unrolled: 1-line block ×3, first 2 shown]
.LBB245_111:
	s_or_b32 exec_lo, exec_lo, s2
	v_mov_b32_e32 v16, v5
	s_mov_b32 s2, exec_lo
	v_cmpx_lt_f32_e32 v38, v5
	s_cbranch_execz .LBB245_113
; %bb.112:
	v_mov_b32_e32 v100, v65
	v_mov_b32_e32 v16, v53
	v_dual_mov_b32 v4, v5 :: v_dual_mov_b32 v5, v38
	v_dual_mov_b32 v36, v24 :: v_dual_mov_b32 v33, v21
	;; [unrolled: 1-line block ×3, first 2 shown]
	v_mov_b32_e32 v31, v19
	v_dual_mov_b32 v35, v59 :: v_dual_mov_b32 v34, v58
	v_dual_mov_b32 v73, v97 :: v_dual_mov_b32 v32, v20
	;; [unrolled: 1-line block ×8, first 2 shown]
	v_mov_b32_e32 v77, v64
	v_dual_mov_b32 v84, v108 :: v_dual_mov_b32 v79, v67
	v_dual_mov_b32 v120, v108 :: v_dual_mov_b32 v115, v103
	;; [unrolled: 1-line block ×19, first 2 shown]
	v_mov_b32_e32 v88, v16
	v_dual_mov_b32 v86, v14 :: v_dual_mov_b32 v65, v64
	v_dual_mov_b32 v16, v38 :: v_dual_mov_b32 v53, v52
	;; [unrolled: 1-line block ×3, first 2 shown]
.LBB245_113:
	s_or_b32 exec_lo, exec_lo, s2
	v_mov_b32_e32 v13, v6
	s_mov_b32 s2, exec_lo
	v_cmpx_lt_f32_e32 v16, v6
	s_cbranch_execz .LBB245_115
; %bb.114:
	v_dual_mov_b32 v89, v54 :: v_dual_mov_b32 v90, v53
	v_dual_mov_b32 v91, v55 :: v_dual_mov_b32 v92, v122
	v_dual_mov_b32 v93, v57 :: v_dual_mov_b32 v94, v58
	v_dual_mov_b32 v95, v59 :: v_dual_mov_b32 v114, v65
	v_dual_mov_b32 v113, v66 :: v_dual_mov_b32 v116, v121
	v_dual_mov_b32 v115, v67 :: v_dual_mov_b32 v118, v70
	v_dual_mov_b32 v117, v69 :: v_dual_mov_b32 v120, v72
	v_dual_mov_b32 v119, v71 :: v_dual_mov_b32 v96, v60
	v_dual_mov_b32 v73, v109 :: v_dual_mov_b32 v74, v110
	v_dual_mov_b32 v25, v85 :: v_dual_mov_b32 v26, v86
	v_dual_mov_b32 v5, v6 :: v_dual_mov_b32 v6, v16
	v_dual_mov_b32 v75, v111 :: v_dual_mov_b32 v76, v112
	v_dual_mov_b32 v77, v113 :: v_dual_mov_b32 v78, v114
	v_dual_mov_b32 v79, v115 :: v_dual_mov_b32 v80, v116
	v_dual_mov_b32 v81, v117 :: v_dual_mov_b32 v82, v118
	v_dual_mov_b32 v83, v119 :: v_dual_mov_b32 v84, v120
	v_dual_mov_b32 v27, v87 :: v_dual_mov_b32 v28, v88
	v_dual_mov_b32 v29, v89 :: v_dual_mov_b32 v30, v90
	v_dual_mov_b32 v31, v91 :: v_dual_mov_b32 v32, v92
	v_dual_mov_b32 v33, v93 :: v_dual_mov_b32 v34, v94
	v_dual_mov_b32 v35, v95 :: v_dual_mov_b32 v36, v96
	v_mov_b32_e32 v13, v16
.LBB245_115:
	s_or_b32 exec_lo, exec_lo, s2
	s_delay_alu instid0(VALU_DEP_1)
	v_cmp_lt_f32_e32 vcc_lo, v13, v7
	v_dual_mov_b32 v14, v2 :: v_dual_mov_b32 v17, v5
	v_dual_mov_b32 v16, v4 :: v_dual_mov_b32 v21, v9
	v_dual_cndmask_b32 v37, v79, v78 :: v_dual_cndmask_b32 v78, v78, v79
	v_cndmask_b32_e32 v38, v31, v30, vcc_lo
	v_dual_cndmask_b32 v30, v30, v31 :: v_dual_cndmask_b32 v19, v7, v13
	v_dual_cndmask_b32 v18, v6, v7 :: v_dual_mov_b32 v15, v3
	v_dual_mov_b32 v13, v1 :: v_dual_mov_b32 v20, v8
	v_dual_mov_b32 v23, v11 :: v_dual_mov_b32 v22, v10
	v_mov_b32_e32 v24, v12
	s_mov_b32 s2, exec_lo
	v_cmpx_lt_f32_e32 v1, v2
	s_cbranch_execz .LBB245_117
; %bb.116:
	v_dual_mov_b32 v2, v14 :: v_dual_mov_b32 v3, v13
	v_dual_mov_b32 v12, v23 :: v_dual_mov_b32 v13, v24
	;; [unrolled: 1-line block ×6, first 2 shown]
	v_mov_b32_e32 v24, v13
	v_mov_b32_e32 v31, v73
	v_dual_mov_b32 v39, v25 :: v_dual_mov_b32 v18, v7
	v_swap_b32 v73, v74
	v_swap_b32 v25, v26
	v_dual_mov_b32 v23, v12 :: v_dual_mov_b32 v20, v9
	v_dual_mov_b32 v22, v11 :: v_dual_mov_b32 v21, v10
	;; [unrolled: 1-line block ×4, first 2 shown]
	v_mov_b32_e32 v15, v4
	v_dual_mov_b32 v13, v2 :: v_dual_mov_b32 v2, v1
.LBB245_117:
	s_or_b32 exec_lo, exec_lo, s2
	v_mov_b32_e32 v31, v38
	v_dual_mov_b32 v79, v37 :: v_dual_mov_b32 v50, v36
	v_dual_mov_b32 v51, v73 :: v_dual_mov_b32 v52, v74
	;; [unrolled: 1-line block ×24, first 2 shown]
	v_mov_b32_e32 v85, v25
	v_mov_b32_e32 v1, v15
	s_mov_b32 s2, exec_lo
	v_cmpx_lt_f32_e32 v2, v15
	s_cbranch_execz .LBB245_119
; %bb.118:
	v_dual_mov_b32 v96, v36 :: v_dual_mov_b32 v95, v35
	v_dual_mov_b32 v86, v26 :: v_dual_mov_b32 v85, v25
	;; [unrolled: 1-line block ×8, first 2 shown]
	v_mov_b32_e32 v105, v81
	v_dual_mov_b32 v43, v89 :: v_dual_mov_b32 v44, v90
	v_dual_mov_b32 v100, v76 :: v_dual_mov_b32 v97, v73
	;; [unrolled: 1-line block ×6, first 2 shown]
	v_mov_b32_e32 v98, v74
	v_dual_mov_b32 v98, v75 :: v_dual_mov_b32 v99, v74
	v_dual_mov_b32 v49, v95 :: v_dual_mov_b32 v50, v96
	;; [unrolled: 1-line block ×12, first 2 shown]
	v_mov_b32_e32 v40, v86
	v_dual_mov_b32 v42, v28 :: v_dual_mov_b32 v43, v29
	v_dual_mov_b32 v45, v38 :: v_dual_mov_b32 v46, v32
	;; [unrolled: 1-line block ×9, first 2 shown]
	v_mov_b32_e32 v75, v74
	v_mov_b32_e32 v27, v26
.LBB245_119:
	s_or_b32 exec_lo, exec_lo, s2
	v_mov_b32_e32 v2, v16
	s_mov_b32 s2, exec_lo
	v_cmpx_lt_f32_e32 v1, v16
	s_cbranch_execz .LBB245_121
; %bb.120:
	v_mov_b32_e32 v87, v28
	v_mov_b32_e32 v99, v76
	v_dual_mov_b32 v15, v16 :: v_dual_mov_b32 v16, v1
	v_dual_mov_b32 v39, v85 :: v_dual_mov_b32 v42, v88
	;; [unrolled: 1-line block ×13, first 2 shown]
	v_mov_b32_e32 v56, v78
	v_mov_b32_e32 v40, v86
	v_dual_mov_b32 v42, v27 :: v_dual_mov_b32 v43, v29
	v_dual_mov_b32 v45, v38 :: v_dual_mov_b32 v46, v32
	;; [unrolled: 1-line block ×8, first 2 shown]
	v_mov_b32_e32 v2, v1
	v_mov_b32_e32 v76, v75
	;; [unrolled: 1-line block ×3, first 2 shown]
.LBB245_121:
	s_or_b32 exec_lo, exec_lo, s2
	v_mov_b32_e32 v1, v17
	s_mov_b32 s2, exec_lo
	v_cmpx_lt_f32_e32 v2, v17
	s_cbranch_execz .LBB245_123
; %bb.122:
	v_dual_mov_b32 v106, v82 :: v_dual_mov_b32 v107, v83
	v_dual_mov_b32 v88, v29 :: v_dual_mov_b32 v89, v28
	;; [unrolled: 1-line block ×8, first 2 shown]
	v_mov_b32_e32 v108, v84
	v_dual_mov_b32 v16, v17 :: v_dual_mov_b32 v17, v2
	v_dual_mov_b32 v96, v36 :: v_dual_mov_b32 v51, v97
	;; [unrolled: 1-line block ×14, first 2 shown]
.LBB245_123:
	s_or_b32 exec_lo, exec_lo, s2
	s_delay_alu instid0(VALU_DEP_1)
	v_cmp_lt_f32_e32 vcc_lo, v1, v18
	v_dual_mov_b32 v27, v13 :: v_dual_mov_b32 v34, v20
	v_dual_mov_b32 v29, v15 :: v_dual_mov_b32 v36, v22
	v_dual_cndmask_b32 v63, v56, v55 :: v_dual_cndmask_b32 v32, v18, v1
	v_dual_cndmask_b32 v55, v55, v56 :: v_dual_cndmask_b32 v64, v44, v43
	v_dual_cndmask_b32 v43, v43, v44 :: v_dual_mov_b32 v28, v14
	v_dual_cndmask_b32 v31, v17, v18 :: v_dual_mov_b32 v30, v16
	v_dual_mov_b32 v33, v19 :: v_dual_mov_b32 v38, v24
	v_mov_b32_e32 v35, v21
	v_mov_b32_e32 v37, v23
	s_mov_b32 s2, exec_lo
	v_cmpx_lt_f32_e32 v13, v14
	s_cbranch_execz .LBB245_125
; %bb.124:
	s_delay_alu instid0(VALU_DEP_2)
	v_dual_mov_b32 v11, v37 :: v_dual_mov_b32 v12, v38
	v_dual_mov_b32 v1, v28 :: v_dual_mov_b32 v2, v27
	;; [unrolled: 1-line block ×7, first 2 shown]
	s_delay_alu instid0(VALU_DEP_2)
	v_dual_mov_b32 v16, v39 :: v_dual_mov_b32 v35, v9
	v_swap_b32 v51, v52
	v_swap_b32 v39, v40
	v_dual_mov_b32 v37, v11 :: v_dual_mov_b32 v36, v10
	v_dual_mov_b32 v34, v8 :: v_dual_mov_b32 v33, v7
	v_dual_mov_b32 v32, v6 :: v_dual_mov_b32 v31, v5
	v_dual_mov_b32 v30, v4 :: v_dual_mov_b32 v29, v3
	v_dual_mov_b32 v28, v2 :: v_dual_mov_b32 v27, v1
	v_mov_b32_e32 v14, v13
.LBB245_125:
	s_or_b32 exec_lo, exec_lo, s2
	v_mov_b32_e32 v44, v64
	v_mov_b32_e32 v56, v63
	;; [unrolled: 1-line block ×4, first 2 shown]
	v_dual_mov_b32 v15, v51 :: v_dual_mov_b32 v2, v40
	v_dual_mov_b32 v16, v52 :: v_dual_mov_b32 v17, v53
	;; [unrolled: 1-line block ×11, first 2 shown]
	v_mov_b32_e32 v12, v50
	s_mov_b32 s2, exec_lo
	v_cmpx_lt_f32_e32 v14, v29
	s_cbranch_execz .LBB245_127
; %bb.126:
	v_dual_mov_b32 v1, v39 :: v_dual_mov_b32 v2, v40
	v_dual_mov_b32 v11, v49 :: v_dual_mov_b32 v12, v50
	;; [unrolled: 1-line block ×25, first 2 shown]
	v_mov_b32_e32 v41, v40
.LBB245_127:
	s_or_b32 exec_lo, exec_lo, s2
	v_mov_b32_e32 v39, v30
	s_mov_b32 s2, exec_lo
	v_cmpx_lt_f32_e32 v13, v30
	s_cbranch_execz .LBB245_129
; %bb.128:
	v_dual_mov_b32 v29, v30 :: v_dual_mov_b32 v30, v13
	v_dual_mov_b32 v3, v42 :: v_dual_mov_b32 v4, v41
	;; [unrolled: 1-line block ×11, first 2 shown]
	v_mov_b32_e32 v39, v13
.LBB245_129:
	s_or_b32 exec_lo, exec_lo, s2
	s_delay_alu instid0(VALU_DEP_1)
	v_cmp_lt_f32_e32 vcc_lo, v39, v31
	v_dual_mov_b32 v40, v28 :: v_dual_mov_b32 v45, v33
	v_dual_mov_b32 v44, v32 :: v_dual_mov_b32 v47, v35
	v_dual_cndmask_b32 v13, v19, v18 :: v_dual_cndmask_b32 v18, v18, v19
	v_dual_cndmask_b32 v14, v5, v4 :: v_dual_cndmask_b32 v43, v31, v39
	v_dual_cndmask_b32 v4, v4, v5 :: v_dual_mov_b32 v39, v27
	v_dual_cndmask_b32 v42, v30, v31 :: v_dual_mov_b32 v41, v29
	v_dual_mov_b32 v46, v34 :: v_dual_mov_b32 v49, v37
	v_mov_b32_e32 v48, v36
	v_mov_b32_e32 v50, v38
	s_mov_b32 s2, exec_lo
	v_cmpx_lt_f32_e32 v27, v28
	s_cbranch_execz .LBB245_131
; %bb.130:
	v_dual_mov_b32 v28, v40 :: v_dual_mov_b32 v29, v39
	v_dual_mov_b32 v38, v49 :: v_dual_mov_b32 v39, v50
	;; [unrolled: 1-line block ×7, first 2 shown]
	v_mov_b32_e32 v5, v15
	v_swap_b32 v15, v16
	s_delay_alu instid0(VALU_DEP_4)
	v_mov_b32_e32 v48, v37
	v_swap_b32 v1, v2
	v_dual_mov_b32 v49, v38 :: v_dual_mov_b32 v46, v35
	v_dual_mov_b32 v47, v36 :: v_dual_mov_b32 v44, v33
	;; [unrolled: 1-line block ×4, first 2 shown]
	v_mov_b32_e32 v41, v30
	v_dual_mov_b32 v39, v28 :: v_dual_mov_b32 v28, v27
.LBB245_131:
	s_or_b32 exec_lo, exec_lo, s2
	v_mov_b32_e32 v5, v14
	v_mov_b32_e32 v19, v13
	;; [unrolled: 1-line block ×3, first 2 shown]
	s_mov_b32 s2, exec_lo
	v_cmpx_lt_f32_e32 v28, v41
	s_cbranch_execz .LBB245_133
; %bb.132:
	v_dual_mov_b32 v74, v26 :: v_dual_mov_b32 v73, v25
	v_dual_mov_b32 v62, v12 :: v_dual_mov_b32 v61, v11
	;; [unrolled: 1-line block ×22, first 2 shown]
	v_mov_b32_e32 v74, v26
	v_dual_mov_b32 v40, v41 :: v_dual_mov_b32 v41, v28
	v_dual_mov_b32 v62, v12 :: v_dual_mov_b32 v15, v63
	;; [unrolled: 1-line block ×14, first 2 shown]
.LBB245_133:
	s_or_b32 exec_lo, exec_lo, s2
	s_delay_alu instid0(VALU_DEP_1)
	v_cmp_lt_f32_e32 vcc_lo, v27, v42
	v_dual_mov_b32 v29, v24 :: v_dual_mov_b32 v32, v5
	v_dual_mov_b32 v31, v26 :: v_dual_mov_b32 v34, v7
	v_dual_cndmask_b32 v13, v18, v17 :: v_dual_cndmask_b32 v14, v4, v3
	v_cndmask_b32_e32 v51, v17, v18, vcc_lo
	v_dual_cndmask_b32 v59, v3, v4 :: v_dual_cndmask_b32 v60, v41, v42
	v_dual_cndmask_b32 v3, v42, v27 :: v_dual_mov_b32 v18, v21
	v_cmp_lt_f32_e32 vcc_lo, v39, v40
	v_dual_mov_b32 v4, v19 :: v_dual_mov_b32 v17, v20
	v_dual_mov_b32 v28, v23 :: v_dual_mov_b32 v27, v22
	v_dual_mov_b32 v30, v25 :: v_dual_mov_b32 v33, v6
	v_dual_mov_b32 v36, v9 :: v_dual_mov_b32 v35, v8
	v_dual_mov_b32 v38, v11 :: v_dual_mov_b32 v37, v10
	v_dual_mov_b32 v42, v43 :: v_dual_mov_b32 v41, v12
	v_dual_mov_b32 v54, v46 :: v_dual_mov_b32 v61, v40
	v_mov_b32_e32 v58, v50
	v_dual_mov_b32 v52, v44 :: v_dual_mov_b32 v53, v45
	v_dual_mov_b32 v55, v47 :: v_dual_mov_b32 v56, v48
	v_mov_b32_e32 v57, v49
	s_and_saveexec_b32 s2, vcc_lo
	s_cbranch_execz .LBB245_135
; %bb.134:
	v_dual_mov_b32 v42, v40 :: v_dual_mov_b32 v27, v22
	v_dual_mov_b32 v4, v15 :: v_dual_mov_b32 v17, v20
	;; [unrolled: 1-line block ×3, first 2 shown]
	v_swap_b32 v15, v16
	v_swap_b32 v1, v2
	v_dual_mov_b32 v40, v39 :: v_dual_mov_b32 v29, v24
	v_dual_mov_b32 v4, v19 :: v_dual_mov_b32 v31, v26
	;; [unrolled: 1-line block ×10, first 2 shown]
	v_mov_b32_e32 v52, v44
	v_mov_b32_e32 v54, v46
	;; [unrolled: 1-line block ×4, first 2 shown]
.LBB245_135:
	s_or_b32 exec_lo, exec_lo, s2
	s_clause 0x1
	s_load_b32 s8, s[0:1], 0x28
	s_load_b128 s[4:7], s[0:1], 0x10
	v_mov_b32_e32 v6, 0
	s_waitcnt lgkmcnt(0)
	s_cmp_lt_i32 s8, 1
	s_cbranch_scc1 .LBB245_141
; %bb.136:
	v_cmp_lt_f32_e32 vcc_lo, v40, v60
	v_mov_b32_e32 v7, 0
	s_mov_b32 s9, 0x76543210
	s_mov_b32 s10, s8
	v_mov_b32_e32 v6, 0
	v_cndmask_b32_e32 v8, v60, v40, vcc_lo
	v_cndmask_b32_e32 v19, v61, v60, vcc_lo
	v_dual_cndmask_b32 v5, v59, v2 :: v_dual_cndmask_b32 v2, v2, v59
	v_dual_cndmask_b32 v9, v51, v16 :: v_dual_cndmask_b32 v20, v16, v51
	s_delay_alu instid0(VALU_DEP_3) | instskip(NEXT) | instid1(VALU_DEP_1)
	v_cmp_lt_f32_e64 s2, v39, v19
	v_cndmask_b32_e64 v10, v2, v1, s2
	v_cndmask_b32_e64 v11, v1, v2, s2
	;; [unrolled: 1-line block ×6, first 2 shown]
	v_dual_mov_b32 v20, v0 :: v_dual_mov_b32 v1, 0
	v_mov_b32_e32 v2, 0
.LBB245_137:                            ; =>This Inner Loop Header: Depth=1
	v_cmp_eq_u32_e32 vcc_lo, 1, v7
	v_cmp_eq_u32_e64 s2, 2, v7
	v_dual_cndmask_b32 v21, v16, v12 :: v_dual_cndmask_b32 v22, v11, v10
	s_delay_alu instid0(VALU_DEP_1) | instskip(NEXT) | instid1(VALU_DEP_2)
	v_cndmask_b32_e64 v21, v21, v8, s2
	v_cndmask_b32_e64 v22, v22, v5, s2
	v_cndmask_b32_e32 v23, v15, v19, vcc_lo
	v_cmp_eq_u32_e32 vcc_lo, 3, v7
	s_delay_alu instid0(VALU_DEP_3) | instskip(NEXT) | instid1(VALU_DEP_3)
	v_cndmask_b32_e32 v22, v22, v14, vcc_lo
	v_cndmask_b32_e64 v23, v23, v9, s2
	v_cmp_eq_u32_e64 s2, 4, v7
	s_delay_alu instid0(VALU_DEP_2) | instskip(NEXT) | instid1(VALU_DEP_2)
	v_cndmask_b32_e32 v23, v23, v13, vcc_lo
	v_cndmask_b32_e64 v22, v22, v32, s2
	v_cndmask_b32_e32 v21, v21, v3, vcc_lo
	v_cmp_eq_u32_e32 vcc_lo, 5, v7
	s_delay_alu instid0(VALU_DEP_4) | instskip(NEXT) | instid1(VALU_DEP_4)
	v_cndmask_b32_e64 v23, v23, v4, s2
	v_cndmask_b32_e32 v22, v22, v33, vcc_lo
	s_delay_alu instid0(VALU_DEP_4) | instskip(SKIP_1) | instid1(VALU_DEP_4)
	v_cndmask_b32_e64 v21, v21, v42, s2
	v_cmp_eq_u32_e64 s2, 6, v7
	v_cndmask_b32_e32 v23, v23, v17, vcc_lo
	s_delay_alu instid0(VALU_DEP_3) | instskip(SKIP_1) | instid1(VALU_DEP_4)
	v_cndmask_b32_e32 v21, v21, v52, vcc_lo
	v_cmp_eq_u32_e32 vcc_lo, 7, v7
	v_cndmask_b32_e64 v22, v22, v34, s2
	s_delay_alu instid0(VALU_DEP_4) | instskip(NEXT) | instid1(VALU_DEP_4)
	v_cndmask_b32_e64 v23, v23, v18, s2
	v_cndmask_b32_e64 v21, v21, v53, s2
	v_cmp_eq_u32_e64 s2, 8, v7
	s_delay_alu instid0(VALU_DEP_4) | instskip(NEXT) | instid1(VALU_DEP_4)
	v_cndmask_b32_e32 v22, v22, v35, vcc_lo
	v_cndmask_b32_e32 v23, v23, v27, vcc_lo
	s_delay_alu instid0(VALU_DEP_4) | instskip(SKIP_1) | instid1(VALU_DEP_4)
	v_cndmask_b32_e32 v21, v21, v54, vcc_lo
	v_cmp_eq_u32_e32 vcc_lo, 9, v7
	v_cndmask_b32_e64 v22, v22, v36, s2
	s_delay_alu instid0(VALU_DEP_4) | instskip(NEXT) | instid1(VALU_DEP_4)
	v_cndmask_b32_e64 v23, v23, v28, s2
	v_cndmask_b32_e64 v21, v21, v55, s2
	v_cmp_eq_u32_e64 s2, 10, v7
	s_delay_alu instid0(VALU_DEP_4) | instskip(NEXT) | instid1(VALU_DEP_4)
	v_cndmask_b32_e32 v22, v22, v37, vcc_lo
	v_cndmask_b32_e32 v23, v23, v29, vcc_lo
	s_delay_alu instid0(VALU_DEP_4) | instskip(SKIP_1) | instid1(VALU_DEP_4)
	v_cndmask_b32_e32 v21, v21, v56, vcc_lo
	v_cmp_eq_u32_e32 vcc_lo, 11, v7
	v_cndmask_b32_e64 v22, v22, v38, s2
	s_delay_alu instid0(VALU_DEP_4) | instskip(NEXT) | instid1(VALU_DEP_4)
	v_cndmask_b32_e64 v23, v23, v30, s2
	v_cndmask_b32_e64 v21, v21, v57, s2
	v_cmp_gt_u32_e64 s2, 12, v7
	s_delay_alu instid0(VALU_DEP_2) | instskip(NEXT) | instid1(VALU_DEP_1)
	v_dual_cndmask_b32 v22, v22, v41 :: v_dual_cndmask_b32 v21, v21, v58
	v_cndmask_b32_e64 v24, 0, v22, s2
	s_delay_alu instid0(VALU_DEP_2)
	v_cndmask_b32_e64 v21, 0xff800000, v21, s2
	;;#ASMSTART
	v_max_f32 v25, v21, v21 quad_perm:[1,0,3,2] row_mask:0xf bank_mask:0xf bound_ctrl:1
	;;#ASMEND
	;;#ASMSTART
	v_max_f32 v26, v25, v25 quad_perm:[2,3,0,1] row_mask:0xf bank_mask:0xf bound_ctrl:1
	;;#ASMEND
	;;#ASMSTART
	v_max_f32 v25, v26, v26 row_half_mirror row_mask:0xf bank_mask:0xf bound_ctrl:1
	;;#ASMEND
	;;#ASMSTART
	v_max_f32 v26, v25, v25 row_mirror row_mask:0xf bank_mask:0xf bound_ctrl:1
	;;#ASMEND
	v_permlanex16_b32 v25, v26, s9, 0xfedcba98 op_sel:[1,1]
	s_delay_alu instid0(VALU_DEP_1) | instskip(NEXT) | instid1(VALU_DEP_1)
	v_dual_max_f32 v26, v26, v26 :: v_dual_max_f32 v25, v25, v25
	v_max_f32_e32 v25, v26, v25
	s_delay_alu instid0(VALU_DEP_1) | instskip(SKIP_1) | instid1(VALU_DEP_2)
	v_cmp_eq_f32_e64 s3, v21, v25
	v_cndmask_b32_e32 v21, v23, v31, vcc_lo
	s_ctz_i32_b32 s11, s3
	s_cmp_lg_u32 s3, 0
	s_cselect_b32 s3, s11, 0
	s_add_i32 s10, s10, -1
	v_readlane_b32 s3, v24, s3
	s_delay_alu instid0(VALU_DEP_1)
	v_cmp_eq_u32_e32 vcc_lo, s3, v22
	s_and_b32 vcc_lo, s2, vcc_lo
	s_and_b32 s2, s3, 31
	v_cndmask_b32_e32 v21, 0, v21, vcc_lo
	v_add_co_ci_u32_e32 v7, vcc_lo, 0, v7, vcc_lo
	s_cmp_eq_u32 s10, 0
	s_delay_alu instid0(VALU_DEP_2) | instskip(SKIP_2) | instid1(VALU_DEP_3)
	v_readlane_b32 s11, v21, s2
	v_cmp_eq_u32_e64 s2, 0, v20
	v_add_nc_u32_e32 v20, -1, v20
	v_add_f32_e32 v6, s11, v6
	s_delay_alu instid0(VALU_DEP_3)
	v_cndmask_b32_e64 v2, v2, s11, s2
	v_cndmask_b32_e64 v1, v1, s3, s2
	s_cbranch_scc0 .LBB245_137
; %bb.138:
	s_mov_b32 s2, exec_lo
	v_cmpx_gt_i32_e64 s8, v0
	s_cbranch_execz .LBB245_140
.LBB245_139:
	s_load_b32 s2, s[0:1], 0x30
	v_max_f32_e32 v3, v6, v6
	s_load_b64 s[0:1], s[0:1], 0x20
	s_ashr_i32 s3, s15, 31
	s_delay_alu instid0(VALU_DEP_1) | instskip(SKIP_1) | instid1(VALU_DEP_1)
	v_dual_max_f32 v3, 0x1e3ce508, v3 :: v_dual_lshlrev_b32 v0, 2, v0
	s_waitcnt lgkmcnt(0)
	v_div_scale_f32 v4, null, v3, v3, s2
	v_div_scale_f32 v7, vcc_lo, s2, v3, s2
	s_mul_i32 s1, s15, s1
	s_delay_alu instid0(VALU_DEP_2)
	v_rcp_f32_e32 v5, v4
	s_mul_hi_u32 s8, s15, s0
	s_mul_i32 s3, s3, s0
	s_add_i32 s1, s8, s1
	s_mul_i32 s0, s15, s0
	s_add_i32 s1, s1, s3
	s_delay_alu instid0(SALU_CYCLE_1) | instskip(SKIP_2) | instid1(VALU_DEP_1)
	s_lshl_b64 s[0:1], s[0:1], 2
	s_waitcnt_depctr 0xfff
	v_fma_f32 v6, -v4, v5, 1.0
	v_fmac_f32_e32 v5, v6, v5
	s_delay_alu instid0(VALU_DEP_1) | instskip(NEXT) | instid1(VALU_DEP_1)
	v_mul_f32_e32 v6, v7, v5
	v_fma_f32 v8, -v4, v6, v7
	s_delay_alu instid0(VALU_DEP_1) | instskip(NEXT) | instid1(VALU_DEP_1)
	v_fmac_f32_e32 v6, v8, v5
	v_fma_f32 v4, -v4, v6, v7
	s_delay_alu instid0(VALU_DEP_1) | instskip(NEXT) | instid1(VALU_DEP_1)
	v_div_fmas_f32 v4, v4, v5, v6
	v_div_fixup_f32 v3, v4, v3, s2
	s_add_u32 s2, s4, s0
	s_addc_u32 s3, s5, s1
	s_add_u32 s0, s6, s0
	s_addc_u32 s1, s7, s1
	v_mul_f32_e32 v2, v2, v3
	s_clause 0x1
	global_store_b32 v0, v2, s[2:3]
	global_store_b32 v0, v1, s[0:1]
.LBB245_140:
	s_endpgm
.LBB245_141:
	v_dual_mov_b32 v1, 0 :: v_dual_mov_b32 v2, 0
	s_mov_b32 s2, exec_lo
	v_cmpx_gt_i32_e64 s8, v0
	s_cbranch_execnz .LBB245_139
	s_branch .LBB245_140
	.section	.rodata,"a",@progbits
	.p2align	6, 0x0
	.amdhsa_kernel _ZN5aiter24topk_softplus_kernel_optI12hip_bfloat166__halfLi384ELb1ELi1EEEvPKT_PKT0_PfPimiif
		.amdhsa_group_segment_fixed_size 0
		.amdhsa_private_segment_fixed_size 196
		.amdhsa_kernarg_size 52
		.amdhsa_user_sgpr_count 15
		.amdhsa_user_sgpr_dispatch_ptr 0
		.amdhsa_user_sgpr_queue_ptr 0
		.amdhsa_user_sgpr_kernarg_segment_ptr 1
		.amdhsa_user_sgpr_dispatch_id 0
		.amdhsa_user_sgpr_private_segment_size 0
		.amdhsa_wavefront_size32 1
		.amdhsa_uses_dynamic_stack 0
		.amdhsa_enable_private_segment 1
		.amdhsa_system_sgpr_workgroup_id_x 1
		.amdhsa_system_sgpr_workgroup_id_y 0
		.amdhsa_system_sgpr_workgroup_id_z 0
		.amdhsa_system_sgpr_workgroup_info 0
		.amdhsa_system_vgpr_workitem_id 0
		.amdhsa_next_free_vgpr 183
		.amdhsa_next_free_sgpr 16
		.amdhsa_reserve_vcc 1
		.amdhsa_float_round_mode_32 0
		.amdhsa_float_round_mode_16_64 0
		.amdhsa_float_denorm_mode_32 3
		.amdhsa_float_denorm_mode_16_64 3
		.amdhsa_dx10_clamp 1
		.amdhsa_ieee_mode 1
		.amdhsa_fp16_overflow 0
		.amdhsa_workgroup_processor_mode 1
		.amdhsa_memory_ordered 1
		.amdhsa_forward_progress 0
		.amdhsa_shared_vgpr_count 0
		.amdhsa_exception_fp_ieee_invalid_op 0
		.amdhsa_exception_fp_denorm_src 0
		.amdhsa_exception_fp_ieee_div_zero 0
		.amdhsa_exception_fp_ieee_overflow 0
		.amdhsa_exception_fp_ieee_underflow 0
		.amdhsa_exception_fp_ieee_inexact 0
		.amdhsa_exception_int_div_zero 0
	.end_amdhsa_kernel
	.section	.text._ZN5aiter24topk_softplus_kernel_optI12hip_bfloat166__halfLi384ELb1ELi1EEEvPKT_PKT0_PfPimiif,"axG",@progbits,_ZN5aiter24topk_softplus_kernel_optI12hip_bfloat166__halfLi384ELb1ELi1EEEvPKT_PKT0_PfPimiif,comdat
.Lfunc_end245:
	.size	_ZN5aiter24topk_softplus_kernel_optI12hip_bfloat166__halfLi384ELb1ELi1EEEvPKT_PKT0_PfPimiif, .Lfunc_end245-_ZN5aiter24topk_softplus_kernel_optI12hip_bfloat166__halfLi384ELb1ELi1EEEvPKT_PKT0_PfPimiif
                                        ; -- End function
	.section	.AMDGPU.csdata,"",@progbits
; Kernel info:
; codeLenInByte = 28096
; NumSgprs: 18
; NumVgprs: 183
; ScratchSize: 196
; MemoryBound: 0
; FloatMode: 240
; IeeeMode: 1
; LDSByteSize: 0 bytes/workgroup (compile time only)
; SGPRBlocks: 2
; VGPRBlocks: 22
; NumSGPRsForWavesPerEU: 18
; NumVGPRsForWavesPerEU: 183
; Occupancy: 8
; WaveLimiterHint : 0
; COMPUTE_PGM_RSRC2:SCRATCH_EN: 1
; COMPUTE_PGM_RSRC2:USER_SGPR: 15
; COMPUTE_PGM_RSRC2:TRAP_HANDLER: 0
; COMPUTE_PGM_RSRC2:TGID_X_EN: 1
; COMPUTE_PGM_RSRC2:TGID_Y_EN: 0
; COMPUTE_PGM_RSRC2:TGID_Z_EN: 0
; COMPUTE_PGM_RSRC2:TIDIG_COMP_CNT: 0
	.section	.text._ZN5aiter24topk_softplus_kernel_optI12hip_bfloat166__halfLi384ELb0ELi1EEEvPKT_PKT0_PfPimiif,"axG",@progbits,_ZN5aiter24topk_softplus_kernel_optI12hip_bfloat166__halfLi384ELb0ELi1EEEvPKT_PKT0_PfPimiif,comdat
	.protected	_ZN5aiter24topk_softplus_kernel_optI12hip_bfloat166__halfLi384ELb0ELi1EEEvPKT_PKT0_PfPimiif ; -- Begin function _ZN5aiter24topk_softplus_kernel_optI12hip_bfloat166__halfLi384ELb0ELi1EEEvPKT_PKT0_PfPimiif
	.globl	_ZN5aiter24topk_softplus_kernel_optI12hip_bfloat166__halfLi384ELb0ELi1EEEvPKT_PKT0_PfPimiif
	.p2align	8
	.type	_ZN5aiter24topk_softplus_kernel_optI12hip_bfloat166__halfLi384ELb0ELi1EEEvPKT_PKT0_PfPimiif,@function
_ZN5aiter24topk_softplus_kernel_optI12hip_bfloat166__halfLi384ELb0ELi1EEEvPKT_PKT0_PfPimiif: ; @_ZN5aiter24topk_softplus_kernel_optI12hip_bfloat166__halfLi384ELb0ELi1EEEvPKT_PKT0_PfPimiif
; %bb.0:
	s_load_b128 s[4:7], s[0:1], 0x0
	s_mul_i32 s2, s15, 0x180
	v_lshlrev_b32_e32 v3, 1, v0
	s_ashr_i32 s3, s2, 31
	s_delay_alu instid0(SALU_CYCLE_1)
	s_lshl_b64 s[2:3], s[2:3], 1
	s_waitcnt lgkmcnt(0)
	s_add_u32 s4, s4, s2
	s_addc_u32 s5, s5, s3
	s_cmp_lg_u64 s[6:7], 0
	global_load_u16 v1, v3, s[4:5]
	s_cselect_b32 s2, -1, 0
	s_waitcnt vmcnt(0)
	v_lshlrev_b32_e32 v1, 16, v1
	s_delay_alu instid0(VALU_DEP_1) | instskip(NEXT) | instid1(VALU_DEP_1)
	v_mul_f32_e32 v2, 0xbfb8aa3b, v1
	v_cmp_gt_f32_e32 vcc_lo, 0xc2fc0000, v2
	v_cndmask_b32_e64 v2, 0, 0x42800000, vcc_lo
	s_delay_alu instid0(VALU_DEP_1) | instskip(NEXT) | instid1(VALU_DEP_1)
	v_fmac_f32_e32 v2, 0xbfb8aa3b, v1
	v_exp_f32_e32 v1, v2
	v_cndmask_b32_e64 v2, 1.0, 0x1f800000, vcc_lo
	s_and_b32 vcc_lo, exec_lo, s2
	s_waitcnt_depctr 0xfff
	v_fma_f32 v1, v1, v2, 1.0
	s_delay_alu instid0(VALU_DEP_1) | instskip(SKIP_1) | instid1(VALU_DEP_1)
	v_rcp_f32_e32 v37, v1
	v_add_co_u32 v1, s3, s4, v3
	v_add_co_ci_u32_e64 v2, null, s5, 0, s3
	s_waitcnt_depctr 0xfff
	v_mov_b32_e32 v48, v37
	s_cbranch_vccz .LBB246_2
; %bb.1:
	global_load_u16 v4, v3, s[6:7]
	s_waitcnt vmcnt(0)
	v_cvt_f32_f16_e32 v4, v4
	s_delay_alu instid0(VALU_DEP_1)
	v_add_f32_e32 v48, v37, v4
.LBB246_2:
	global_load_u16 v4, v[1:2], off offset:64
	s_waitcnt vmcnt(0)
	v_lshlrev_b32_e32 v4, 16, v4
	s_delay_alu instid0(VALU_DEP_1) | instskip(NEXT) | instid1(VALU_DEP_1)
	v_mul_f32_e32 v5, 0xbfb8aa3b, v4
	v_cmp_gt_f32_e32 vcc_lo, 0xc2fc0000, v5
	v_cndmask_b32_e64 v5, 0, 0x42800000, vcc_lo
	s_delay_alu instid0(VALU_DEP_1) | instskip(NEXT) | instid1(VALU_DEP_1)
	v_fmac_f32_e32 v5, 0xbfb8aa3b, v4
	v_exp_f32_e32 v4, v5
	v_cndmask_b32_e64 v5, 1.0, 0x1f800000, vcc_lo
	s_and_not1_b32 vcc_lo, exec_lo, s2
	s_waitcnt_depctr 0xfff
	v_fma_f32 v4, v4, v5, 1.0
	s_delay_alu instid0(VALU_DEP_1)
	v_rcp_f32_e32 v14, v4
	v_cndmask_b32_e64 v4, 0, 1, s2
	s_waitcnt_depctr 0xfff
	v_mov_b32_e32 v49, v14
	s_cbranch_vccnz .LBB246_4
; %bb.3:
	global_load_u16 v5, v3, s[6:7] offset:64
	s_waitcnt vmcnt(0)
	v_cvt_f32_f16_e32 v5, v5
	s_delay_alu instid0(VALU_DEP_1)
	v_add_f32_e32 v49, v14, v5
.LBB246_4:
	global_load_u16 v5, v[1:2], off offset:128
	s_waitcnt vmcnt(0)
	v_lshlrev_b32_e32 v5, 16, v5
	s_delay_alu instid0(VALU_DEP_1) | instskip(NEXT) | instid1(VALU_DEP_1)
	v_mul_f32_e32 v6, 0xbfb8aa3b, v5
	v_cmp_gt_f32_e32 vcc_lo, 0xc2fc0000, v6
	v_cndmask_b32_e64 v6, 0, 0x42800000, vcc_lo
	s_delay_alu instid0(VALU_DEP_1) | instskip(NEXT) | instid1(VALU_DEP_1)
	v_fmac_f32_e32 v6, 0xbfb8aa3b, v5
	v_exp_f32_e32 v5, v6
	v_cndmask_b32_e64 v6, 1.0, 0x1f800000, vcc_lo
	v_cmp_ne_u32_e32 vcc_lo, 1, v4
	s_waitcnt_depctr 0xfff
	v_fma_f32 v5, v5, v6, 1.0
	s_delay_alu instid0(VALU_DEP_1)
	v_rcp_f32_e32 v15, v5
	s_waitcnt_depctr 0xfff
	v_mov_b32_e32 v50, v15
	s_cbranch_vccnz .LBB246_6
; %bb.5:
	global_load_u16 v5, v3, s[6:7] offset:128
	s_waitcnt vmcnt(0)
	v_cvt_f32_f16_e32 v5, v5
	s_delay_alu instid0(VALU_DEP_1)
	v_add_f32_e32 v50, v15, v5
.LBB246_6:
	global_load_u16 v5, v[1:2], off offset:192
	s_waitcnt vmcnt(0)
	v_lshlrev_b32_e32 v5, 16, v5
	s_delay_alu instid0(VALU_DEP_1) | instskip(NEXT) | instid1(VALU_DEP_1)
	v_mul_f32_e32 v6, 0xbfb8aa3b, v5
	v_cmp_gt_f32_e32 vcc_lo, 0xc2fc0000, v6
	v_cndmask_b32_e64 v6, 0, 0x42800000, vcc_lo
	s_delay_alu instid0(VALU_DEP_1) | instskip(NEXT) | instid1(VALU_DEP_1)
	v_fmac_f32_e32 v6, 0xbfb8aa3b, v5
	v_exp_f32_e32 v5, v6
	v_cndmask_b32_e64 v6, 1.0, 0x1f800000, vcc_lo
	v_cmp_ne_u32_e32 vcc_lo, 1, v4
	s_waitcnt_depctr 0xfff
	v_fma_f32 v5, v5, v6, 1.0
	s_delay_alu instid0(VALU_DEP_1)
	v_rcp_f32_e32 v16, v5
	;; [unrolled: 26-line block ×10, first 2 shown]
	s_cbranch_vccnz .LBB246_24
; %bb.23:
	global_load_u16 v1, v3, s[6:7] offset:704
	s_waitcnt vmcnt(0)
	v_cvt_f32_f16_e32 v1, v1
	s_delay_alu instid0(VALU_DEP_1)
	v_add_f32_e32 v59, v24, v1
	s_branch .LBB246_25
.LBB246_24:
	s_waitcnt_depctr 0xfff
	v_mov_b32_e32 v59, v24
.LBB246_25:
	v_dual_mov_b32 v1, v48 :: v_dual_add_nc_u32 v26, 32, v0
	v_dual_mov_b32 v2, v49 :: v_dual_add_nc_u32 v27, 64, v0
	;; [unrolled: 1-line block ×11, first 2 shown]
	v_dual_mov_b32 v12, v59 :: v_dual_mov_b32 v13, v37
	v_mov_b32_e32 v25, v0
	s_mov_b32 s2, exec_lo
	v_cmpx_lt_f32_e32 v48, v49
	s_xor_b32 s2, exec_lo, s2
; %bb.26:
	v_dual_mov_b32 v1, v49 :: v_dual_mov_b32 v2, v48
	v_dual_mov_b32 v3, v50 :: v_dual_mov_b32 v4, v51
	;; [unrolled: 1-line block ×6, first 2 shown]
	v_mov_b32_e32 v49, v48
	v_dual_mov_b32 v13, v14 :: v_dual_mov_b32 v14, v37
	v_dual_mov_b32 v25, v26 :: v_dual_mov_b32 v26, v0
; %bb.27:
	s_or_b32 exec_lo, exec_lo, s2
	v_dual_mov_b32 v122, v24 :: v_dual_mov_b32 v119, v21
	v_dual_mov_b32 v86, v24 :: v_dual_mov_b32 v85, v23
	;; [unrolled: 1-line block ×37, first 2 shown]
	s_clause 0x8
	scratch_store_b128 off, v[13:16], off
	scratch_store_b128 off, v[17:20], off offset:16
	scratch_store_b128 off, v[21:24], off offset:32
	;; [unrolled: 1-line block ×8, first 2 shown]
	v_dual_mov_b32 v72, v34 :: v_dual_mov_b32 v69, v31
	v_dual_mov_b32 v70, v32 :: v_dual_mov_b32 v67, v29
	;; [unrolled: 1-line block ×29, first 2 shown]
	v_mov_b32_e32 v160, v26
	s_clause 0x2
	scratch_store_b128 off, v[25:28], off offset:144
	scratch_store_b128 off, v[29:32], off offset:160
	;; [unrolled: 1-line block ×3, first 2 shown]
	s_mov_b32 s2, exec_lo
	v_dual_mov_b32 v182, v36 :: v_dual_mov_b32 v179, v33
	v_dual_mov_b32 v181, v35 :: v_dual_mov_b32 v180, v34
	;; [unrolled: 1-line block ×6, first 2 shown]
	v_cmpx_lt_f32_e32 v49, v3
	s_cbranch_execz .LBB246_29
; %bb.28:
	v_dual_mov_b32 v182, v36 :: v_dual_mov_b32 v179, v33
	v_dual_mov_b32 v174, v28 :: v_dual_mov_b32 v171, v25
	;; [unrolled: 1-line block ×3, first 2 shown]
	v_mov_b32_e32 v172, v26
	v_dual_mov_b32 v62, v49 :: v_dual_mov_b32 v181, v35
	v_dual_mov_b32 v180, v34 :: v_dual_mov_b32 v177, v31
	;; [unrolled: 1-line block ×11, first 2 shown]
	v_mov_b32_e32 v125, v14
	v_dual_mov_b32 v162, v174 :: v_dual_mov_b32 v163, v175
	v_dual_mov_b32 v164, v176 :: v_dual_mov_b32 v165, v177
	;; [unrolled: 1-line block ×5, first 2 shown]
	v_mov_b32_e32 v162, v28
	v_dual_mov_b32 v170, v182 :: v_dual_mov_b32 v37, v159
	s_clause 0x2
	scratch_store_b128 off, v[123:126], off offset:96
	scratch_store_b128 off, v[127:130], off offset:112
	;; [unrolled: 1-line block ×3, first 2 shown]
	v_dual_mov_b32 v42, v164 :: v_dual_mov_b32 v47, v169
	v_dual_mov_b32 v126, v16 :: v_dual_mov_b32 v45, v167
	;; [unrolled: 1-line block ×5, first 2 shown]
	v_mov_b32_e32 v38, v160
	v_mov_b32_e32 v40, v162
	s_clause 0x2
	scratch_store_b128 off, v[37:40], off offset:144
	scratch_store_b128 off, v[41:44], off offset:160
	scratch_store_b128 off, v[45:48], off offset:176
	v_dual_mov_b32 v2, v3 :: v_dual_mov_b32 v3, v49
	v_mov_b32_e32 v147, v159
	v_mov_b32_e32 v127, v17
	;; [unrolled: 1-line block ×3, first 2 shown]
	v_dual_mov_b32 v151, v163 :: v_dual_mov_b32 v148, v160
	v_dual_mov_b32 v153, v165 :: v_dual_mov_b32 v152, v164
	;; [unrolled: 1-line block ×3, first 2 shown]
	v_mov_b32_e32 v158, v170
	v_dual_mov_b32 v150, v162 :: v_dual_mov_b32 v155, v167
	v_mov_b32_e32 v156, v168
	v_mov_b32_e32 v152, v30
	;; [unrolled: 1-line block ×3, first 2 shown]
	v_dual_mov_b32 v27, v26 :: v_dual_mov_b32 v42, v128
	v_mov_b32_e32 v37, v123
	v_dual_mov_b32 v43, v129 :: v_dual_mov_b32 v44, v130
	v_mov_b32_e32 v39, v125
	v_dual_mov_b32 v45, v131 :: v_dual_mov_b32 v46, v132
	v_dual_mov_b32 v47, v133 :: v_dual_mov_b32 v48, v134
	v_mov_b32_e32 v38, v124
	v_mov_b32_e32 v40, v126
	s_clause 0x2
	scratch_store_b128 off, v[37:40], off offset:48
	scratch_store_b128 off, v[41:44], off offset:64
	;; [unrolled: 1-line block ×3, first 2 shown]
	v_mov_b32_e32 v37, v123
	v_mov_b32_e32 v39, v125
	v_dual_mov_b32 v41, v127 :: v_dual_mov_b32 v38, v124
	v_mov_b32_e32 v99, v147
	v_mov_b32_e32 v105, v153
	v_dual_mov_b32 v105, v31 :: v_dual_mov_b32 v106, v154
	v_dual_mov_b32 v40, v126 :: v_dual_mov_b32 v101, v149
	;; [unrolled: 1-line block ×3, first 2 shown]
	v_mov_b32_e32 v110, v158
	v_mov_b32_e32 v50, v123
	v_dual_mov_b32 v100, v148 :: v_dual_mov_b32 v107, v155
	v_dual_mov_b32 v102, v150 :: v_dual_mov_b32 v109, v157
	;; [unrolled: 1-line block ×7, first 2 shown]
	v_mov_b32_e32 v58, v131
	v_mov_b32_e32 v56, v19
	s_clause 0x2
	scratch_store_b128 off, v[37:40], off
	scratch_store_b128 off, v[41:44], off offset:16
	scratch_store_b128 off, v[45:48], off offset:32
	v_dual_mov_b32 v60, v133 :: v_dual_mov_b32 v55, v128
	v_mov_b32_e32 v37, v99
	v_mov_b32_e32 v41, v103
	;; [unrolled: 1-line block ×3, first 2 shown]
	v_dual_mov_b32 v43, v105 :: v_dual_mov_b32 v48, v110
	v_dual_mov_b32 v38, v100 :: v_dual_mov_b32 v45, v107
	v_mov_b32_e32 v44, v106
	v_dual_mov_b32 v122, v61 :: v_dual_mov_b32 v113, v52
	v_dual_mov_b32 v40, v102 :: v_dual_mov_b32 v47, v109
	;; [unrolled: 1-line block ×7, first 2 shown]
	v_mov_b32_e32 v114, v53
	v_mov_b32_e32 v116, v55
	;; [unrolled: 1-line block ×4, first 2 shown]
	v_dual_mov_b32 v98, v48 :: v_dual_mov_b32 v95, v45
	v_mov_b32_e32 v95, v33
	v_mov_b32_e32 v93, v43
	;; [unrolled: 1-line block ×4, first 2 shown]
	v_dual_mov_b32 v87, v37 :: v_dual_mov_b32 v146, v122
	v_dual_mov_b32 v137, v113 :: v_dual_mov_b32 v96, v46
	;; [unrolled: 1-line block ×3, first 2 shown]
	v_mov_b32_e32 v135, v111
	v_dual_mov_b32 v97, v47 :: v_dual_mov_b32 v94, v44
	v_dual_mov_b32 v92, v42 :: v_dual_mov_b32 v143, v119
	;; [unrolled: 1-line block ×4, first 2 shown]
	v_mov_b32_e32 v138, v114
	v_dual_mov_b32 v142, v118 :: v_dual_mov_b32 v143, v21
	v_dual_mov_b32 v140, v116 :: v_dual_mov_b32 v63, v87
	;; [unrolled: 1-line block ×8, first 2 shown]
	v_mov_b32_e32 v86, v146
	v_dual_mov_b32 v64, v88 :: v_dual_mov_b32 v69, v93
	v_dual_mov_b32 v66, v90 :: v_dual_mov_b32 v71, v95
	;; [unrolled: 1-line block ×7, first 2 shown]
	v_mov_b32_e32 v82, v142
	v_mov_b32_e32 v84, v22
	;; [unrolled: 1-line block ×3, first 2 shown]
.LBB246_29:
	s_or_b32 exec_lo, exec_lo, s2
	v_mov_b32_e32 v13, v4
	s_mov_b32 s2, exec_lo
	v_cmpx_lt_f32_e32 v62, v4
	s_cbranch_execz .LBB246_31
; %bb.30:
	s_clause 0x2
	scratch_load_b128 v[37:40], off, off offset:96
	scratch_load_b128 v[41:44], off, off offset:112
	;; [unrolled: 1-line block ×3, first 2 shown]
	v_dual_mov_b32 v173, v28 :: v_dual_mov_b32 v28, v27
	v_mov_b32_e32 v3, v4
	s_waitcnt vmcnt(0)
	v_dual_mov_b32 v13, v62 :: v_dual_mov_b32 v134, v48
	v_dual_mov_b32 v133, v47 :: v_dual_mov_b32 v124, v38
	;; [unrolled: 1-line block ×3, first 2 shown]
	v_mov_b32_e32 v125, v16
	v_dual_mov_b32 v159, v171 :: v_dual_mov_b32 v160, v172
	s_delay_alu instid0(VALU_DEP_3) | instskip(NEXT) | instid1(VALU_DEP_3)
	v_dual_mov_b32 v162, v174 :: v_dual_mov_b32 v37, v123
	v_dual_mov_b32 v38, v124 :: v_dual_mov_b32 v39, v125
	;; [unrolled: 1-line block ×5, first 2 shown]
	v_mov_b32_e32 v126, v15
	s_clause 0x2
	scratch_store_b128 off, v[37:40], off offset:96
	scratch_store_b128 off, v[41:44], off offset:112
	;; [unrolled: 1-line block ×3, first 2 shown]
	v_dual_mov_b32 v161, v173 :: v_dual_mov_b32 v164, v176
	v_dual_mov_b32 v167, v179 :: v_dual_mov_b32 v170, v182
	;; [unrolled: 1-line block ×5, first 2 shown]
	s_delay_alu instid0(VALU_DEP_2) | instskip(SKIP_2) | instid1(VALU_DEP_4)
	v_dual_mov_b32 v42, v164 :: v_dual_mov_b32 v43, v165
	v_dual_mov_b32 v48, v170 :: v_dual_mov_b32 v37, v159
	;; [unrolled: 1-line block ×6, first 2 shown]
	s_clause 0x2
	scratch_store_b128 off, v[37:40], off offset:144
	scratch_store_b128 off, v[41:44], off offset:160
	;; [unrolled: 1-line block ×3, first 2 shown]
	v_dual_mov_b32 v42, v128 :: v_dual_mov_b32 v43, v129
	v_dual_mov_b32 v48, v134 :: v_dual_mov_b32 v37, v123
	;; [unrolled: 1-line block ×6, first 2 shown]
	s_clause 0x2
	scratch_store_b128 off, v[37:40], off offset:48
	scratch_store_b128 off, v[41:44], off offset:64
	;; [unrolled: 1-line block ×3, first 2 shown]
	v_dual_mov_b32 v147, v159 :: v_dual_mov_b32 v148, v160
	v_dual_mov_b32 v151, v163 :: v_dual_mov_b32 v152, v164
	;; [unrolled: 1-line block ×10, first 2 shown]
	s_delay_alu instid0(VALU_DEP_4)
	v_dual_mov_b32 v106, v154 :: v_dual_mov_b32 v107, v155
	v_mov_b32_e32 v110, v158
	v_dual_mov_b32 v100, v148 :: v_dual_mov_b32 v101, v149
	v_dual_mov_b32 v104, v152 :: v_dual_mov_b32 v105, v153
	;; [unrolled: 1-line block ×5, first 2 shown]
	v_mov_b32_e32 v61, v134
	s_clause 0x2
	scratch_store_b128 off, v[37:40], off
	scratch_store_b128 off, v[41:44], off offset:16
	scratch_store_b128 off, v[45:48], off offset:32
	v_dual_mov_b32 v54, v127 :: v_dual_mov_b32 v55, v128
	v_dual_mov_b32 v56, v129 :: v_dual_mov_b32 v57, v130
	;; [unrolled: 1-line block ×8, first 2 shown]
	v_mov_b32_e32 v48, v110
	v_mov_b32_e32 v44, v32
	v_dual_mov_b32 v42, v104 :: v_dual_mov_b32 v43, v105
	v_dual_mov_b32 v46, v108 :: v_dual_mov_b32 v47, v109
	;; [unrolled: 1-line block ×9, first 2 shown]
	v_mov_b32_e32 v114, v53
	v_mov_b32_e32 v112, v51
	v_dual_mov_b32 v98, v48 :: v_dual_mov_b32 v91, v41
	v_dual_mov_b32 v94, v44 :: v_dual_mov_b32 v87, v37
	;; [unrolled: 1-line block ×3, first 2 shown]
	v_mov_b32_e32 v89, v39
	v_mov_b32_e32 v95, v45
	v_dual_mov_b32 v93, v43 :: v_dual_mov_b32 v146, v122
	v_dual_mov_b32 v143, v119 :: v_dual_mov_b32 v140, v116
	;; [unrolled: 1-line block ×15, first 2 shown]
	v_mov_b32_e32 v86, v146
	v_dual_mov_b32 v64, v88 :: v_dual_mov_b32 v65, v89
	v_dual_mov_b32 v66, v90 :: v_dual_mov_b32 v67, v91
	v_dual_mov_b32 v68, v92 :: v_dual_mov_b32 v69, v93
	v_dual_mov_b32 v70, v94 :: v_dual_mov_b32 v71, v95
	v_dual_mov_b32 v74, v36 :: v_dual_mov_b32 v77, v137
	v_dual_mov_b32 v76, v136 :: v_dual_mov_b32 v79, v139
	v_dual_mov_b32 v78, v138 :: v_dual_mov_b32 v81, v141
	v_dual_mov_b32 v80, v140 :: v_dual_mov_b32 v83, v143
	v_mov_b32_e32 v84, v22
	v_mov_b32_e32 v86, v24
.LBB246_31:
	s_or_b32 exec_lo, exec_lo, s2
	v_mov_b32_e32 v14, v5
	s_mov_b32 s2, exec_lo
	v_cmpx_lt_f32_e32 v13, v5
	s_cbranch_execz .LBB246_33
; %bb.32:
	s_clause 0x2
	scratch_load_b128 v[37:40], off, off offset:96
	scratch_load_b128 v[41:44], off, off offset:112
	;; [unrolled: 1-line block ×3, first 2 shown]
	v_mov_b32_e32 v174, v29
	v_mov_b32_e32 v14, v13
	;; [unrolled: 1-line block ×3, first 2 shown]
	v_dual_mov_b32 v17, v16 :: v_dual_mov_b32 v4, v5
	v_mov_b32_e32 v29, v28
	s_waitcnt vmcnt(0)
	v_dual_mov_b32 v73, v48 :: v_dual_mov_b32 v64, v39
	v_dual_mov_b32 v70, v45 :: v_dual_mov_b32 v69, v44
	;; [unrolled: 1-line block ×18, first 2 shown]
	v_mov_b32_e32 v127, v16
	v_dual_mov_b32 v147, v159 :: v_dual_mov_b32 v148, v160
	v_dual_mov_b32 v149, v161 :: v_dual_mov_b32 v152, v164
	;; [unrolled: 1-line block ×19, first 2 shown]
	v_mov_b32_e32 v61, v134
	s_clause 0x2
	scratch_store_b128 off, v[37:40], off
	scratch_store_b128 off, v[41:44], off offset:16
	scratch_store_b128 off, v[45:48], off offset:32
	v_dual_mov_b32 v53, v126 :: v_dual_mov_b32 v54, v127
	v_dual_mov_b32 v101, v149 :: v_dual_mov_b32 v102, v150
	;; [unrolled: 1-line block ×10, first 2 shown]
	v_mov_b32_e32 v46, v108
	v_dual_mov_b32 v122, v61 :: v_dual_mov_b32 v121, v60
	v_dual_mov_b32 v43, v105 :: v_dual_mov_b32 v44, v106
	;; [unrolled: 1-line block ×8, first 2 shown]
	v_mov_b32_e32 v112, v51
	v_mov_b32_e32 v118, v20
	v_dual_mov_b32 v98, v48 :: v_dual_mov_b32 v93, v43
	v_dual_mov_b32 v92, v42 :: v_dual_mov_b32 v87, v37
	v_mov_b32_e32 v97, v47
	v_dual_mov_b32 v95, v45 :: v_dual_mov_b32 v146, v122
	v_dual_mov_b32 v143, v119 :: v_dual_mov_b32 v138, v114
	;; [unrolled: 1-line block ×7, first 2 shown]
	v_mov_b32_e32 v89, v39
	s_clause 0x5
	scratch_store_b128 off, v[62:65], off offset:48
	scratch_store_b128 off, v[66:69], off offset:64
	;; [unrolled: 1-line block ×6, first 2 shown]
	v_dual_mov_b32 v142, v118 :: v_dual_mov_b32 v139, v115
	v_dual_mov_b32 v140, v116 :: v_dual_mov_b32 v137, v113
	;; [unrolled: 1-line block ×17, first 2 shown]
	v_mov_b32_e32 v84, v22
	v_mov_b32_e32 v86, v24
.LBB246_33:
	s_or_b32 exec_lo, exec_lo, s2
	v_mov_b32_e32 v13, v6
	s_mov_b32 s2, exec_lo
	v_cmpx_lt_f32_e32 v14, v6
	s_cbranch_execz .LBB246_35
; %bb.34:
	s_clause 0x2
	scratch_load_b128 v[37:40], off, off offset:144
	scratch_load_b128 v[41:44], off, off offset:160
	;; [unrolled: 1-line block ×3, first 2 shown]
	v_mov_b32_e32 v5, v6
	s_waitcnt vmcnt(0)
	v_dual_mov_b32 v13, v14 :: v_dual_mov_b32 v170, v48
	v_dual_mov_b32 v169, v47 :: v_dual_mov_b32 v162, v40
	;; [unrolled: 1-line block ×6, first 2 shown]
	s_clause 0x2
	scratch_load_b128 v[37:40], off, off offset:48
	scratch_load_b128 v[41:44], off, off offset:64
	;; [unrolled: 1-line block ×3, first 2 shown]
	v_dual_mov_b32 v163, v30 :: v_dual_mov_b32 v30, v29
	s_waitcnt vmcnt(0)
	v_dual_mov_b32 v73, v48 :: v_dual_mov_b32 v72, v47
	v_dual_mov_b32 v65, v40 :: v_dual_mov_b32 v62, v37
	v_mov_b32_e32 v63, v38
	v_dual_mov_b32 v67, v42 :: v_dual_mov_b32 v64, v39
	v_dual_mov_b32 v71, v46 :: v_dual_mov_b32 v70, v45
	;; [unrolled: 1-line block ×4, first 2 shown]
	v_mov_b32_e32 v148, v160
	v_dual_mov_b32 v134, v73 :: v_dual_mov_b32 v133, v72
	v_dual_mov_b32 v124, v63 :: v_dual_mov_b32 v123, v62
	;; [unrolled: 1-line block ×11, first 2 shown]
	v_mov_b32_e32 v128, v17
	v_mov_b32_e32 v152, v29
	v_dual_mov_b32 v50, v123 :: v_dual_mov_b32 v51, v124
	v_mov_b32_e32 v99, v147
	s_delay_alu instid0(VALU_DEP_3)
	v_dual_mov_b32 v53, v126 :: v_dual_mov_b32 v104, v152
	v_dual_mov_b32 v105, v153 :: v_dual_mov_b32 v100, v148
	;; [unrolled: 1-line block ×7, first 2 shown]
	v_mov_b32_e32 v57, v130
	v_dual_mov_b32 v102, v150 :: v_dual_mov_b32 v103, v151
	v_dual_mov_b32 v108, v156 :: v_dual_mov_b32 v109, v157
	;; [unrolled: 1-line block ×3, first 2 shown]
	v_mov_b32_e32 v58, v131
	v_mov_b32_e32 v56, v19
	v_dual_mov_b32 v37, v99 :: v_dual_mov_b32 v38, v100
	v_mov_b32_e32 v39, v101
	v_dual_mov_b32 v43, v105 :: v_dual_mov_b32 v48, v110
	s_delay_alu instid0(VALU_DEP_4)
	v_dual_mov_b32 v122, v61 :: v_dual_mov_b32 v117, v56
	v_dual_mov_b32 v42, v104 :: v_dual_mov_b32 v45, v107
	;; [unrolled: 1-line block ×9, first 2 shown]
	v_mov_b32_e32 v118, v20
	v_mov_b32_e32 v44, v32
	;; [unrolled: 1-line block ×3, first 2 shown]
	v_dual_mov_b32 v98, v48 :: v_dual_mov_b32 v95, v45
	v_dual_mov_b32 v146, v122 :: v_dual_mov_b32 v145, v121
	s_delay_alu instid0(VALU_DEP_4)
	v_dual_mov_b32 v94, v44 :: v_dual_mov_b32 v87, v37
	v_dual_mov_b32 v97, v47 :: v_dual_mov_b32 v144, v120
	;; [unrolled: 1-line block ×5, first 2 shown]
	v_mov_b32_e32 v93, v43
	v_dual_mov_b32 v91, v41 :: v_dual_mov_b32 v90, v40
	v_dual_mov_b32 v141, v117 :: v_dual_mov_b32 v88, v38
	;; [unrolled: 1-line block ×6, first 2 shown]
	s_clause 0x2
	scratch_store_b128 off, v[62:65], off
	scratch_store_b128 off, v[66:69], off offset:16
	scratch_store_b128 off, v[70:73], off offset:32
	v_dual_mov_b32 v63, v87 :: v_dual_mov_b32 v74, v98
	v_dual_mov_b32 v75, v135 :: v_dual_mov_b32 v72, v96
	;; [unrolled: 1-line block ×14, first 2 shown]
	v_mov_b32_e32 v84, v22
	v_mov_b32_e32 v86, v24
	;; [unrolled: 1-line block ×3, first 2 shown]
.LBB246_35:
	s_or_b32 exec_lo, exec_lo, s2
	v_mov_b32_e32 v14, v7
	s_mov_b32 s2, exec_lo
	v_cmpx_lt_f32_e32 v13, v7
	s_cbranch_execz .LBB246_37
; %bb.36:
	s_clause 0x2
	scratch_load_b128 v[37:40], off, off
	scratch_load_b128 v[41:44], off, off offset:16
	scratch_load_b128 v[45:48], off, off offset:32
	v_mov_b32_e32 v164, v31
	v_dual_mov_b32 v14, v13 :: v_dual_mov_b32 v31, v30
	s_waitcnt vmcnt(0)
	v_dual_mov_b32 v134, v48 :: v_dual_mov_b32 v133, v47
	v_dual_mov_b32 v130, v44 :: v_dual_mov_b32 v127, v41
	;; [unrolled: 1-line block ×5, first 2 shown]
	v_mov_b32_e32 v125, v39
	v_dual_mov_b32 v99, v159 :: v_dual_mov_b32 v100, v160
	v_dual_mov_b32 v128, v19 :: v_dual_mov_b32 v101, v161
	v_mov_b32_e32 v110, v170
	v_dual_mov_b32 v50, v123 :: v_dual_mov_b32 v53, v126
	v_dual_mov_b32 v106, v166 :: v_dual_mov_b32 v107, v167
	;; [unrolled: 1-line block ×19, first 2 shown]
	v_mov_b32_e32 v47, v109
	v_dual_mov_b32 v114, v53 :: v_dual_mov_b32 v111, v50
	v_mov_b32_e32 v118, v20
	v_dual_mov_b32 v120, v59 :: v_dual_mov_b32 v117, v56
	v_dual_mov_b32 v116, v55 :: v_dual_mov_b32 v113, v52
	v_mov_b32_e32 v44, v32
	v_mov_b32_e32 v112, v51
	v_dual_mov_b32 v98, v48 :: v_dual_mov_b32 v95, v45
	v_dual_mov_b32 v146, v122 :: v_dual_mov_b32 v145, v121
	;; [unrolled: 1-line block ×8, first 2 shown]
	v_mov_b32_e32 v89, v39
	v_dual_mov_b32 v93, v43 :: v_dual_mov_b32 v88, v38
	v_dual_mov_b32 v141, v117 :: v_dual_mov_b32 v140, v116
	v_mov_b32_e32 v95, v33
	v_dual_mov_b32 v139, v115 :: v_dual_mov_b32 v138, v114
	v_dual_mov_b32 v143, v21 :: v_dual_mov_b32 v136, v112
	;; [unrolled: 1-line block ×24, first 2 shown]
	v_mov_b32_e32 v158, v170
.LBB246_37:
	s_or_b32 exec_lo, exec_lo, s2
	v_mov_b32_e32 v13, v8
	s_mov_b32 s2, exec_lo
	v_cmpx_lt_f32_e32 v14, v8
	s_cbranch_execz .LBB246_39
; %bb.38:
	v_mov_b32_e32 v129, v20
	v_mov_b32_e32 v153, v32
	v_dual_mov_b32 v111, v123 :: v_dual_mov_b32 v114, v126
	v_dual_mov_b32 v37, v147 :: v_dual_mov_b32 v38, v148
	;; [unrolled: 1-line block ×10, first 2 shown]
	v_mov_b32_e32 v120, v132
	v_dual_mov_b32 v116, v128 :: v_dual_mov_b32 v121, v133
	v_mov_b32_e32 v44, v31
	v_dual_mov_b32 v119, v131 :: v_dual_mov_b32 v98, v48
	v_dual_mov_b32 v118, v19 :: v_dual_mov_b32 v95, v45
	;; [unrolled: 1-line block ×13, first 2 shown]
	v_mov_b32_e32 v95, v33
	v_dual_mov_b32 v7, v8 :: v_dual_mov_b32 v8, v14
	v_mov_b32_e32 v143, v21
	v_dual_mov_b32 v63, v87 :: v_dual_mov_b32 v68, v92
	v_dual_mov_b32 v64, v88 :: v_dual_mov_b32 v75, v135
	v_dual_mov_b32 v80, v140 :: v_dual_mov_b32 v67, v91
	v_dual_mov_b32 v72, v96 :: v_dual_mov_b32 v69, v93
	v_dual_mov_b32 v74, v98 :: v_dual_mov_b32 v73, v97
	v_dual_mov_b32 v78, v138 :: v_dual_mov_b32 v79, v139
	v_dual_mov_b32 v84, v144 :: v_dual_mov_b32 v81, v141
	v_dual_mov_b32 v86, v146 :: v_dual_mov_b32 v85, v145
	v_mov_b32_e32 v74, v36
	v_dual_mov_b32 v50, v123 :: v_dual_mov_b32 v51, v124
	v_dual_mov_b32 v99, v147 :: v_dual_mov_b32 v100, v148
	v_dual_mov_b32 v65, v89 :: v_dual_mov_b32 v70, v94
	v_dual_mov_b32 v66, v90 :: v_dual_mov_b32 v71, v95
	v_dual_mov_b32 v76, v136 :: v_dual_mov_b32 v77, v137
	v_dual_mov_b32 v82, v142 :: v_dual_mov_b32 v83, v143
	v_dual_mov_b32 v72, v34 :: v_dual_mov_b32 v73, v35
	;; [unrolled: 9-line block ×3, first 2 shown]
	v_dual_mov_b32 v105, v153 :: v_dual_mov_b32 v106, v154
	v_dual_mov_b32 v107, v155 :: v_dual_mov_b32 v108, v156
	;; [unrolled: 1-line block ×4, first 2 shown]
	v_mov_b32_e32 v32, v31
.LBB246_39:
	s_or_b32 exec_lo, exec_lo, s2
	v_mov_b32_e32 v14, v9
	s_mov_b32 s2, exec_lo
	v_cmpx_lt_f32_e32 v13, v9
	s_cbranch_execz .LBB246_41
; %bb.40:
	v_mov_b32_e32 v57, v21
	v_mov_b32_e32 v106, v33
	v_dual_mov_b32 v146, v61 :: v_dual_mov_b32 v145, v60
	v_dual_mov_b32 v87, v99 :: v_dual_mov_b32 v90, v102
	v_mov_b32_e32 v88, v100
	v_dual_mov_b32 v136, v51 :: v_dual_mov_b32 v135, v50
	v_dual_mov_b32 v91, v103 :: v_dual_mov_b32 v94, v106
	;; [unrolled: 1-line block ×7, first 2 shown]
	v_mov_b32_e32 v139, v54
	v_dual_mov_b32 v89, v101 :: v_dual_mov_b32 v92, v104
	v_dual_mov_b32 v138, v53 :: v_dual_mov_b32 v137, v52
	;; [unrolled: 1-line block ×3, first 2 shown]
	v_mov_b32_e32 v143, v20
	s_delay_alu instid0(VALU_DEP_4)
	v_dual_mov_b32 v63, v87 :: v_dual_mov_b32 v68, v92
	v_dual_mov_b32 v66, v90 :: v_dual_mov_b32 v75, v135
	;; [unrolled: 1-line block ×8, first 2 shown]
	v_mov_b32_e32 v74, v36
	v_dual_mov_b32 v122, v61 :: v_dual_mov_b32 v121, v60
	v_dual_mov_b32 v37, v99 :: v_dual_mov_b32 v38, v100
	;; [unrolled: 1-line block ×20, first 2 shown]
	v_mov_b32_e32 v33, v32
.LBB246_41:
	s_or_b32 exec_lo, exec_lo, s2
	v_mov_b32_e32 v15, v10
	s_mov_b32 s2, exec_lo
	v_cmpx_lt_f32_e32 v14, v10
	s_cbranch_execz .LBB246_43
; %bb.42:
	v_mov_b32_e32 v45, v34
	v_dual_mov_b32 v9, v10 :: v_dual_mov_b32 v74, v48
	v_mov_b32_e32 v72, v46
	v_mov_b32_e32 v72, v33
	s_delay_alu instid0(VALU_DEP_4) | instskip(SKIP_4) | instid1(VALU_DEP_4)
	v_mov_b32_e32 v71, v45
	v_dual_mov_b32 v119, v22 :: v_dual_mov_b32 v70, v44
	v_dual_mov_b32 v75, v111 :: v_dual_mov_b32 v78, v114
	;; [unrolled: 1-line block ×27, first 2 shown]
	v_mov_b32_e32 v34, v33
.LBB246_43:
	s_or_b32 exec_lo, exec_lo, s2
	v_mov_b32_e32 v13, v11
	s_mov_b32 s2, exec_lo
	v_cmpx_lt_f32_e32 v15, v11
	s_cbranch_execz .LBB246_45
; %bb.44:
	v_dual_mov_b32 v144, v23 :: v_dual_mov_b32 v145, v22
	v_dual_mov_b32 v96, v35 :: v_dual_mov_b32 v97, v34
	v_mov_b32_e32 v146, v24
	v_mov_b32_e32 v10, v11
	v_dual_mov_b32 v11, v15 :: v_dual_mov_b32 v98, v36
	v_dual_mov_b32 v75, v135 :: v_dual_mov_b32 v84, v144
	;; [unrolled: 1-line block ×3, first 2 shown]
	v_mov_b32_e32 v79, v139
	v_dual_mov_b32 v77, v137 :: v_dual_mov_b32 v78, v138
	v_dual_mov_b32 v81, v141 :: v_dual_mov_b32 v80, v140
	;; [unrolled: 1-line block ×10, first 2 shown]
.LBB246_45:
	s_or_b32 exec_lo, exec_lo, s2
	s_delay_alu instid0(VALU_DEP_1)
	v_cmp_lt_f32_e32 vcc_lo, v13, v12
	v_cmp_lt_f32_e64 s2, v1, v2
	v_dual_mov_b32 v40, v76 :: v_dual_mov_b32 v41, v77
	v_dual_mov_b32 v43, v79 :: v_dual_mov_b32 v44, v80
	v_dual_cndmask_b32 v23, v12, v13 :: v_dual_mov_b32 v42, v78
	v_dual_cndmask_b32 v11, v11, v12 :: v_dual_cndmask_b32 v62, v74, v73
	s_delay_alu instid0(VALU_DEP_2) | instskip(SKIP_3) | instid1(VALU_DEP_4)
	v_dual_cndmask_b32 v49, v85, v86 :: v_dual_mov_b32 v12, v23
	v_dual_cndmask_b32 v61, v73, v74 :: v_dual_cndmask_b32 v50, v86, v85
	v_mov_b32_e32 v39, v75
	v_dual_mov_b32 v45, v81 :: v_dual_mov_b32 v48, v84
	v_dual_mov_b32 v38, v12 :: v_dual_mov_b32 v37, v11
	;; [unrolled: 1-line block ×13, first 2 shown]
	s_and_saveexec_b32 s3, s2
	s_delay_alu instid0(SALU_CYCLE_1)
	s_xor_b32 s2, exec_lo, s3
	s_cbranch_execz .LBB246_47
; %bb.46:
	v_dual_mov_b32 v12, v2 :: v_dual_mov_b32 v13, v1
	v_dual_mov_b32 v14, v3 :: v_dual_mov_b32 v15, v4
	;; [unrolled: 1-line block ×6, first 2 shown]
	s_delay_alu instid0(VALU_DEP_2) | instskip(NEXT) | instid1(VALU_DEP_2)
	v_dual_mov_b32 v38, v23 :: v_dual_mov_b32 v35, v20
	v_dual_mov_b32 v36, v21 :: v_dual_mov_b32 v37, v22
	;; [unrolled: 1-line block ×15, first 2 shown]
	v_mov_b32_e32 v58, v70
	v_mov_b32_e32 v60, v72
.LBB246_47:
	s_or_b32 exec_lo, exec_lo, s2
	v_dual_mov_b32 v1, v29 :: v_dual_mov_b32 v122, v50
	v_dual_mov_b32 v15, v39 :: v_dual_mov_b32 v16, v40
	;; [unrolled: 1-line block ×30, first 2 shown]
	v_mov_b32_e32 v135, v39
	s_clause 0x2
	scratch_store_b128 off, v[39:42], off offset:48
	scratch_store_b128 off, v[43:46], off offset:64
	;; [unrolled: 1-line block ×3, first 2 shown]
	v_dual_mov_b32 v3, v51 :: v_dual_mov_b32 v6, v54
	v_dual_mov_b32 v13, v61 :: v_dual_mov_b32 v74, v62
	v_dual_mov_b32 v63, v51 :: v_dual_mov_b32 v98, v62
	v_dual_mov_b32 v87, v51 :: v_dual_mov_b32 v134, v62
	v_dual_mov_b32 v123, v51 :: v_dual_mov_b32 v158, v62
	v_dual_mov_b32 v147, v51 :: v_dual_mov_b32 v170, v62
	v_dual_mov_b32 v5, v53 :: v_dual_mov_b32 v8, v56
	v_dual_mov_b32 v7, v55 :: v_dual_mov_b32 v10, v58
	v_dual_mov_b32 v9, v57 :: v_dual_mov_b32 v12, v60
	v_dual_mov_b32 v11, v59 :: v_dual_mov_b32 v14, v62
	v_dual_mov_b32 v71, v59 :: v_dual_mov_b32 v70, v58
	v_dual_mov_b32 v69, v57 :: v_dual_mov_b32 v68, v56
	v_dual_mov_b32 v67, v55 :: v_dual_mov_b32 v66, v54
	v_dual_mov_b32 v65, v53 :: v_dual_mov_b32 v64, v52
	v_dual_mov_b32 v97, v61 :: v_dual_mov_b32 v96, v60
	v_dual_mov_b32 v95, v59 :: v_dual_mov_b32 v94, v58
	v_dual_mov_b32 v93, v57 :: v_dual_mov_b32 v92, v56
	v_dual_mov_b32 v91, v55 :: v_dual_mov_b32 v90, v54
	v_dual_mov_b32 v89, v53 :: v_dual_mov_b32 v88, v52
	v_dual_mov_b32 v133, v61 :: v_dual_mov_b32 v132, v60
	v_dual_mov_b32 v131, v59 :: v_dual_mov_b32 v130, v58
	v_dual_mov_b32 v129, v57 :: v_dual_mov_b32 v128, v56
	v_dual_mov_b32 v127, v55 :: v_dual_mov_b32 v126, v54
	v_dual_mov_b32 v125, v53 :: v_dual_mov_b32 v124, v52
	v_dual_mov_b32 v157, v61 :: v_dual_mov_b32 v156, v60
	v_dual_mov_b32 v155, v59 :: v_dual_mov_b32 v154, v58
	v_dual_mov_b32 v153, v57 :: v_dual_mov_b32 v152, v56
	v_dual_mov_b32 v151, v55 :: v_dual_mov_b32 v150, v54
	v_dual_mov_b32 v149, v53 :: v_dual_mov_b32 v148, v52
	v_dual_mov_b32 v169, v61 :: v_dual_mov_b32 v168, v60
	v_dual_mov_b32 v167, v59 :: v_dual_mov_b32 v166, v58
	v_dual_mov_b32 v165, v57 :: v_dual_mov_b32 v164, v56
	v_dual_mov_b32 v163, v55 :: v_dual_mov_b32 v162, v54
	v_dual_mov_b32 v161, v53 :: v_dual_mov_b32 v160, v52
	v_mov_b32_e32 v159, v51
	s_mov_b32 s2, exec_lo
	v_dual_mov_b32 v73, v61 :: v_dual_mov_b32 v72, v60
	v_mov_b32_e32 v4, v52
	s_clause 0x2
	scratch_store_b128 off, v[51:54], off
	scratch_store_b128 off, v[55:58], off offset:16
	scratch_store_b128 off, v[59:62], off offset:32
	v_dual_mov_b32 v182, v50 :: v_dual_mov_b32 v181, v49
	v_dual_mov_b32 v180, v48 :: v_dual_mov_b32 v179, v47
	;; [unrolled: 1-line block ×6, first 2 shown]
	v_cmpx_lt_f32_e32 v2, v29
	s_cbranch_execz .LBB246_49
; %bb.48:
	v_dual_mov_b32 v170, v62 :: v_dual_mov_b32 v169, v61
	v_dual_mov_b32 v162, v54 :: v_dual_mov_b32 v161, v53
	;; [unrolled: 1-line block ×7, first 2 shown]
	s_clause 0x2
	scratch_store_b128 off, v[159:162], off
	scratch_store_b128 off, v[163:166], off offset:16
	scratch_store_b128 off, v[167:170], off offset:32
	v_dual_mov_b32 v182, v50 :: v_dual_mov_b32 v181, v49
	v_dual_mov_b32 v172, v40 :: v_dual_mov_b32 v171, v39
	v_dual_mov_b32 v176, v44 :: v_dual_mov_b32 v175, v43
	v_dual_mov_b32 v180, v48 :: v_dual_mov_b32 v179, v47
	v_dual_mov_b32 v174, v42 :: v_dual_mov_b32 v173, v41
	v_dual_mov_b32 v178, v46 :: v_dual_mov_b32 v177, v45
	v_dual_mov_b32 v172, v41 :: v_dual_mov_b32 v173, v40
	v_dual_mov_b32 v162, v54 :: v_dual_mov_b32 v135, v171
	s_delay_alu instid0(VALU_DEP_3)
	v_dual_mov_b32 v140, v176 :: v_dual_mov_b32 v141, v177
	v_dual_mov_b32 v138, v174 :: v_dual_mov_b32 v139, v175
	;; [unrolled: 1-line block ×3, first 2 shown]
	v_mov_b32_e32 v146, v182
	v_dual_mov_b32 v136, v172 :: v_dual_mov_b32 v137, v173
	v_mov_b32_e32 v138, v42
	v_dual_mov_b32 v142, v178 :: v_dual_mov_b32 v143, v179
	v_mov_b32_e32 v53, v52
	v_mov_b32_e32 v139, v43
	v_mov_b32_e32 v41, v40
	v_dual_mov_b32 v147, v159 :: v_dual_mov_b32 v148, v160
	v_mov_b32_e32 v151, v163
	v_dual_mov_b32 v149, v161 :: v_dual_mov_b32 v150, v162
	v_dual_mov_b32 v153, v165 :: v_dual_mov_b32 v152, v164
	;; [unrolled: 1-line block ×16, first 2 shown]
	v_mov_b32_e32 v122, v146
	v_dual_mov_b32 v114, v138 :: v_dual_mov_b32 v117, v141
	v_dual_mov_b32 v116, v140 :: v_dual_mov_b32 v119, v143
	;; [unrolled: 1-line block ×14, first 2 shown]
	v_mov_b32_e32 v82, v118
	v_dual_mov_b32 v76, v112 :: v_dual_mov_b32 v81, v117
	v_dual_mov_b32 v80, v116 :: v_dual_mov_b32 v85, v121
	;; [unrolled: 1-line block ×6, first 2 shown]
	v_mov_b32_e32 v81, v45
	v_dual_mov_b32 v65, v89 :: v_dual_mov_b32 v72, v96
	v_mov_b32_e32 v29, v2
	s_delay_alu instid0(VALU_DEP_3)
	v_dual_mov_b32 v110, v86 :: v_dual_mov_b32 v105, v81
	v_dual_mov_b32 v70, v94 :: v_dual_mov_b32 v73, v97
	v_dual_mov_b32 v106, v82 :: v_dual_mov_b32 v103, v79
	v_dual_mov_b32 v102, v78 :: v_dual_mov_b32 v99, v75
	v_dual_mov_b32 v64, v88 :: v_dual_mov_b32 v67, v91
	v_dual_mov_b32 v66, v90 :: v_dual_mov_b32 v69, v93
	v_dual_mov_b32 v68, v92 :: v_dual_mov_b32 v71, v95
	v_dual_mov_b32 v74, v98 :: v_dual_mov_b32 v109, v85
	v_dual_mov_b32 v70, v58 :: v_dual_mov_b32 v107, v83
	v_dual_mov_b32 v1, v2 :: v_dual_mov_b32 v108, v84
	v_dual_mov_b32 v104, v80 :: v_dual_mov_b32 v101, v77
	v_mov_b32_e32 v106, v46
	s_clause 0x2
	scratch_store_b128 off, v[3:6], off offset:48
	scratch_store_b128 off, v[7:10], off offset:64
	;; [unrolled: 1-line block ×3, first 2 shown]
	v_dual_mov_b32 v100, v76 :: v_dual_mov_b32 v3, v63
	v_dual_mov_b32 v12, v72 :: v_dual_mov_b32 v5, v65
	;; [unrolled: 1-line block ×16, first 2 shown]
	v_mov_b32_e32 v26, v50
.LBB246_49:
	s_or_b32 exec_lo, exec_lo, s2
	v_mov_b32_e32 v2, v30
	s_mov_b32 s2, exec_lo
	v_cmpx_lt_f32_e32 v1, v30
	s_cbranch_execz .LBB246_51
; %bb.50:
	s_clause 0x2
	scratch_load_b128 v[2:5], off, off
	scratch_load_b128 v[6:9], off, off offset:16
	scratch_load_b128 v[10:13], off, off offset:32
	v_dual_mov_b32 v29, v30 :: v_dual_mov_b32 v30, v1
	v_dual_mov_b32 v161, v54 :: v_dual_mov_b32 v54, v53
	s_waitcnt vmcnt(0)
	v_dual_mov_b32 v170, v13 :: v_dual_mov_b32 v169, v12
	v_mov_b32_e32 v160, v3
	v_dual_mov_b32 v162, v5 :: v_dual_mov_b32 v159, v2
	v_dual_mov_b32 v173, v42 :: v_dual_mov_b32 v168, v11
	;; [unrolled: 1-line block ×3, first 2 shown]
	s_delay_alu instid0(VALU_DEP_3)
	v_dual_mov_b32 v165, v8 :: v_dual_mov_b32 v2, v159
	v_dual_mov_b32 v3, v160 :: v_dual_mov_b32 v4, v161
	;; [unrolled: 1-line block ×3, first 2 shown]
	s_clause 0x2
	scratch_store_b128 off, v[2:5], off
	scratch_store_b128 off, v[6:9], off offset:16
	scratch_store_b128 off, v[10:13], off offset:32
	v_dual_mov_b32 v162, v53 :: v_dual_mov_b32 v135, v171
	v_dual_mov_b32 v140, v176 :: v_dual_mov_b32 v141, v177
	;; [unrolled: 1-line block ×14, first 2 shown]
	v_mov_b32_e32 v137, v173
	v_dual_mov_b32 v123, v147 :: v_dual_mov_b32 v126, v150
	v_dual_mov_b32 v124, v148 :: v_dual_mov_b32 v111, v135
	s_delay_alu instid0(VALU_DEP_4)
	v_dual_mov_b32 v112, v136 :: v_dual_mov_b32 v125, v149
	v_dual_mov_b32 v128, v152 :: v_dual_mov_b32 v115, v139
	;; [unrolled: 1-line block ×7, first 2 shown]
	v_mov_b32_e32 v128, v56
	v_dual_mov_b32 v116, v44 :: v_dual_mov_b32 v87, v123
	v_dual_mov_b32 v113, v137 :: v_dual_mov_b32 v114, v138
	;; [unrolled: 1-line block ×21, first 2 shown]
	v_mov_b32_e32 v81, v45
	v_dual_mov_b32 v63, v87 :: v_dual_mov_b32 v66, v90
	v_mov_b32_e32 v64, v88
	v_dual_mov_b32 v110, v86 :: v_dual_mov_b32 v109, v85
	v_dual_mov_b32 v65, v89 :: v_dual_mov_b32 v68, v92
	;; [unrolled: 1-line block ×9, first 2 shown]
	v_mov_b32_e32 v102, v78
	v_dual_mov_b32 v42, v41 :: v_dual_mov_b32 v103, v79
	v_mov_b32_e32 v100, v76
	v_mov_b32_e32 v106, v46
	s_clause 0x2
	scratch_store_b128 off, v[2:5], off offset:48
	scratch_store_b128 off, v[6:9], off offset:64
	scratch_store_b128 off, v[10:13], off offset:80
	v_dual_mov_b32 v2, v1 :: v_dual_mov_b32 v107, v83
	v_mov_b32_e32 v3, v63
	v_mov_b32_e32 v5, v65
	v_dual_mov_b32 v7, v67 :: v_dual_mov_b32 v14, v74
	v_dual_mov_b32 v15, v99 :: v_dual_mov_b32 v6, v66
	;; [unrolled: 1-line block ×14, first 2 shown]
	v_mov_b32_e32 v24, v48
	v_mov_b32_e32 v26, v50
.LBB246_51:
	s_or_b32 exec_lo, exec_lo, s2
	v_mov_b32_e32 v1, v31
	s_mov_b32 s2, exec_lo
	v_cmpx_lt_f32_e32 v2, v31
	s_cbranch_execz .LBB246_53
; %bb.52:
	s_clause 0x2
	scratch_load_b128 v[3:6], off, off
	scratch_load_b128 v[7:10], off, off offset:16
	scratch_load_b128 v[11:14], off, off offset:32
	v_dual_mov_b32 v30, v31 :: v_dual_mov_b32 v31, v2
	v_mov_b32_e32 v1, v2
	s_waitcnt vmcnt(0)
	v_dual_mov_b32 v170, v14 :: v_dual_mov_b32 v169, v13
	v_dual_mov_b32 v161, v5 :: v_dual_mov_b32 v160, v4
	;; [unrolled: 1-line block ×5, first 2 shown]
	v_mov_b32_e32 v174, v43
	v_mov_b32_e32 v159, v3
	;; [unrolled: 1-line block ×3, first 2 shown]
	v_dual_mov_b32 v135, v171 :: v_dual_mov_b32 v136, v172
	v_mov_b32_e32 v137, v173
	s_delay_alu instid0(VALU_DEP_4) | instskip(NEXT) | instid1(VALU_DEP_4)
	v_dual_mov_b32 v147, v159 :: v_dual_mov_b32 v148, v160
	v_dual_mov_b32 v149, v161 :: v_dual_mov_b32 v150, v162
	;; [unrolled: 1-line block ×10, first 2 shown]
	v_mov_b32_e32 v139, v42
	v_mov_b32_e32 v151, v54
	v_dual_mov_b32 v146, v182 :: v_dual_mov_b32 v123, v147
	v_dual_mov_b32 v111, v135 :: v_dual_mov_b32 v112, v136
	;; [unrolled: 1-line block ×3, first 2 shown]
	s_delay_alu instid0(VALU_DEP_4)
	v_dual_mov_b32 v124, v148 :: v_dual_mov_b32 v127, v151
	v_dual_mov_b32 v128, v152 :: v_dual_mov_b32 v131, v155
	;; [unrolled: 1-line block ×9, first 2 shown]
	v_mov_b32_e32 v120, v144
	v_dual_mov_b32 v116, v44 :: v_dual_mov_b32 v87, v123
	v_mov_b32_e32 v114, v138
	v_dual_mov_b32 v98, v134 :: v_dual_mov_b32 v75, v111
	v_dual_mov_b32 v88, v124 :: v_dual_mov_b32 v89, v125
	v_dual_mov_b32 v96, v132 :: v_dual_mov_b32 v97, v133
	v_mov_b32_e32 v86, v122
	v_dual_mov_b32 v90, v126 :: v_dual_mov_b32 v91, v127
	v_dual_mov_b32 v92, v128 :: v_dual_mov_b32 v93, v129
	;; [unrolled: 1-line block ×8, first 2 shown]
	v_mov_b32_e32 v79, v115
	v_mov_b32_e32 v81, v45
	v_dual_mov_b32 v63, v87 :: v_dual_mov_b32 v66, v90
	v_dual_mov_b32 v64, v88 :: v_dual_mov_b32 v73, v97
	;; [unrolled: 1-line block ×9, first 2 shown]
	v_mov_b32_e32 v108, v84
	v_dual_mov_b32 v106, v46 :: v_dual_mov_b32 v3, v63
	v_dual_mov_b32 v105, v81 :: v_dual_mov_b32 v104, v80
	;; [unrolled: 1-line block ×19, first 2 shown]
	v_mov_b32_e32 v26, v50
	v_mov_b32_e32 v43, v42
	v_mov_b32_e32 v55, v54
	s_clause 0x2
	scratch_store_b128 off, v[171:174], off offset:48
	scratch_store_b128 off, v[175:178], off offset:64
	;; [unrolled: 1-line block ×3, first 2 shown]
.LBB246_53:
	s_or_b32 exec_lo, exec_lo, s2
	v_mov_b32_e32 v2, v32
	s_mov_b32 s2, exec_lo
	v_cmpx_lt_f32_e32 v1, v32
	s_cbranch_execz .LBB246_55
; %bb.54:
	s_clause 0x2
	scratch_load_b128 v[2:5], off, off offset:48
	scratch_load_b128 v[6:9], off, off offset:64
	;; [unrolled: 1-line block ×3, first 2 shown]
	v_dual_mov_b32 v163, v56 :: v_dual_mov_b32 v56, v55
	s_waitcnt vmcnt(0)
	v_dual_mov_b32 v31, v32 :: v_dual_mov_b32 v146, v13
	v_dual_mov_b32 v138, v5 :: v_dual_mov_b32 v137, v4
	;; [unrolled: 1-line block ×6, first 2 shown]
	v_mov_b32_e32 v139, v44
	v_dual_mov_b32 v123, v159 :: v_dual_mov_b32 v124, v160
	v_dual_mov_b32 v125, v161 :: v_dual_mov_b32 v128, v164
	;; [unrolled: 1-line block ×12, first 2 shown]
	v_mov_b32_e32 v120, v144
	v_mov_b32_e32 v116, v43
	v_dual_mov_b32 v87, v123 :: v_dual_mov_b32 v88, v124
	v_dual_mov_b32 v89, v125 :: v_dual_mov_b32 v98, v134
	;; [unrolled: 1-line block ×12, first 2 shown]
	v_mov_b32_e32 v79, v115
	v_mov_b32_e32 v81, v45
	v_dual_mov_b32 v63, v87 :: v_dual_mov_b32 v66, v90
	v_dual_mov_b32 v64, v88 :: v_dual_mov_b32 v73, v97
	;; [unrolled: 1-line block ×8, first 2 shown]
	v_mov_b32_e32 v70, v58
	v_dual_mov_b32 v106, v46 :: v_dual_mov_b32 v65, v89
	v_dual_mov_b32 v68, v92 :: v_dual_mov_b32 v105, v81
	;; [unrolled: 1-line block ×4, first 2 shown]
	v_mov_b32_e32 v100, v76
	v_dual_mov_b32 v32, v1 :: v_dual_mov_b32 v3, v63
	v_dual_mov_b32 v14, v74 :: v_dual_mov_b32 v15, v99
	v_mov_b32_e32 v26, v110
	v_dual_mov_b32 v10, v70 :: v_dual_mov_b32 v11, v71
	v_dual_mov_b32 v12, v72 :: v_dual_mov_b32 v13, v73
	;; [unrolled: 1-line block ×20, first 2 shown]
	v_mov_b32_e32 v2, v1
	v_mov_b32_e32 v44, v43
.LBB246_55:
	s_or_b32 exec_lo, exec_lo, s2
	v_mov_b32_e32 v1, v33
	s_mov_b32 s2, exec_lo
	v_cmpx_lt_f32_e32 v2, v33
	s_cbranch_execz .LBB246_57
; %bb.56:
	v_mov_b32_e32 v140, v45
	v_dual_mov_b32 v152, v57 :: v_dual_mov_b32 v75, v135
	v_dual_mov_b32 v87, v147 :: v_dual_mov_b32 v90, v150
	;; [unrolled: 1-line block ×3, first 2 shown]
	s_delay_alu instid0(VALU_DEP_3)
	v_dual_mov_b32 v92, v152 :: v_dual_mov_b32 v93, v153
	v_dual_mov_b32 v76, v136 :: v_dual_mov_b32 v79, v139
	;; [unrolled: 1-line block ×6, first 2 shown]
	v_mov_b32_e32 v93, v56
	v_dual_mov_b32 v84, v144 :: v_dual_mov_b32 v63, v87
	v_dual_mov_b32 v78, v138 :: v_dual_mov_b32 v81, v141
	;; [unrolled: 1-line block ×5, first 2 shown]
	s_delay_alu instid0(VALU_DEP_3) | instskip(SKIP_1) | instid1(VALU_DEP_4)
	v_dual_mov_b32 v110, v86 :: v_dual_mov_b32 v109, v85
	v_dual_mov_b32 v100, v76 :: v_dual_mov_b32 v99, v75
	v_dual_mov_b32 v108, v84 :: v_dual_mov_b32 v107, v83
	v_dual_mov_b32 v69, v93 :: v_dual_mov_b32 v70, v94
	v_dual_mov_b32 v106, v82 :: v_dual_mov_b32 v105, v81
	v_dual_mov_b32 v64, v88 :: v_dual_mov_b32 v65, v89
	v_dual_mov_b32 v67, v91 :: v_dual_mov_b32 v68, v92
	v_dual_mov_b32 v71, v95 :: v_dual_mov_b32 v72, v96
	v_dual_mov_b32 v73, v97 :: v_dual_mov_b32 v74, v98
	v_dual_mov_b32 v104, v80 :: v_dual_mov_b32 v103, v79
	v_dual_mov_b32 v102, v78 :: v_dual_mov_b32 v101, v77
	v_mov_b32_e32 v106, v46
	v_dual_mov_b32 v70, v58 :: v_dual_mov_b32 v15, v99
	v_dual_mov_b32 v3, v63 :: v_dual_mov_b32 v24, v108
	;; [unrolled: 1-line block ×3, first 2 shown]
	s_delay_alu instid0(VALU_DEP_3)
	v_dual_mov_b32 v10, v70 :: v_dual_mov_b32 v11, v71
	v_dual_mov_b32 v12, v72 :: v_dual_mov_b32 v13, v73
	;; [unrolled: 1-line block ×26, first 2 shown]
	v_mov_b32_e32 v1, v2
	v_dual_mov_b32 v134, v158 :: v_dual_mov_b32 v45, v44
	v_mov_b32_e32 v57, v56
.LBB246_57:
	s_or_b32 exec_lo, exec_lo, s2
	v_mov_b32_e32 v2, v34
	s_mov_b32 s2, exec_lo
	v_cmpx_lt_f32_e32 v1, v34
	s_cbranch_execz .LBB246_59
; %bb.58:
	v_mov_b32_e32 v129, v58
	v_dual_mov_b32 v63, v123 :: v_dual_mov_b32 v70, v130
	v_dual_mov_b32 v70, v57 :: v_dual_mov_b32 v71, v131
	;; [unrolled: 1-line block ×22, first 2 shown]
	v_mov_b32_e32 v34, v1
	v_dual_mov_b32 v5, v65 :: v_dual_mov_b32 v6, v66
	v_dual_mov_b32 v7, v67 :: v_dual_mov_b32 v8, v68
	;; [unrolled: 1-line block ×20, first 2 shown]
	v_mov_b32_e32 v2, v1
	v_mov_b32_e32 v46, v45
	;; [unrolled: 1-line block ×3, first 2 shown]
.LBB246_59:
	s_or_b32 exec_lo, exec_lo, s2
	v_mov_b32_e32 v1, v35
	s_mov_b32 s2, exec_lo
	v_cmpx_lt_f32_e32 v2, v35
	s_cbranch_execz .LBB246_61
; %bb.60:
	v_mov_b32_e32 v94, v59
	v_dual_mov_b32 v34, v35 :: v_dual_mov_b32 v35, v2
	v_mov_b32_e32 v82, v47
	v_dual_mov_b32 v3, v87 :: v_dual_mov_b32 v4, v88
	v_dual_mov_b32 v12, v96 :: v_dual_mov_b32 v9, v93
	;; [unrolled: 1-line block ×13, first 2 shown]
	v_mov_b32_e32 v7, v91
	v_mov_b32_e32 v11, v58
	v_dual_mov_b32 v14, v62 :: v_dual_mov_b32 v17, v77
	v_dual_mov_b32 v16, v76 :: v_dual_mov_b32 v19, v79
	;; [unrolled: 1-line block ×14, first 2 shown]
	v_mov_b32_e32 v47, v46
	v_mov_b32_e32 v59, v58
	;; [unrolled: 1-line block ×3, first 2 shown]
.LBB246_61:
	s_or_b32 exec_lo, exec_lo, s2
	v_mov_b32_e32 v39, v36
	s_mov_b32 s2, exec_lo
	v_cmpx_lt_f32_e32 v1, v36
	s_cbranch_execz .LBB246_63
; %bb.62:
	v_dual_mov_b32 v71, v60 :: v_dual_mov_b32 v72, v59
	v_dual_mov_b32 v73, v61 :: v_dual_mov_b32 v108, v47
	;; [unrolled: 1-line block ×17, first 2 shown]
	v_mov_b32_e32 v39, v1
.LBB246_63:
	s_or_b32 exec_lo, exec_lo, s2
	s_delay_alu instid0(VALU_DEP_1)
	v_cmp_lt_f32_e32 vcc_lo, v39, v37
	v_dual_mov_b32 v40, v28 :: v_dual_mov_b32 v43, v31
	v_dual_mov_b32 v42, v30 :: v_dual_mov_b32 v45, v33
	v_dual_cndmask_b32 v1, v25, v24 :: v_dual_cndmask_b32 v24, v24, v25
	v_cndmask_b32_e32 v2, v13, v12, vcc_lo
	v_dual_cndmask_b32 v12, v12, v13 :: v_dual_cndmask_b32 v49, v37, v39
	v_dual_cndmask_b32 v48, v36, v37 :: v_dual_mov_b32 v41, v29
	v_dual_mov_b32 v39, v27 :: v_dual_mov_b32 v44, v32
	v_dual_mov_b32 v47, v35 :: v_dual_mov_b32 v46, v34
	v_mov_b32_e32 v50, v38
	s_mov_b32 s2, exec_lo
	v_cmpx_lt_f32_e32 v27, v28
	s_cbranch_execz .LBB246_65
; %bb.64:
	v_dual_mov_b32 v28, v40 :: v_dual_mov_b32 v29, v39
	v_dual_mov_b32 v38, v49 :: v_dual_mov_b32 v39, v50
	;; [unrolled: 1-line block ×6, first 2 shown]
	v_mov_b32_e32 v50, v39
	v_mov_b32_e32 v13, v15
	v_dual_mov_b32 v25, v3 :: v_dual_mov_b32 v44, v33
	v_swap_b32 v15, v16
	v_swap_b32 v3, v4
	v_dual_mov_b32 v49, v38 :: v_dual_mov_b32 v46, v35
	v_dual_mov_b32 v48, v37 :: v_dual_mov_b32 v47, v36
	;; [unrolled: 1-line block ×4, first 2 shown]
	v_mov_b32_e32 v41, v30
	v_dual_mov_b32 v39, v28 :: v_dual_mov_b32 v28, v27
.LBB246_65:
	s_or_b32 exec_lo, exec_lo, s2
	v_mov_b32_e32 v13, v2
	v_dual_mov_b32 v25, v1 :: v_dual_mov_b32 v62, v14
	v_dual_mov_b32 v74, v26 :: v_dual_mov_b32 v63, v15
	v_mov_b32_e32 v86, v26
	v_dual_mov_b32 v72, v24 :: v_dual_mov_b32 v75, v15
	v_dual_mov_b32 v110, v26 :: v_dual_mov_b32 v53, v5
	;; [unrolled: 1-line block ×61, first 2 shown]
	v_mov_b32_e32 v149, v5
	v_mov_b32_e32 v147, v3
	;; [unrolled: 1-line block ×3, first 2 shown]
	s_mov_b32 s2, exec_lo
	v_dual_mov_b32 v85, v25 :: v_dual_mov_b32 v84, v24
	v_dual_mov_b32 v83, v23 :: v_dual_mov_b32 v82, v22
	s_clause 0x2
	scratch_store_b128 off, v[3:6], off
	scratch_store_b128 off, v[7:10], off offset:16
	scratch_store_b128 off, v[11:14], off offset:32
	v_cmpx_lt_f32_e32 v28, v41
	s_cbranch_execz .LBB246_67
; %bb.66:
	v_dual_mov_b32 v158, v14 :: v_dual_mov_b32 v157, v13
	v_dual_mov_b32 v150, v6 :: v_dual_mov_b32 v149, v5
	;; [unrolled: 1-line block ×7, first 2 shown]
	s_clause 0x2
	scratch_store_b128 off, v[147:150], off
	scratch_store_b128 off, v[151:154], off offset:16
	scratch_store_b128 off, v[155:158], off offset:32
	v_dual_mov_b32 v182, v26 :: v_dual_mov_b32 v181, v25
	v_dual_mov_b32 v172, v16 :: v_dual_mov_b32 v171, v15
	;; [unrolled: 1-line block ×8, first 2 shown]
	s_delay_alu instid0(VALU_DEP_4) | instskip(SKIP_1) | instid1(VALU_DEP_4)
	v_dual_mov_b32 v160, v172 :: v_dual_mov_b32 v161, v173
	v_dual_mov_b32 v162, v174 :: v_dual_mov_b32 v163, v175
	v_dual_mov_b32 v164, v176 :: v_dual_mov_b32 v165, v177
	v_dual_mov_b32 v168, v180 :: v_dual_mov_b32 v169, v181
	v_mov_b32_e32 v170, v182
	v_dual_mov_b32 v166, v178 :: v_dual_mov_b32 v167, v179
	v_mov_b32_e32 v162, v18
	v_dual_mov_b32 v40, v41 :: v_dual_mov_b32 v41, v28
	v_mov_b32_e32 v5, v4
	v_mov_b32_e32 v17, v16
	;; [unrolled: 1-line block ×3, first 2 shown]
	v_dual_mov_b32 v137, v149 :: v_dual_mov_b32 v144, v156
	v_dual_mov_b32 v123, v159 :: v_dual_mov_b32 v136, v148
	;; [unrolled: 1-line block ×12, first 2 shown]
	v_mov_b32_e32 v133, v169
	v_dual_mov_b32 v111, v135 :: v_dual_mov_b32 v112, v136
	v_dual_mov_b32 v99, v123 :: v_dual_mov_b32 v100, v124
	;; [unrolled: 1-line block ×12, first 2 shown]
	v_mov_b32_e32 v104, v20
	v_dual_mov_b32 v116, v8 :: v_dual_mov_b32 v75, v99
	v_mov_b32_e32 v87, v111
	v_dual_mov_b32 v93, v117 :: v_dual_mov_b32 v78, v102
	s_delay_alu instid0(VALU_DEP_3)
	v_dual_mov_b32 v81, v105 :: v_dual_mov_b32 v92, v116
	v_dual_mov_b32 v90, v114 :: v_dual_mov_b32 v91, v115
	v_dual_mov_b32 v94, v118 :: v_dual_mov_b32 v95, v119
	v_dual_mov_b32 v96, v120 :: v_dual_mov_b32 v97, v121
	v_dual_mov_b32 v98, v122 :: v_dual_mov_b32 v77, v101
	v_dual_mov_b32 v76, v100 :: v_dual_mov_b32 v79, v103
	v_dual_mov_b32 v80, v104 :: v_dual_mov_b32 v83, v107
	v_dual_mov_b32 v82, v106 :: v_dual_mov_b32 v85, v109
	v_dual_mov_b32 v84, v108 :: v_dual_mov_b32 v93, v9
	v_dual_mov_b32 v86, v110 :: v_dual_mov_b32 v81, v21
	v_dual_mov_b32 v88, v112 :: v_dual_mov_b32 v89, v113
	v_mov_b32_e32 v51, v87
	v_dual_mov_b32 v63, v75 :: v_dual_mov_b32 v66, v78
	v_dual_mov_b32 v55, v91 :: v_dual_mov_b32 v58, v94
	;; [unrolled: 1-line block ×14, first 2 shown]
	v_mov_b32_e32 v72, v24
	v_dual_mov_b32 v62, v14 :: v_dual_mov_b32 v71, v23
	v_dual_mov_b32 v70, v22 :: v_dual_mov_b32 v73, v1
	v_mov_b32_e32 v74, v26
.LBB246_67:
	s_or_b32 exec_lo, exec_lo, s2
	v_mov_b32_e32 v3, v42
	v_cmp_lt_f32_e32 vcc_lo, v13, v42
	s_mov_b32 s2, exec_lo
	s_clause 0x2
	scratch_load_b128 v[27:30], off, off
	scratch_load_b128 v[31:34], off, off offset:16
	scratch_load_b128 v[35:38], off, off offset:32
	s_and_b32 s3, s2, vcc_lo
	s_delay_alu instid0(SALU_CYCLE_1)
	s_mov_b32 exec_lo, s3
	s_cbranch_execz .LBB246_69
; %bb.68:
	v_mov_b32_e32 v173, v18
	s_waitcnt vmcnt(2)
	v_mov_b32_e32 v29, v6
	v_dual_mov_b32 v159, v171 :: v_dual_mov_b32 v160, v172
	s_waitcnt vmcnt(0)
	v_dual_mov_b32 v158, v38 :: v_dual_mov_b32 v157, v37
	v_dual_mov_b32 v156, v36 :: v_dual_mov_b32 v147, v27
	;; [unrolled: 1-line block ×6, first 2 shown]
	v_mov_b32_e32 v168, v180
	v_dual_mov_b32 v164, v176 :: v_dual_mov_b32 v165, v177
	v_dual_mov_b32 v170, v182 :: v_dual_mov_b32 v155, v35
	;; [unrolled: 1-line block ×4, first 2 shown]
	v_mov_b32_e32 v150, v5
	v_mov_b32_e32 v169, v181
	v_dual_mov_b32 v162, v17 :: v_dual_mov_b32 v135, v147
	v_dual_mov_b32 v136, v148 :: v_dual_mov_b32 v123, v159
	;; [unrolled: 1-line block ×13, first 2 shown]
	v_mov_b32_e32 v139, v7
	v_dual_mov_b32 v99, v123 :: v_dual_mov_b32 v100, v124
	v_dual_mov_b32 v111, v135 :: v_dual_mov_b32 v114, v138
	;; [unrolled: 1-line block ×4, first 2 shown]
	v_mov_b32_e32 v120, v144
	v_dual_mov_b32 v104, v128 :: v_dual_mov_b32 v105, v129
	v_dual_mov_b32 v110, v134 :: v_dual_mov_b32 v115, v139
	;; [unrolled: 1-line block ×21, first 2 shown]
	v_mov_b32_e32 v93, v9
	v_dual_mov_b32 v63, v75 :: v_dual_mov_b32 v64, v76
	v_dual_mov_b32 v51, v87 :: v_dual_mov_b32 v54, v90
	v_dual_mov_b32 v52, v88 :: v_dual_mov_b32 v55, v91
	s_delay_alu instid0(VALU_DEP_4)
	v_dual_mov_b32 v58, v94 :: v_dual_mov_b32 v57, v93
	v_dual_mov_b32 v60, v96 :: v_dual_mov_b32 v59, v95
	;; [unrolled: 1-line block ×9, first 2 shown]
	v_mov_b32_e32 v42, v13
	v_dual_mov_b32 v53, v89 :: v_dual_mov_b32 v56, v92
	v_dual_mov_b32 v68, v80 :: v_dual_mov_b32 v59, v11
	v_mov_b32_e32 v62, v14
	v_dual_mov_b32 v61, v2 :: v_dual_mov_b32 v72, v24
	v_dual_mov_b32 v70, v22 :: v_dual_mov_b32 v71, v23
	;; [unrolled: 1-line block ×3, first 2 shown]
	v_mov_b32_e32 v3, v13
	v_mov_b32_e32 v18, v17
	v_mov_b32_e32 v6, v5
.LBB246_69:
	s_or_b32 exec_lo, exec_lo, s2
	v_mov_b32_e32 v4, v43
	s_mov_b32 s2, exec_lo
	v_cmpx_lt_f32_e32 v3, v43
	s_cbranch_execz .LBB246_71
; %bb.70:
	v_mov_b32_e32 v174, v19
	s_waitcnt vmcnt(2)
	v_mov_b32_e32 v30, v7
	v_mov_b32_e32 v123, v171
	s_waitcnt vmcnt(0)
	v_dual_mov_b32 v125, v173 :: v_dual_mov_b32 v146, v38
	s_delay_alu instid0(VALU_DEP_3)
	v_dual_mov_b32 v143, v35 :: v_dual_mov_b32 v138, v30
	v_mov_b32_e32 v135, v27
	v_dual_mov_b32 v145, v37 :: v_dual_mov_b32 v142, v34
	v_dual_mov_b32 v139, v31 :: v_dual_mov_b32 v136, v28
	;; [unrolled: 1-line block ×6, first 2 shown]
	v_mov_b32_e32 v139, v6
	v_dual_mov_b32 v127, v18 :: v_dual_mov_b32 v124, v172
	v_dual_mov_b32 v126, v174 :: v_dual_mov_b32 v129, v177
	;; [unrolled: 1-line block ×15, first 2 shown]
	v_mov_b32_e32 v110, v134
	v_mov_b32_e32 v104, v20
	v_dual_mov_b32 v116, v8 :: v_dual_mov_b32 v75, v99
	v_mov_b32_e32 v87, v111
	v_dual_mov_b32 v93, v117 :: v_dual_mov_b32 v78, v102
	s_delay_alu instid0(VALU_DEP_3)
	v_dual_mov_b32 v81, v105 :: v_dual_mov_b32 v92, v116
	v_dual_mov_b32 v80, v104 :: v_dual_mov_b32 v83, v107
	;; [unrolled: 1-line block ×11, first 2 shown]
	v_mov_b32_e32 v63, v75
	s_delay_alu instid0(VALU_DEP_3)
	v_dual_mov_b32 v51, v87 :: v_dual_mov_b32 v54, v90
	v_dual_mov_b32 v71, v83 :: v_dual_mov_b32 v72, v84
	;; [unrolled: 1-line block ×14, first 2 shown]
	v_mov_b32_e32 v68, v80
	v_dual_mov_b32 v58, v10 :: v_dual_mov_b32 v59, v11
	v_dual_mov_b32 v60, v12 :: v_dual_mov_b32 v61, v2
	;; [unrolled: 1-line block ×14, first 2 shown]
	v_mov_b32_e32 v150, v30
	v_dual_mov_b32 v148, v28 :: v_dual_mov_b32 v19, v18
	v_dual_mov_b32 v4, v3 :: v_dual_mov_b32 v7, v6
.LBB246_71:
	s_or_b32 exec_lo, exec_lo, s2
	v_mov_b32_e32 v3, v44
	s_mov_b32 s2, exec_lo
	s_delay_alu instid0(VALU_DEP_2)
	v_cmpx_lt_f32_e32 v4, v44
	s_cbranch_execz .LBB246_73
; %bb.72:
	v_mov_b32_e32 v163, v20
	v_mov_b32_e32 v151, v8
	v_dual_mov_b32 v99, v159 :: v_dual_mov_b32 v102, v162
	v_dual_mov_b32 v111, v147 :: v_dual_mov_b32 v112, v148
	;; [unrolled: 1-line block ×10, first 2 shown]
	v_mov_b32_e32 v108, v168
	v_dual_mov_b32 v104, v164 :: v_dual_mov_b32 v109, v169
	v_mov_b32_e32 v116, v7
	v_mov_b32_e32 v107, v167
	v_mov_b32_e32 v104, v19
	v_dual_mov_b32 v87, v111 :: v_dual_mov_b32 v90, v114
	v_dual_mov_b32 v88, v112 :: v_dual_mov_b32 v89, v113
	;; [unrolled: 1-line block ×12, first 2 shown]
	v_mov_b32_e32 v93, v9
	v_mov_b32_e32 v43, v44
	v_dual_mov_b32 v44, v4 :: v_dual_mov_b32 v81, v21
	v_dual_mov_b32 v51, v87 :: v_dual_mov_b32 v56, v92
	;; [unrolled: 1-line block ×15, first 2 shown]
	v_mov_b32_e32 v136, v148
	v_dual_mov_b32 v54, v90 :: v_dual_mov_b32 v59, v11
	v_mov_b32_e32 v62, v14
	v_dual_mov_b32 v61, v2 :: v_dual_mov_b32 v72, v24
	v_dual_mov_b32 v70, v22 :: v_dual_mov_b32 v71, v23
	;; [unrolled: 1-line block ×14, first 2 shown]
	v_mov_b32_e32 v8, v7
.LBB246_73:
	s_or_b32 exec_lo, exec_lo, s2
	v_mov_b32_e32 v4, v45
	s_mov_b32 s2, exec_lo
	v_cmpx_lt_f32_e32 v3, v45
	s_cbranch_execz .LBB246_75
; %bb.74:
	v_mov_b32_e32 v140, v9
	v_dual_mov_b32 v128, v21 :: v_dual_mov_b32 v87, v135
	v_mov_b32_e32 v93, v141
	v_dual_mov_b32 v93, v8 :: v_dual_mov_b32 v94, v142
	v_dual_mov_b32 v96, v144 :: v_dual_mov_b32 v97, v145
	v_mov_b32_e32 v98, v146
	v_dual_mov_b32 v44, v45 :: v_dual_mov_b32 v75, v123
	v_dual_mov_b32 v84, v132 :: v_dual_mov_b32 v85, v133
	;; [unrolled: 1-line block ×8, first 2 shown]
	v_mov_b32_e32 v81, v20
	v_dual_mov_b32 v51, v87 :: v_dual_mov_b32 v52, v88
	v_dual_mov_b32 v76, v124 :: v_dual_mov_b32 v77, v125
	;; [unrolled: 1-line block ×30, first 2 shown]
	v_mov_b32_e32 v120, v144
	v_dual_mov_b32 v122, v146 :: v_dual_mov_b32 v21, v20
	v_dual_mov_b32 v4, v3 :: v_dual_mov_b32 v9, v8
.LBB246_75:
	s_or_b32 exec_lo, exec_lo, s2
	v_mov_b32_e32 v3, v46
	s_mov_b32 s2, exec_lo
	s_delay_alu instid0(VALU_DEP_2)
	v_cmpx_lt_f32_e32 v4, v46
	s_cbranch_execz .LBB246_77
; %bb.76:
	v_mov_b32_e32 v117, v10
	v_dual_mov_b32 v45, v46 :: v_dual_mov_b32 v46, v4
	v_mov_b32_e32 v105, v22
	v_dual_mov_b32 v51, v111 :: v_dual_mov_b32 v54, v114
	v_dual_mov_b32 v56, v116 :: v_dual_mov_b32 v63, v99
	;; [unrolled: 1-line block ×6, first 2 shown]
	v_mov_b32_e32 v58, v9
	v_dual_mov_b32 v61, v121 :: v_dual_mov_b32 v60, v12
	v_dual_mov_b32 v67, v103 :: v_dual_mov_b32 v70, v106
	;; [unrolled: 1-line block ×8, first 2 shown]
	v_mov_b32_e32 v62, v14
	v_dual_mov_b32 v61, v2 :: v_dual_mov_b32 v64, v100
	v_dual_mov_b32 v65, v101 :: v_dual_mov_b32 v68, v104
	;; [unrolled: 1-line block ×15, first 2 shown]
	v_mov_b32_e32 v98, v122
.LBB246_77:
	s_or_b32 exec_lo, exec_lo, s2
	v_mov_b32_e32 v4, v47
	s_mov_b32 s2, exec_lo
	v_cmpx_lt_f32_e32 v3, v47
	s_cbranch_execz .LBB246_79
; %bb.78:
	v_dual_mov_b32 v84, v24 :: v_dual_mov_b32 v85, v1
	v_dual_mov_b32 v94, v11 :: v_dual_mov_b32 v95, v10
	;; [unrolled: 1-line block ×4, first 2 shown]
	v_mov_b32_e32 v86, v26
	v_mov_b32_e32 v46, v47
	v_dual_mov_b32 v47, v3 :: v_dual_mov_b32 v98, v14
	v_dual_mov_b32 v63, v75 :: v_dual_mov_b32 v72, v84
	;; [unrolled: 1-line block ×3, first 2 shown]
	v_mov_b32_e32 v67, v79
	v_dual_mov_b32 v65, v77 :: v_dual_mov_b32 v66, v78
	v_dual_mov_b32 v69, v81 :: v_dual_mov_b32 v68, v80
	;; [unrolled: 1-line block ×9, first 2 shown]
	v_mov_b32_e32 v62, v98
	v_mov_b32_e32 v4, v3
.LBB246_79:
	s_or_b32 exec_lo, exec_lo, s2
	s_delay_alu instid0(VALU_DEP_1)
	v_cmp_lt_f32_e32 vcc_lo, v4, v48
	v_dual_mov_b32 v3, v41 :: v_dual_mov_b32 v8, v46
	v_dual_mov_b32 v5, v43 :: v_dual_mov_b32 v12, v50
	s_waitcnt vmcnt(0)
	v_cndmask_b32_e32 v37, v72, v71, vcc_lo
	v_dual_cndmask_b32 v71, v71, v72 :: v_dual_cndmask_b32 v38, v60, v59
	v_dual_cndmask_b32 v59, v59, v60 :: v_dual_mov_b32 v2, v40
	v_dual_cndmask_b32 v10, v48, v4 :: v_dual_mov_b32 v1, v39
	;; [unrolled: 1-line block ×3, first 2 shown]
	v_dual_mov_b32 v4, v42 :: v_dual_mov_b32 v7, v45
	v_mov_b32_e32 v11, v49
	s_mov_b32 s2, exec_lo
	v_cmpx_lt_f32_e32 v39, v40
	s_cbranch_execz .LBB246_81
; %bb.80:
	v_dual_mov_b32 v13, v2 :: v_dual_mov_b32 v14, v1
	v_dual_mov_b32 v15, v3 :: v_dual_mov_b32 v16, v4
	;; [unrolled: 1-line block ×6, first 2 shown]
	v_mov_b32_e32 v25, v63
	v_dual_mov_b32 v26, v51 :: v_dual_mov_b32 v1, v13
	v_swap_b32 v63, v64
	v_swap_b32 v51, v52
	v_dual_mov_b32 v2, v14 :: v_dual_mov_b32 v3, v15
	v_dual_mov_b32 v4, v16 :: v_dual_mov_b32 v5, v17
	v_dual_mov_b32 v6, v18 :: v_dual_mov_b32 v7, v19
	v_dual_mov_b32 v8, v20 :: v_dual_mov_b32 v9, v21
	v_dual_mov_b32 v10, v22 :: v_dual_mov_b32 v11, v23
	v_mov_b32_e32 v12, v24
	v_mov_b32_e32 v40, v39
.LBB246_81:
	s_or_b32 exec_lo, exec_lo, s2
	v_mov_b32_e32 v60, v38
	v_dual_mov_b32 v72, v37 :: v_dual_mov_b32 v13, v51
	v_dual_mov_b32 v25, v63 :: v_dual_mov_b32 v98, v74
	;; [unrolled: 1-line block ×60, first 2 shown]
	s_mov_b32 s2, exec_lo
	v_dual_mov_b32 v96, v72 :: v_dual_mov_b32 v93, v69
	v_cmpx_lt_f32_e32 v40, v3
	s_cbranch_execz .LBB246_83
; %bb.82:
	v_dual_mov_b32 v134, v62 :: v_dual_mov_b32 v133, v61
	v_dual_mov_b32 v124, v52 :: v_dual_mov_b32 v123, v51
	v_mov_b32_e32 v124, v53
	v_dual_mov_b32 v128, v56 :: v_dual_mov_b32 v127, v55
	v_dual_mov_b32 v132, v60 :: v_dual_mov_b32 v131, v59
	;; [unrolled: 1-line block ×11, first 2 shown]
	v_mov_b32_e32 v141, v69
	v_dual_mov_b32 v136, v65 :: v_dual_mov_b32 v137, v64
	v_dual_mov_b32 v160, v124 :: v_dual_mov_b32 v159, v123
	;; [unrolled: 1-line block ×40, first 2 shown]
	v_mov_b32_e32 v22, v84
	v_dual_mov_b32 v22, v38 :: v_dual_mov_b32 v25, v87
	v_dual_mov_b32 v16, v78 :: v_dual_mov_b32 v19, v81
	;; [unrolled: 1-line block ×16, first 2 shown]
	v_mov_b32_e32 v35, v73
	v_dual_mov_b32 v34, v37 :: v_dual_mov_b32 v39, v40
	v_dual_mov_b32 v36, v74 :: v_dual_mov_b32 v65, v64
	v_mov_b32_e32 v53, v52
.LBB246_83:
	s_or_b32 exec_lo, exec_lo, s2
	v_mov_b32_e32 v40, v4
	s_mov_b32 s2, exec_lo
	v_cmpx_lt_f32_e32 v39, v4
	s_cbranch_execz .LBB246_85
; %bb.84:
	v_mov_b32_e32 v137, v66
	v_mov_b32_e32 v125, v54
	;; [unrolled: 1-line block ×4, first 2 shown]
	v_dual_mov_b32 v170, v134 :: v_dual_mov_b32 v169, v133
	v_dual_mov_b32 v168, v132 :: v_dual_mov_b32 v159, v123
	v_dual_mov_b32 v154, v142 :: v_dual_mov_b32 v161, v125
	v_dual_mov_b32 v160, v124 :: v_dual_mov_b32 v147, v135
	v_dual_mov_b32 v163, v127 :: v_dual_mov_b32 v162, v126
	v_dual_mov_b32 v153, v141 :: v_dual_mov_b32 v150, v138
	v_dual_mov_b32 v151, v139 :: v_dual_mov_b32 v148, v136
	v_dual_mov_b32 v167, v131 :: v_dual_mov_b32 v166, v130
	v_dual_mov_b32 v165, v129 :: v_dual_mov_b32 v164, v128
	v_mov_b32_e32 v157, v145
	v_dual_mov_b32 v155, v143 :: v_dual_mov_b32 v152, v140
	v_mov_b32_e32 v162, v53
	v_mov_b32_e32 v149, v137
	v_dual_mov_b32 v150, v65 :: v_dual_mov_b32 v111, v159
	v_dual_mov_b32 v112, v160 :: v_dual_mov_b32 v99, v147
	;; [unrolled: 1-line block ×13, first 2 shown]
	v_mov_b32_e32 v115, v55
	v_dual_mov_b32 v87, v99 :: v_dual_mov_b32 v88, v100
	v_dual_mov_b32 v75, v111 :: v_dual_mov_b32 v78, v114
	;; [unrolled: 1-line block ×3, first 2 shown]
	s_delay_alu instid0(VALU_DEP_4)
	v_dual_mov_b32 v80, v116 :: v_dual_mov_b32 v79, v115
	v_dual_mov_b32 v82, v118 :: v_dual_mov_b32 v81, v117
	;; [unrolled: 1-line block ×6, first 2 shown]
	v_mov_b32_e32 v96, v108
	v_dual_mov_b32 v92, v104 :: v_dual_mov_b32 v93, v105
	v_dual_mov_b32 v98, v110 :: v_dual_mov_b32 v95, v107
	;; [unrolled: 1-line block ×21, first 2 shown]
	v_mov_b32_e32 v34, v37
	v_dual_mov_b32 v35, v73 :: v_dual_mov_b32 v36, v74
	v_mov_b32_e32 v40, v39
	v_mov_b32_e32 v66, v65
	;; [unrolled: 1-line block ×3, first 2 shown]
.LBB246_85:
	s_or_b32 exec_lo, exec_lo, s2
	v_mov_b32_e32 v39, v5
	s_mov_b32 s2, exec_lo
	v_cmpx_lt_f32_e32 v40, v5
	s_cbranch_execz .LBB246_87
; %bb.86:
	v_mov_b32_e32 v126, v55
	v_mov_b32_e32 v111, v123
	;; [unrolled: 1-line block ×3, first 2 shown]
	v_dual_mov_b32 v115, v54 :: v_dual_mov_b32 v116, v128
	v_dual_mov_b32 v138, v67 :: v_dual_mov_b32 v113, v125
	v_mov_b32_e32 v112, v124
	v_dual_mov_b32 v118, v130 :: v_dual_mov_b32 v119, v131
	v_dual_mov_b32 v120, v132 :: v_dual_mov_b32 v121, v133
	;; [unrolled: 1-line block ×24, first 2 shown]
	v_mov_b32_e32 v22, v84
	v_dual_mov_b32 v22, v38 :: v_dual_mov_b32 v25, v87
	v_dual_mov_b32 v16, v78 :: v_dual_mov_b32 v19, v81
	;; [unrolled: 1-line block ×18, first 2 shown]
	v_mov_b32_e32 v35, v73
	v_dual_mov_b32 v34, v37 :: v_dual_mov_b32 v155, v143
	v_dual_mov_b32 v36, v74 :: v_dual_mov_b32 v157, v145
	;; [unrolled: 1-line block ×12, first 2 shown]
	v_mov_b32_e32 v55, v54
.LBB246_87:
	s_or_b32 exec_lo, exec_lo, s2
	v_mov_b32_e32 v40, v6
	s_mov_b32 s2, exec_lo
	v_cmpx_lt_f32_e32 v39, v6
	s_cbranch_execz .LBB246_89
; %bb.88:
	v_mov_b32_e32 v163, v56
	v_dual_mov_b32 v75, v159 :: v_dual_mov_b32 v80, v164
	v_dual_mov_b32 v80, v55 :: v_dual_mov_b32 v81, v165
	;; [unrolled: 1-line block ×7, first 2 shown]
	v_mov_b32_e32 v85, v169
	v_dual_mov_b32 v89, v149 :: v_dual_mov_b32 v92, v152
	v_dual_mov_b32 v91, v151 :: v_dual_mov_b32 v94, v154
	;; [unrolled: 1-line block ×6, first 2 shown]
	v_mov_b32_e32 v88, v148
	v_mov_b32_e32 v6, v39
	s_delay_alu instid0(VALU_DEP_3) | instskip(NEXT) | instid1(VALU_DEP_3)
	v_dual_mov_b32 v13, v75 :: v_dual_mov_b32 v14, v76
	v_dual_mov_b32 v25, v87 :: v_dual_mov_b32 v26, v88
	;; [unrolled: 1-line block ×30, first 2 shown]
	v_mov_b32_e32 v40, v39
	v_mov_b32_e32 v68, v67
	;; [unrolled: 1-line block ×3, first 2 shown]
.LBB246_89:
	s_or_b32 exec_lo, exec_lo, s2
	v_mov_b32_e32 v39, v7
	s_mov_b32 s2, exec_lo
	v_cmpx_lt_f32_e32 v40, v7
	s_cbranch_execz .LBB246_91
; %bb.90:
	v_mov_b32_e32 v116, v57
	v_dual_mov_b32 v6, v7 :: v_dual_mov_b32 v7, v40
	v_dual_mov_b32 v104, v69 :: v_dual_mov_b32 v13, v111
	v_mov_b32_e32 v22, v120
	v_dual_mov_b32 v22, v38 :: v_dual_mov_b32 v25, v99
	v_mov_b32_e32 v34, v108
	v_dual_mov_b32 v34, v37 :: v_dual_mov_b32 v87, v99
	v_dual_mov_b32 v16, v114 :: v_dual_mov_b32 v19, v117
	;; [unrolled: 1-line block ×12, first 2 shown]
	v_mov_b32_e32 v23, v61
	v_dual_mov_b32 v21, v59 :: v_dual_mov_b32 v24, v62
	v_dual_mov_b32 v27, v101 :: v_dual_mov_b32 v26, v100
	;; [unrolled: 1-line block ×3, first 2 shown]
	v_mov_b32_e32 v35, v73
	v_dual_mov_b32 v33, v71 :: v_dual_mov_b32 v36, v74
	v_dual_mov_b32 v89, v101 :: v_dual_mov_b32 v88, v100
	;; [unrolled: 1-line block ×9, first 2 shown]
	v_mov_b32_e32 v39, v40
	v_mov_b32_e32 v69, v68
	v_dual_mov_b32 v57, v56 :: v_dual_mov_b32 v94, v106
	v_dual_mov_b32 v97, v109 :: v_dual_mov_b32 v82, v118
	;; [unrolled: 1-line block ×3, first 2 shown]
.LBB246_91:
	s_or_b32 exec_lo, exec_lo, s2
	v_mov_b32_e32 v40, v8
	s_mov_b32 s2, exec_lo
	v_cmpx_lt_f32_e32 v39, v8
	s_cbranch_execz .LBB246_93
; %bb.92:
	v_dual_mov_b32 v81, v58 :: v_dual_mov_b32 v82, v57
	v_dual_mov_b32 v83, v59 :: v_dual_mov_b32 v84, v38
	;; [unrolled: 1-line block ×19, first 2 shown]
	v_mov_b32_e32 v40, v39
.LBB246_93:
	s_or_b32 exec_lo, exec_lo, s2
	s_delay_alu instid0(VALU_DEP_1)
	v_cmp_lt_f32_e32 vcc_lo, v40, v9
	v_dual_mov_b32 v38, v2 :: v_dual_mov_b32 v41, v5
	v_dual_mov_b32 v42, v6 :: v_dual_mov_b32 v47, v11
	v_dual_cndmask_b32 v145, v33, v32 :: v_dual_cndmask_b32 v32, v32, v33
	v_dual_cndmask_b32 v146, v21, v20 :: v_dual_mov_b32 v39, v3
	v_dual_cndmask_b32 v20, v20, v21 :: v_dual_cndmask_b32 v45, v9, v40
	v_dual_cndmask_b32 v44, v8, v9 :: v_dual_mov_b32 v37, v1
	v_dual_mov_b32 v40, v4 :: v_dual_mov_b32 v43, v7
	v_mov_b32_e32 v46, v10
	v_mov_b32_e32 v48, v12
	s_mov_b32 s2, exec_lo
	v_cmpx_lt_f32_e32 v1, v2
	s_cbranch_execz .LBB246_95
; %bb.94:
	v_dual_mov_b32 v49, v38 :: v_dual_mov_b32 v50, v37
	v_dual_mov_b32 v51, v39 :: v_dual_mov_b32 v52, v40
	;; [unrolled: 1-line block ×6, first 2 shown]
	v_mov_b32_e32 v3, v25
	v_mov_b32_e32 v4, v13
	v_dual_mov_b32 v37, v49 :: v_dual_mov_b32 v40, v52
	v_swap_b32 v25, v26
	v_swap_b32 v13, v14
	v_dual_mov_b32 v38, v50 :: v_dual_mov_b32 v39, v51
	v_dual_mov_b32 v41, v53 :: v_dual_mov_b32 v42, v54
	;; [unrolled: 1-line block ×5, first 2 shown]
	v_mov_b32_e32 v2, v1
.LBB246_95:
	s_or_b32 exec_lo, exec_lo, s2
	v_mov_b32_e32 v21, v146
	v_dual_mov_b32 v33, v145 :: v_dual_mov_b32 v60, v24
	v_dual_mov_b32 v72, v36 :: v_dual_mov_b32 v61, v25
	;; [unrolled: 1-line block ×43, first 2 shown]
	v_mov_b32_e32 v97, v13
	v_mov_b32_e32 v1, v39
	s_mov_b32 s2, exec_lo
	v_dual_mov_b32 v95, v35 :: v_dual_mov_b32 v94, v34
	v_dual_mov_b32 v93, v33 :: v_dual_mov_b32 v92, v32
	;; [unrolled: 1-line block ×5, first 2 shown]
	v_cmpx_lt_f32_e32 v2, v39
	s_cbranch_execz .LBB246_97
; %bb.96:
	v_dual_mov_b32 v108, v24 :: v_dual_mov_b32 v107, v23
	v_dual_mov_b32 v98, v14 :: v_dual_mov_b32 v97, v13
	v_mov_b32_e32 v98, v15
	v_dual_mov_b32 v104, v20 :: v_dual_mov_b32 v103, v19
	v_dual_mov_b32 v100, v16 :: v_dual_mov_b32 v99, v15
	;; [unrolled: 1-line block ×26, first 2 shown]
	v_mov_b32_e32 v84, v144
	v_dual_mov_b32 v74, v134 :: v_dual_mov_b32 v77, v137
	v_mov_b32_e32 v75, v135
	v_dual_mov_b32 v38, v39 :: v_dual_mov_b32 v85, v121
	v_dual_mov_b32 v76, v136 :: v_dual_mov_b32 v79, v139
	;; [unrolled: 1-line block ×10, first 2 shown]
	v_mov_b32_e32 v39, v2
	v_dual_mov_b32 v49, v73 :: v_dual_mov_b32 v50, v74
	v_dual_mov_b32 v59, v83 :: v_dual_mov_b32 v60, v84
	;; [unrolled: 1-line block ×18, first 2 shown]
	v_mov_b32_e32 v70, v34
	v_dual_mov_b32 v72, v36 :: v_dual_mov_b32 v1, v2
	v_mov_b32_e32 v27, v26
	v_mov_b32_e32 v15, v14
.LBB246_97:
	s_or_b32 exec_lo, exec_lo, s2
	v_mov_b32_e32 v2, v40
	s_mov_b32 s2, exec_lo
	v_cmpx_lt_f32_e32 v1, v40
	s_cbranch_execz .LBB246_99
; %bb.98:
	v_mov_b32_e32 v99, v16
	v_mov_b32_e32 v144, v108
	v_mov_b32_e32 v136, v100
	v_dual_mov_b32 v136, v15 :: v_dual_mov_b32 v111, v28
	v_dual_mov_b32 v142, v106 :: v_dual_mov_b32 v133, v97
	;; [unrolled: 1-line block ×4, first 2 shown]
	v_mov_b32_e32 v135, v99
	v_dual_mov_b32 v125, v113 :: v_dual_mov_b32 v124, v112
	v_mov_b32_e32 v143, v107
	v_dual_mov_b32 v141, v105 :: v_dual_mov_b32 v140, v104
	v_dual_mov_b32 v139, v103 :: v_dual_mov_b32 v138, v102
	v_dual_mov_b32 v131, v119 :: v_dual_mov_b32 v130, v118
	v_dual_mov_b32 v129, v117 :: v_dual_mov_b32 v128, v116
	v_dual_mov_b32 v127, v115 :: v_dual_mov_b32 v126, v114
	v_dual_mov_b32 v123, v111 :: v_dual_mov_b32 v122, v110
	v_dual_mov_b32 v124, v27 :: v_dual_mov_b32 v73, v133
	v_dual_mov_b32 v74, v134 :: v_dual_mov_b32 v85, v121
	v_dual_mov_b32 v75, v135 :: v_dual_mov_b32 v76, v136
	v_dual_mov_b32 v77, v137 :: v_dual_mov_b32 v78, v138
	v_dual_mov_b32 v89, v125 :: v_dual_mov_b32 v92, v128
	v_dual_mov_b32 v79, v139 :: v_dual_mov_b32 v80, v140
	v_dual_mov_b32 v81, v141 :: v_dual_mov_b32 v82, v142
	v_dual_mov_b32 v83, v143 :: v_dual_mov_b32 v84, v144
	v_dual_mov_b32 v77, v17 :: v_dual_mov_b32 v86, v122
	v_dual_mov_b32 v87, v123 :: v_dual_mov_b32 v90, v126
	v_dual_mov_b32 v91, v127 :: v_dual_mov_b32 v94, v130
	v_dual_mov_b32 v93, v129 :: v_dual_mov_b32 v96, v132
	v_mov_b32_e32 v95, v131
	v_dual_mov_b32 v89, v29 :: v_dual_mov_b32 v88, v124
	v_dual_mov_b32 v49, v73 :: v_dual_mov_b32 v54, v78
	v_mov_b32_e32 v50, v74
	v_dual_mov_b32 v52, v76 :: v_dual_mov_b32 v61, v85
	s_delay_alu instid0(VALU_DEP_4)
	v_dual_mov_b32 v64, v88 :: v_dual_mov_b32 v51, v75
	v_dual_mov_b32 v56, v80 :: v_dual_mov_b32 v53, v77
	v_dual_mov_b32 v58, v82 :: v_dual_mov_b32 v55, v79
	v_dual_mov_b32 v60, v84 :: v_dual_mov_b32 v57, v81
	v_dual_mov_b32 v54, v18 :: v_dual_mov_b32 v59, v83
	v_dual_mov_b32 v56, v20 :: v_dual_mov_b32 v63, v87
	v_dual_mov_b32 v66, v90 :: v_dual_mov_b32 v65, v89
	v_dual_mov_b32 v68, v92 :: v_dual_mov_b32 v67, v91
	v_dual_mov_b32 v70, v94 :: v_dual_mov_b32 v69, v93
	v_dual_mov_b32 v72, v96 :: v_dual_mov_b32 v71, v95
	v_dual_mov_b32 v66, v30 :: v_dual_mov_b32 v39, v40
	v_dual_mov_b32 v40, v1 :: v_dual_mov_b32 v55, v19
	v_mov_b32_e32 v58, v22
	v_dual_mov_b32 v57, v146 :: v_dual_mov_b32 v60, v24
	v_dual_mov_b32 v59, v23 :: v_dual_mov_b32 v62, v86
	;; [unrolled: 1-line block ×5, first 2 shown]
	v_mov_b32_e32 v2, v1
	v_mov_b32_e32 v28, v27
	;; [unrolled: 1-line block ×3, first 2 shown]
.LBB246_99:
	s_or_b32 exec_lo, exec_lo, s2
	v_mov_b32_e32 v1, v41
	s_mov_b32 s2, exec_lo
	v_cmpx_lt_f32_e32 v2, v41
	s_cbranch_execz .LBB246_101
; %bb.100:
	v_mov_b32_e32 v100, v17
	v_mov_b32_e32 v73, v97
	;; [unrolled: 1-line block ×3, first 2 shown]
	v_dual_mov_b32 v77, v16 :: v_dual_mov_b32 v78, v102
	v_dual_mov_b32 v112, v29 :: v_dual_mov_b32 v75, v99
	;; [unrolled: 1-line block ×3, first 2 shown]
	v_mov_b32_e32 v84, v108
	v_dual_mov_b32 v74, v98 :: v_dual_mov_b32 v85, v109
	v_mov_b32_e32 v86, v110
	v_dual_mov_b32 v76, v100 :: v_dual_mov_b32 v79, v103
	v_dual_mov_b32 v80, v104 :: v_dual_mov_b32 v81, v105
	;; [unrolled: 1-line block ×8, first 2 shown]
	v_mov_b32_e32 v49, v73
	v_dual_mov_b32 v89, v28 :: v_dual_mov_b32 v50, v74
	v_dual_mov_b32 v59, v83 :: v_dual_mov_b32 v60, v84
	;; [unrolled: 1-line block ×32, first 2 shown]
	v_mov_b32_e32 v17, v16
.LBB246_101:
	s_or_b32 exec_lo, exec_lo, s2
	v_mov_b32_e32 v2, v42
	s_mov_b32 s2, exec_lo
	v_cmpx_lt_f32_e32 v1, v42
	s_cbranch_execz .LBB246_103
; %bb.102:
	v_mov_b32_e32 v137, v18
	v_mov_b32_e32 v125, v30
	v_dual_mov_b32 v41, v42 :: v_dual_mov_b32 v42, v1
	v_dual_mov_b32 v49, v133 :: v_dual_mov_b32 v50, v134
	;; [unrolled: 1-line block ×13, first 2 shown]
	v_mov_b32_e32 v66, v29
	v_dual_mov_b32 v85, v121 :: v_dual_mov_b32 v86, v122
	v_dual_mov_b32 v73, v133 :: v_dual_mov_b32 v74, v134
	;; [unrolled: 1-line block ×4, first 2 shown]
	v_mov_b32_e32 v64, v124
	v_dual_mov_b32 v58, v22 :: v_dual_mov_b32 v59, v23
	v_dual_mov_b32 v67, v31 :: v_dual_mov_b32 v68, v32
	;; [unrolled: 1-line block ×8, first 2 shown]
	v_mov_b32_e32 v2, v1
	v_mov_b32_e32 v30, v29
	v_dual_mov_b32 v18, v17 :: v_dual_mov_b32 v91, v127
	v_dual_mov_b32 v92, v128 :: v_dual_mov_b32 v93, v129
	;; [unrolled: 1-line block ×6, first 2 shown]
	v_mov_b32_e32 v84, v144
.LBB246_103:
	s_or_b32 exec_lo, exec_lo, s2
	v_mov_b32_e32 v1, v43
	s_mov_b32 s2, exec_lo
	v_cmpx_lt_f32_e32 v2, v43
	s_cbranch_execz .LBB246_105
; %bb.104:
	v_dual_mov_b32 v94, v34 :: v_dual_mov_b32 v95, v35
	v_dual_mov_b32 v78, v19 :: v_dual_mov_b32 v79, v18
	;; [unrolled: 1-line block ×6, first 2 shown]
	v_mov_b32_e32 v96, v36
	v_dual_mov_b32 v42, v43 :: v_dual_mov_b32 v43, v2
	v_dual_mov_b32 v84, v24 :: v_dual_mov_b32 v61, v85
	;; [unrolled: 1-line block ×14, first 2 shown]
.LBB246_105:
	s_or_b32 exec_lo, exec_lo, s2
	s_delay_alu instid0(VALU_DEP_1)
	v_cmp_lt_f32_e32 vcc_lo, v1, v44
	v_dual_mov_b32 v3, v39 :: v_dual_mov_b32 v10, v46
	v_dual_mov_b32 v5, v41 :: v_dual_mov_b32 v12, v48
	v_dual_cndmask_b32 v121, v68, v67 :: v_dual_mov_b32 v2, v38
	v_dual_cndmask_b32 v67, v67, v68 :: v_dual_cndmask_b32 v122, v56, v55
	v_dual_cndmask_b32 v55, v55, v56 :: v_dual_cndmask_b32 v8, v44, v1
	v_dual_cndmask_b32 v7, v43, v44 :: v_dual_mov_b32 v4, v40
	v_dual_mov_b32 v1, v37 :: v_dual_mov_b32 v6, v42
	v_mov_b32_e32 v9, v45
	v_mov_b32_e32 v11, v47
	s_mov_b32 s2, exec_lo
	v_cmpx_lt_f32_e32 v37, v38
	s_cbranch_execz .LBB246_107
; %bb.106:
	v_dual_mov_b32 v13, v2 :: v_dual_mov_b32 v14, v1
	v_dual_mov_b32 v15, v3 :: v_dual_mov_b32 v16, v4
	v_dual_mov_b32 v17, v5 :: v_dual_mov_b32 v18, v6
	v_dual_mov_b32 v19, v7 :: v_dual_mov_b32 v20, v8
	v_dual_mov_b32 v21, v9 :: v_dual_mov_b32 v22, v10
	v_dual_mov_b32 v23, v11 :: v_dual_mov_b32 v24, v12
	v_mov_b32_e32 v25, v61
	v_mov_b32_e32 v26, v49
	v_dual_mov_b32 v1, v13 :: v_dual_mov_b32 v4, v16
	v_swap_b32 v61, v62
	v_swap_b32 v49, v50
	v_dual_mov_b32 v2, v14 :: v_dual_mov_b32 v3, v15
	v_dual_mov_b32 v5, v17 :: v_dual_mov_b32 v6, v18
	;; [unrolled: 1-line block ×5, first 2 shown]
	v_mov_b32_e32 v38, v37
.LBB246_107:
	s_or_b32 exec_lo, exec_lo, s2
	v_mov_b32_e32 v56, v122
	v_mov_b32_e32 v68, v121
	;; [unrolled: 1-line block ×3, first 2 shown]
	v_dual_mov_b32 v27, v51 :: v_dual_mov_b32 v84, v72
	v_mov_b32_e32 v81, v69
	v_dual_mov_b32 v83, v71 :: v_dual_mov_b32 v96, v60
	v_dual_mov_b32 v91, v55 :: v_dual_mov_b32 v120, v72
	;; [unrolled: 1-line block ×31, first 2 shown]
	v_mov_b32_e32 v24, v60
	s_mov_b32 s2, exec_lo
	v_dual_mov_b32 v118, v70 :: v_dual_mov_b32 v115, v67
	v_dual_mov_b32 v116, v68 :: v_dual_mov_b32 v113, v65
	;; [unrolled: 1-line block ×3, first 2 shown]
	v_cmpx_lt_f32_e32 v38, v3
	s_cbranch_execz .LBB246_109
; %bb.108:
	v_dual_mov_b32 v13, v49 :: v_dual_mov_b32 v14, v50
	v_dual_mov_b32 v23, v59 :: v_dual_mov_b32 v24, v60
	v_dual_mov_b32 v15, v51 :: v_dual_mov_b32 v16, v52
	v_dual_mov_b32 v17, v53 :: v_dual_mov_b32 v18, v54
	v_dual_mov_b32 v19, v55 :: v_dual_mov_b32 v20, v56
	v_dual_mov_b32 v21, v57 :: v_dual_mov_b32 v22, v58
	v_dual_mov_b32 v14, v51 :: v_dual_mov_b32 v15, v50
	v_dual_mov_b32 v96, v24 :: v_dual_mov_b32 v95, v23
	v_dual_mov_b32 v88, v16 :: v_dual_mov_b32 v85, v13
	v_dual_mov_b32 v108, v72 :: v_dual_mov_b32 v105, v69
	v_dual_mov_b32 v2, v3 :: v_dual_mov_b32 v93, v21
	v_dual_mov_b32 v94, v22 :: v_dual_mov_b32 v91, v19
	v_dual_mov_b32 v92, v20 :: v_dual_mov_b32 v89, v17
	v_dual_mov_b32 v90, v18 :: v_dual_mov_b32 v87, v15
	v_dual_mov_b32 v86, v14 :: v_dual_mov_b32 v107, v71
	v_dual_mov_b32 v88, v52 :: v_dual_mov_b32 v3, v38
	v_dual_mov_b32 v100, v64 :: v_dual_mov_b32 v97, v61
	v_dual_mov_b32 v98, v62 :: v_dual_mov_b32 v25, v85
	v_dual_mov_b32 v106, v70 :: v_dual_mov_b32 v103, v67
	v_dual_mov_b32 v104, v68 :: v_dual_mov_b32 v101, v65
	v_dual_mov_b32 v102, v66 :: v_dual_mov_b32 v99, v63
	v_dual_mov_b32 v98, v63 :: v_dual_mov_b32 v99, v62
	v_dual_mov_b32 v120, v108 :: v_dual_mov_b32 v117, v105
	v_dual_mov_b32 v32, v92 :: v_dual_mov_b32 v33, v93
	v_dual_mov_b32 v112, v100 :: v_dual_mov_b32 v109, v97
	v_dual_mov_b32 v32, v122 :: v_dual_mov_b32 v119, v107
	v_dual_mov_b32 v118, v106 :: v_dual_mov_b32 v115, v103
	v_dual_mov_b32 v116, v104 :: v_dual_mov_b32 v113, v101
	v_dual_mov_b32 v114, v102 :: v_dual_mov_b32 v111, v99
	v_dual_mov_b32 v110, v98 :: v_dual_mov_b32 v33, v57
	v_mov_b32_e32 v112, v64
	v_dual_mov_b32 v34, v94 :: v_dual_mov_b32 v35, v95
	v_dual_mov_b32 v35, v59 :: v_dual_mov_b32 v34, v58
	;; [unrolled: 1-line block ×15, first 2 shown]
	v_mov_b32_e32 v81, v69
	v_dual_mov_b32 v80, v121 :: v_dual_mov_b32 v83, v71
	v_mov_b32_e32 v82, v70
	v_dual_mov_b32 v84, v72 :: v_dual_mov_b32 v37, v38
	v_mov_b32_e32 v63, v62
	v_mov_b32_e32 v51, v50
.LBB246_109:
	s_or_b32 exec_lo, exec_lo, s2
	v_mov_b32_e32 v38, v4
	s_mov_b32 s2, exec_lo
	v_cmpx_lt_f32_e32 v37, v4
	s_cbranch_execz .LBB246_111
; %bb.110:
	v_mov_b32_e32 v15, v52
	v_mov_b32_e32 v96, v24
	;; [unrolled: 1-line block ×3, first 2 shown]
	v_dual_mov_b32 v88, v51 :: v_dual_mov_b32 v99, v64
	v_dual_mov_b32 v94, v22 :: v_dual_mov_b32 v85, v13
	;; [unrolled: 1-line block ×3, first 2 shown]
	v_mov_b32_e32 v95, v23
	v_dual_mov_b32 v93, v21 :: v_dual_mov_b32 v92, v20
	v_dual_mov_b32 v91, v19 :: v_dual_mov_b32 v90, v18
	;; [unrolled: 1-line block ×7, first 2 shown]
	v_mov_b32_e32 v87, v15
	v_dual_mov_b32 v111, v99 :: v_dual_mov_b32 v110, v98
	v_dual_mov_b32 v112, v63 :: v_dual_mov_b32 v25, v85
	;; [unrolled: 1-line block ×3, first 2 shown]
	s_delay_alu instid0(VALU_DEP_3)
	v_dual_mov_b32 v74, v110 :: v_dual_mov_b32 v29, v89
	v_dual_mov_b32 v30, v90 :: v_dual_mov_b32 v31, v91
	;; [unrolled: 1-line block ×8, first 2 shown]
	v_mov_b32_e32 v84, v120
	v_dual_mov_b32 v3, v4 :: v_dual_mov_b32 v4, v37
	v_dual_mov_b32 v27, v87 :: v_dual_mov_b32 v28, v88
	;; [unrolled: 1-line block ×11, first 2 shown]
	v_mov_b32_e32 v38, v37
	v_mov_b32_e32 v64, v63
	;; [unrolled: 1-line block ×3, first 2 shown]
.LBB246_111:
	s_or_b32 exec_lo, exec_lo, s2
	v_mov_b32_e32 v16, v5
	s_mov_b32 s2, exec_lo
	v_cmpx_lt_f32_e32 v38, v5
	s_cbranch_execz .LBB246_113
; %bb.112:
	v_mov_b32_e32 v100, v65
	v_mov_b32_e32 v16, v53
	v_dual_mov_b32 v4, v5 :: v_dual_mov_b32 v5, v38
	v_dual_mov_b32 v36, v24 :: v_dual_mov_b32 v33, v21
	;; [unrolled: 1-line block ×3, first 2 shown]
	v_mov_b32_e32 v31, v19
	v_dual_mov_b32 v35, v59 :: v_dual_mov_b32 v34, v58
	v_dual_mov_b32 v73, v97 :: v_dual_mov_b32 v32, v20
	;; [unrolled: 1-line block ×8, first 2 shown]
	v_mov_b32_e32 v77, v64
	v_dual_mov_b32 v84, v108 :: v_dual_mov_b32 v79, v67
	v_dual_mov_b32 v120, v108 :: v_dual_mov_b32 v115, v103
	;; [unrolled: 1-line block ×19, first 2 shown]
	v_mov_b32_e32 v88, v16
	v_dual_mov_b32 v86, v14 :: v_dual_mov_b32 v65, v64
	v_dual_mov_b32 v16, v38 :: v_dual_mov_b32 v53, v52
	;; [unrolled: 1-line block ×3, first 2 shown]
.LBB246_113:
	s_or_b32 exec_lo, exec_lo, s2
	v_mov_b32_e32 v13, v6
	s_mov_b32 s2, exec_lo
	v_cmpx_lt_f32_e32 v16, v6
	s_cbranch_execz .LBB246_115
; %bb.114:
	v_dual_mov_b32 v89, v54 :: v_dual_mov_b32 v90, v53
	v_dual_mov_b32 v91, v55 :: v_dual_mov_b32 v92, v122
	;; [unrolled: 1-line block ×21, first 2 shown]
	v_mov_b32_e32 v13, v16
.LBB246_115:
	s_or_b32 exec_lo, exec_lo, s2
	s_delay_alu instid0(VALU_DEP_1)
	v_cmp_lt_f32_e32 vcc_lo, v13, v7
	v_dual_mov_b32 v14, v2 :: v_dual_mov_b32 v17, v5
	v_dual_mov_b32 v16, v4 :: v_dual_mov_b32 v21, v9
	v_dual_cndmask_b32 v37, v79, v78 :: v_dual_cndmask_b32 v78, v78, v79
	v_cndmask_b32_e32 v38, v31, v30, vcc_lo
	v_dual_cndmask_b32 v30, v30, v31 :: v_dual_cndmask_b32 v19, v7, v13
	v_dual_cndmask_b32 v18, v6, v7 :: v_dual_mov_b32 v15, v3
	v_dual_mov_b32 v13, v1 :: v_dual_mov_b32 v20, v8
	v_dual_mov_b32 v23, v11 :: v_dual_mov_b32 v22, v10
	v_mov_b32_e32 v24, v12
	s_mov_b32 s2, exec_lo
	v_cmpx_lt_f32_e32 v1, v2
	s_cbranch_execz .LBB246_117
; %bb.116:
	v_dual_mov_b32 v2, v14 :: v_dual_mov_b32 v3, v13
	v_dual_mov_b32 v12, v23 :: v_dual_mov_b32 v13, v24
	;; [unrolled: 1-line block ×6, first 2 shown]
	v_mov_b32_e32 v24, v13
	v_mov_b32_e32 v31, v73
	v_dual_mov_b32 v39, v25 :: v_dual_mov_b32 v18, v7
	v_swap_b32 v73, v74
	v_swap_b32 v25, v26
	v_dual_mov_b32 v23, v12 :: v_dual_mov_b32 v20, v9
	v_dual_mov_b32 v22, v11 :: v_dual_mov_b32 v21, v10
	;; [unrolled: 1-line block ×4, first 2 shown]
	v_mov_b32_e32 v15, v4
	v_dual_mov_b32 v13, v2 :: v_dual_mov_b32 v2, v1
.LBB246_117:
	s_or_b32 exec_lo, exec_lo, s2
	v_mov_b32_e32 v31, v38
	v_dual_mov_b32 v79, v37 :: v_dual_mov_b32 v50, v36
	v_dual_mov_b32 v51, v73 :: v_dual_mov_b32 v52, v74
	v_dual_mov_b32 v54, v76 :: v_dual_mov_b32 v61, v83
	v_dual_mov_b32 v108, v84 :: v_dual_mov_b32 v41, v27
	v_dual_mov_b32 v96, v36 :: v_dual_mov_b32 v53, v75
	v_dual_mov_b32 v56, v78 :: v_dual_mov_b32 v55, v77
	v_dual_mov_b32 v58, v80 :: v_dual_mov_b32 v57, v79
	v_dual_mov_b32 v60, v82 :: v_dual_mov_b32 v59, v81
	v_dual_mov_b32 v62, v84 :: v_dual_mov_b32 v107, v83
	v_dual_mov_b32 v106, v82 :: v_dual_mov_b32 v105, v81
	v_dual_mov_b32 v104, v80 :: v_dual_mov_b32 v103, v79
	v_dual_mov_b32 v102, v78 :: v_dual_mov_b32 v101, v77
	v_dual_mov_b32 v100, v76 :: v_dual_mov_b32 v99, v75
	v_dual_mov_b32 v98, v74 :: v_dual_mov_b32 v97, v73
	v_dual_mov_b32 v48, v34 :: v_dual_mov_b32 v49, v35
	v_dual_mov_b32 v46, v32 :: v_dual_mov_b32 v47, v33
	v_dual_mov_b32 v44, v30 :: v_dual_mov_b32 v45, v31
	v_dual_mov_b32 v42, v28 :: v_dual_mov_b32 v43, v29
	v_dual_mov_b32 v40, v26 :: v_dual_mov_b32 v39, v25
	v_dual_mov_b32 v94, v34 :: v_dual_mov_b32 v95, v35
	v_dual_mov_b32 v92, v32 :: v_dual_mov_b32 v93, v33
	v_dual_mov_b32 v90, v30 :: v_dual_mov_b32 v91, v31
	v_dual_mov_b32 v88, v28 :: v_dual_mov_b32 v89, v29
	v_dual_mov_b32 v86, v26 :: v_dual_mov_b32 v87, v27
	v_mov_b32_e32 v85, v25
	v_mov_b32_e32 v1, v15
	s_mov_b32 s2, exec_lo
	v_cmpx_lt_f32_e32 v2, v15
	s_cbranch_execz .LBB246_119
; %bb.118:
	v_dual_mov_b32 v96, v36 :: v_dual_mov_b32 v95, v35
	v_dual_mov_b32 v86, v26 :: v_dual_mov_b32 v85, v25
	;; [unrolled: 1-line block ×8, first 2 shown]
	v_mov_b32_e32 v105, v81
	v_dual_mov_b32 v43, v89 :: v_dual_mov_b32 v44, v90
	v_dual_mov_b32 v100, v76 :: v_dual_mov_b32 v97, v73
	;; [unrolled: 1-line block ×6, first 2 shown]
	v_mov_b32_e32 v98, v74
	v_dual_mov_b32 v98, v75 :: v_dual_mov_b32 v99, v74
	v_dual_mov_b32 v49, v95 :: v_dual_mov_b32 v50, v96
	v_dual_mov_b32 v50, v36 :: v_dual_mov_b32 v51, v97
	v_dual_mov_b32 v41, v87 :: v_dual_mov_b32 v42, v88
	v_dual_mov_b32 v45, v91 :: v_dual_mov_b32 v46, v92
	v_dual_mov_b32 v47, v93 :: v_dual_mov_b32 v48, v94
	v_dual_mov_b32 v54, v100 :: v_dual_mov_b32 v55, v101
	v_dual_mov_b32 v56, v102 :: v_dual_mov_b32 v57, v103
	v_dual_mov_b32 v58, v104 :: v_dual_mov_b32 v59, v105
	v_dual_mov_b32 v60, v106 :: v_dual_mov_b32 v61, v107
	v_dual_mov_b32 v62, v108 :: v_dual_mov_b32 v55, v77
	v_dual_mov_b32 v14, v15 :: v_dual_mov_b32 v15, v2
	v_mov_b32_e32 v40, v86
	v_dual_mov_b32 v42, v28 :: v_dual_mov_b32 v43, v29
	v_dual_mov_b32 v45, v38 :: v_dual_mov_b32 v46, v32
	v_dual_mov_b32 v47, v33 :: v_dual_mov_b32 v48, v34
	v_dual_mov_b32 v49, v35 :: v_dual_mov_b32 v52, v98
	v_dual_mov_b32 v53, v99 :: v_dual_mov_b32 v54, v76
	v_dual_mov_b32 v57, v37 :: v_dual_mov_b32 v56, v78
	v_dual_mov_b32 v59, v81 :: v_dual_mov_b32 v58, v80
	v_dual_mov_b32 v61, v83 :: v_dual_mov_b32 v60, v82
	v_dual_mov_b32 v62, v84 :: v_dual_mov_b32 v1, v2
	v_mov_b32_e32 v75, v74
	v_mov_b32_e32 v27, v26
.LBB246_119:
	s_or_b32 exec_lo, exec_lo, s2
	v_mov_b32_e32 v2, v16
	s_mov_b32 s2, exec_lo
	v_cmpx_lt_f32_e32 v1, v16
	s_cbranch_execz .LBB246_121
; %bb.120:
	v_mov_b32_e32 v87, v28
	v_mov_b32_e32 v99, v76
	v_dual_mov_b32 v15, v16 :: v_dual_mov_b32 v16, v1
	v_dual_mov_b32 v39, v85 :: v_dual_mov_b32 v42, v88
	v_dual_mov_b32 v45, v91 :: v_dual_mov_b32 v48, v94
	v_dual_mov_b32 v48, v34 :: v_dual_mov_b32 v51, v97
	v_dual_mov_b32 v54, v100 :: v_dual_mov_b32 v41, v87
	v_dual_mov_b32 v44, v90 :: v_dual_mov_b32 v43, v89
	v_dual_mov_b32 v46, v92 :: v_dual_mov_b32 v47, v93
	v_dual_mov_b32 v50, v96 :: v_dual_mov_b32 v49, v95
	v_dual_mov_b32 v44, v30 :: v_dual_mov_b32 v53, v99
	v_dual_mov_b32 v56, v102 :: v_dual_mov_b32 v55, v101
	v_dual_mov_b32 v58, v104 :: v_dual_mov_b32 v57, v103
	v_dual_mov_b32 v60, v106 :: v_dual_mov_b32 v59, v105
	v_dual_mov_b32 v62, v108 :: v_dual_mov_b32 v61, v107
	v_mov_b32_e32 v56, v78
	v_mov_b32_e32 v40, v86
	v_dual_mov_b32 v42, v27 :: v_dual_mov_b32 v43, v29
	v_dual_mov_b32 v45, v38 :: v_dual_mov_b32 v46, v32
	;; [unrolled: 1-line block ×8, first 2 shown]
	v_mov_b32_e32 v2, v1
	v_mov_b32_e32 v76, v75
	;; [unrolled: 1-line block ×3, first 2 shown]
.LBB246_121:
	s_or_b32 exec_lo, exec_lo, s2
	v_mov_b32_e32 v1, v17
	s_mov_b32 s2, exec_lo
	v_cmpx_lt_f32_e32 v2, v17
	s_cbranch_execz .LBB246_123
; %bb.122:
	v_dual_mov_b32 v106, v82 :: v_dual_mov_b32 v107, v83
	v_dual_mov_b32 v88, v29 :: v_dual_mov_b32 v89, v28
	;; [unrolled: 1-line block ×8, first 2 shown]
	v_mov_b32_e32 v108, v84
	v_dual_mov_b32 v16, v17 :: v_dual_mov_b32 v17, v2
	v_dual_mov_b32 v96, v36 :: v_dual_mov_b32 v51, v97
	;; [unrolled: 1-line block ×14, first 2 shown]
.LBB246_123:
	s_or_b32 exec_lo, exec_lo, s2
	s_delay_alu instid0(VALU_DEP_1)
	v_cmp_lt_f32_e32 vcc_lo, v1, v18
	v_dual_mov_b32 v27, v13 :: v_dual_mov_b32 v34, v20
	v_dual_mov_b32 v29, v15 :: v_dual_mov_b32 v36, v22
	v_dual_cndmask_b32 v63, v56, v55 :: v_dual_cndmask_b32 v32, v18, v1
	v_dual_cndmask_b32 v55, v55, v56 :: v_dual_cndmask_b32 v64, v44, v43
	v_dual_cndmask_b32 v43, v43, v44 :: v_dual_mov_b32 v28, v14
	v_dual_cndmask_b32 v31, v17, v18 :: v_dual_mov_b32 v30, v16
	v_dual_mov_b32 v33, v19 :: v_dual_mov_b32 v38, v24
	v_mov_b32_e32 v35, v21
	v_mov_b32_e32 v37, v23
	s_mov_b32 s2, exec_lo
	v_cmpx_lt_f32_e32 v13, v14
	s_cbranch_execz .LBB246_125
; %bb.124:
	s_delay_alu instid0(VALU_DEP_2)
	v_dual_mov_b32 v11, v37 :: v_dual_mov_b32 v12, v38
	v_dual_mov_b32 v1, v28 :: v_dual_mov_b32 v2, v27
	v_dual_mov_b32 v3, v29 :: v_dual_mov_b32 v4, v30
	v_dual_mov_b32 v5, v31 :: v_dual_mov_b32 v6, v32
	v_dual_mov_b32 v7, v33 :: v_dual_mov_b32 v8, v34
	v_dual_mov_b32 v9, v35 :: v_dual_mov_b32 v10, v36
	v_dual_mov_b32 v15, v51 :: v_dual_mov_b32 v38, v12
	s_delay_alu instid0(VALU_DEP_2)
	v_dual_mov_b32 v16, v39 :: v_dual_mov_b32 v35, v9
	v_swap_b32 v51, v52
	v_swap_b32 v39, v40
	v_dual_mov_b32 v37, v11 :: v_dual_mov_b32 v36, v10
	v_dual_mov_b32 v34, v8 :: v_dual_mov_b32 v33, v7
	;; [unrolled: 1-line block ×5, first 2 shown]
	v_mov_b32_e32 v14, v13
.LBB246_125:
	s_or_b32 exec_lo, exec_lo, s2
	v_mov_b32_e32 v44, v64
	v_mov_b32_e32 v56, v63
	;; [unrolled: 1-line block ×4, first 2 shown]
	v_dual_mov_b32 v15, v51 :: v_dual_mov_b32 v2, v40
	v_dual_mov_b32 v16, v52 :: v_dual_mov_b32 v17, v53
	;; [unrolled: 1-line block ×11, first 2 shown]
	v_mov_b32_e32 v12, v50
	s_mov_b32 s2, exec_lo
	v_cmpx_lt_f32_e32 v14, v29
	s_cbranch_execz .LBB246_127
; %bb.126:
	v_dual_mov_b32 v1, v39 :: v_dual_mov_b32 v2, v40
	v_dual_mov_b32 v11, v49 :: v_dual_mov_b32 v12, v50
	;; [unrolled: 1-line block ×25, first 2 shown]
	v_mov_b32_e32 v41, v40
.LBB246_127:
	s_or_b32 exec_lo, exec_lo, s2
	v_mov_b32_e32 v39, v30
	s_mov_b32 s2, exec_lo
	v_cmpx_lt_f32_e32 v13, v30
	s_cbranch_execz .LBB246_129
; %bb.128:
	v_dual_mov_b32 v29, v30 :: v_dual_mov_b32 v30, v13
	v_dual_mov_b32 v3, v42 :: v_dual_mov_b32 v4, v41
	;; [unrolled: 1-line block ×11, first 2 shown]
	v_mov_b32_e32 v39, v13
.LBB246_129:
	s_or_b32 exec_lo, exec_lo, s2
	s_delay_alu instid0(VALU_DEP_1)
	v_cmp_lt_f32_e32 vcc_lo, v39, v31
	v_dual_mov_b32 v40, v28 :: v_dual_mov_b32 v45, v33
	v_dual_mov_b32 v44, v32 :: v_dual_mov_b32 v47, v35
	v_dual_cndmask_b32 v13, v19, v18 :: v_dual_cndmask_b32 v18, v18, v19
	v_dual_cndmask_b32 v14, v5, v4 :: v_dual_cndmask_b32 v43, v31, v39
	v_dual_cndmask_b32 v4, v4, v5 :: v_dual_mov_b32 v39, v27
	v_dual_cndmask_b32 v42, v30, v31 :: v_dual_mov_b32 v41, v29
	v_dual_mov_b32 v46, v34 :: v_dual_mov_b32 v49, v37
	v_mov_b32_e32 v48, v36
	v_mov_b32_e32 v50, v38
	s_mov_b32 s2, exec_lo
	v_cmpx_lt_f32_e32 v27, v28
	s_cbranch_execz .LBB246_131
; %bb.130:
	v_dual_mov_b32 v28, v40 :: v_dual_mov_b32 v29, v39
	v_dual_mov_b32 v38, v49 :: v_dual_mov_b32 v39, v50
	;; [unrolled: 1-line block ×7, first 2 shown]
	v_mov_b32_e32 v5, v15
	v_swap_b32 v15, v16
	s_delay_alu instid0(VALU_DEP_4)
	v_mov_b32_e32 v48, v37
	v_swap_b32 v1, v2
	v_dual_mov_b32 v49, v38 :: v_dual_mov_b32 v46, v35
	v_dual_mov_b32 v47, v36 :: v_dual_mov_b32 v44, v33
	;; [unrolled: 1-line block ×4, first 2 shown]
	v_mov_b32_e32 v41, v30
	v_dual_mov_b32 v39, v28 :: v_dual_mov_b32 v28, v27
.LBB246_131:
	s_or_b32 exec_lo, exec_lo, s2
	v_mov_b32_e32 v5, v14
	v_mov_b32_e32 v19, v13
	;; [unrolled: 1-line block ×3, first 2 shown]
	s_mov_b32 s2, exec_lo
	v_cmpx_lt_f32_e32 v28, v41
	s_cbranch_execz .LBB246_133
; %bb.132:
	v_dual_mov_b32 v74, v26 :: v_dual_mov_b32 v73, v25
	v_dual_mov_b32 v62, v12 :: v_dual_mov_b32 v61, v11
	;; [unrolled: 1-line block ×22, first 2 shown]
	v_mov_b32_e32 v74, v26
	v_dual_mov_b32 v40, v41 :: v_dual_mov_b32 v41, v28
	v_dual_mov_b32 v62, v12 :: v_dual_mov_b32 v15, v63
	;; [unrolled: 1-line block ×14, first 2 shown]
.LBB246_133:
	s_or_b32 exec_lo, exec_lo, s2
	s_delay_alu instid0(VALU_DEP_1)
	v_cmp_lt_f32_e32 vcc_lo, v27, v42
	v_dual_mov_b32 v28, v23 :: v_dual_mov_b32 v29, v24
	v_dual_mov_b32 v30, v25 :: v_dual_mov_b32 v31, v26
	v_dual_cndmask_b32 v13, v18, v17 :: v_dual_cndmask_b32 v14, v4, v3
	v_dual_cndmask_b32 v51, v17, v18 :: v_dual_cndmask_b32 v56, v3, v4
	;; [unrolled: 1-line block ×3, first 2 shown]
	v_cmp_lt_f32_e32 vcc_lo, v39, v40
	v_dual_mov_b32 v4, v19 :: v_dual_mov_b32 v17, v20
	v_dual_mov_b32 v18, v21 :: v_dual_mov_b32 v27, v22
	;; [unrolled: 1-line block ×10, first 2 shown]
	v_mov_b32_e32 v59, v50
	s_and_saveexec_b32 s2, vcc_lo
	s_cbranch_execz .LBB246_135
; %bb.134:
	v_dual_mov_b32 v42, v40 :: v_dual_mov_b32 v27, v22
	v_dual_mov_b32 v4, v15 :: v_dual_mov_b32 v17, v20
	;; [unrolled: 1-line block ×3, first 2 shown]
	v_swap_b32 v15, v16
	v_swap_b32 v1, v2
	v_dual_mov_b32 v40, v39 :: v_dual_mov_b32 v29, v24
	v_dual_mov_b32 v4, v19 :: v_dual_mov_b32 v31, v26
	v_dual_mov_b32 v18, v21 :: v_dual_mov_b32 v33, v6
	v_dual_mov_b32 v28, v23 :: v_dual_mov_b32 v35, v8
	v_dual_mov_b32 v30, v25 :: v_dual_mov_b32 v37, v10
	v_dual_mov_b32 v32, v5 :: v_dual_mov_b32 v41, v12
	v_dual_mov_b32 v34, v7 :: v_dual_mov_b32 v39, v42
	v_dual_mov_b32 v36, v9 :: v_dual_mov_b32 v55, v47
	v_dual_mov_b32 v38, v11 :: v_dual_mov_b32 v53, v45
	v_dual_mov_b32 v42, v43 :: v_dual_mov_b32 v57, v48
	v_dual_mov_b32 v52, v44 :: v_dual_mov_b32 v59, v50
	v_mov_b32_e32 v54, v46
	v_mov_b32_e32 v58, v49
.LBB246_135:
	s_or_b32 exec_lo, exec_lo, s2
	s_clause 0x1
	s_load_b32 s8, s[0:1], 0x28
	s_load_b128 s[4:7], s[0:1], 0x10
	s_waitcnt lgkmcnt(0)
	s_cmp_lt_i32 s8, 1
	s_cbranch_scc1 .LBB246_141
; %bb.136:
	v_cmp_lt_f32_e32 vcc_lo, v40, v60
	v_dual_mov_b32 v7, 0 :: v_dual_mov_b32 v6, 0
	s_mov_b32 s9, 0x76543210
	s_mov_b32 s10, s8
	v_dual_cndmask_b32 v5, v56, v2 :: v_dual_cndmask_b32 v12, v61, v60
	v_dual_cndmask_b32 v10, v2, v56 :: v_dual_cndmask_b32 v19, v16, v51
	v_cndmask_b32_e32 v2, v60, v40, vcc_lo
	v_cndmask_b32_e32 v8, v51, v16, vcc_lo
	s_delay_alu instid0(VALU_DEP_4) | instskip(NEXT) | instid1(VALU_DEP_1)
	v_cmp_lt_f32_e64 s2, v39, v12
	v_cndmask_b32_e64 v9, v10, v1, s2
	v_cndmask_b32_e64 v10, v1, v10, s2
	;; [unrolled: 1-line block ×6, first 2 shown]
	v_mov_b32_e32 v19, v0
	v_mov_b32_e32 v1, 0
.LBB246_137:                            ; =>This Inner Loop Header: Depth=1
	v_cmp_eq_u32_e32 vcc_lo, 1, v7
	v_cmp_eq_u32_e64 s2, 2, v7
	v_cmp_gt_u32_e64 s3, 12, v7
	v_dual_cndmask_b32 v20, v12, v11 :: v_dual_cndmask_b32 v21, v10, v9
	s_delay_alu instid0(VALU_DEP_1) | instskip(NEXT) | instid1(VALU_DEP_2)
	v_cndmask_b32_e64 v20, v20, v2, s2
	v_cndmask_b32_e64 v21, v21, v5, s2
	v_cndmask_b32_e32 v22, v15, v16, vcc_lo
	v_cmp_eq_u32_e32 vcc_lo, 3, v7
	s_delay_alu instid0(VALU_DEP_3) | instskip(NEXT) | instid1(VALU_DEP_3)
	v_cndmask_b32_e32 v21, v21, v14, vcc_lo
	v_cndmask_b32_e64 v22, v22, v8, s2
	v_cmp_eq_u32_e64 s2, 4, v7
	s_delay_alu instid0(VALU_DEP_2) | instskip(NEXT) | instid1(VALU_DEP_2)
	v_cndmask_b32_e32 v22, v22, v13, vcc_lo
	v_cndmask_b32_e64 v21, v21, v32, s2
	v_cndmask_b32_e32 v20, v20, v3, vcc_lo
	v_cmp_eq_u32_e32 vcc_lo, 5, v7
	s_delay_alu instid0(VALU_DEP_4) | instskip(NEXT) | instid1(VALU_DEP_4)
	v_cndmask_b32_e64 v22, v22, v4, s2
	v_cndmask_b32_e32 v21, v21, v33, vcc_lo
	s_delay_alu instid0(VALU_DEP_4) | instskip(SKIP_1) | instid1(VALU_DEP_4)
	v_cndmask_b32_e64 v20, v20, v42, s2
	v_cmp_eq_u32_e64 s2, 6, v7
	v_cndmask_b32_e32 v22, v22, v17, vcc_lo
	s_delay_alu instid0(VALU_DEP_3) | instskip(SKIP_1) | instid1(VALU_DEP_4)
	v_cndmask_b32_e32 v20, v20, v52, vcc_lo
	v_cmp_eq_u32_e32 vcc_lo, 7, v7
	v_cndmask_b32_e64 v21, v21, v34, s2
	s_delay_alu instid0(VALU_DEP_4) | instskip(NEXT) | instid1(VALU_DEP_4)
	v_cndmask_b32_e64 v22, v22, v18, s2
	v_cndmask_b32_e64 v20, v20, v53, s2
	v_cmp_eq_u32_e64 s2, 8, v7
	s_delay_alu instid0(VALU_DEP_4) | instskip(NEXT) | instid1(VALU_DEP_4)
	v_cndmask_b32_e32 v21, v21, v35, vcc_lo
	v_cndmask_b32_e32 v22, v22, v27, vcc_lo
	s_delay_alu instid0(VALU_DEP_4) | instskip(SKIP_1) | instid1(VALU_DEP_4)
	v_cndmask_b32_e32 v20, v20, v54, vcc_lo
	v_cmp_eq_u32_e32 vcc_lo, 9, v7
	v_cndmask_b32_e64 v21, v21, v36, s2
	s_delay_alu instid0(VALU_DEP_4) | instskip(NEXT) | instid1(VALU_DEP_4)
	v_cndmask_b32_e64 v22, v22, v28, s2
	v_cndmask_b32_e64 v20, v20, v55, s2
	v_cmp_eq_u32_e64 s2, 10, v7
	s_delay_alu instid0(VALU_DEP_4) | instskip(NEXT) | instid1(VALU_DEP_4)
	v_cndmask_b32_e32 v21, v21, v37, vcc_lo
	v_cndmask_b32_e32 v22, v22, v29, vcc_lo
	s_delay_alu instid0(VALU_DEP_4) | instskip(SKIP_1) | instid1(VALU_DEP_4)
	v_cndmask_b32_e32 v20, v20, v57, vcc_lo
	v_cmp_eq_u32_e32 vcc_lo, 11, v7
	v_cndmask_b32_e64 v21, v21, v38, s2
	s_delay_alu instid0(VALU_DEP_3) | instskip(NEXT) | instid1(VALU_DEP_1)
	v_cndmask_b32_e64 v20, v20, v58, s2
	v_dual_cndmask_b32 v21, v21, v41 :: v_dual_cndmask_b32 v20, v20, v59
	s_delay_alu instid0(VALU_DEP_1)
	v_cndmask_b32_e64 v20, 0xff800000, v20, s3
	;;#ASMSTART
	v_max_f32 v23, v20, v20 quad_perm:[1,0,3,2] row_mask:0xf bank_mask:0xf bound_ctrl:1
	;;#ASMEND
	;;#ASMSTART
	v_max_f32 v24, v23, v23 quad_perm:[2,3,0,1] row_mask:0xf bank_mask:0xf bound_ctrl:1
	;;#ASMEND
	;;#ASMSTART
	v_max_f32 v23, v24, v24 row_half_mirror row_mask:0xf bank_mask:0xf bound_ctrl:1
	;;#ASMEND
	;;#ASMSTART
	v_max_f32 v24, v23, v23 row_mirror row_mask:0xf bank_mask:0xf bound_ctrl:1
	;;#ASMEND
	v_permlanex16_b32 v23, v24, s9, 0xfedcba98 op_sel:[1,1]
	s_delay_alu instid0(VALU_DEP_1) | instskip(NEXT) | instid1(VALU_DEP_1)
	v_dual_max_f32 v24, v24, v24 :: v_dual_max_f32 v23, v23, v23
	v_max_f32_e32 v23, v24, v23
	v_cndmask_b32_e64 v22, v22, v30, s2
	s_delay_alu instid0(VALU_DEP_2) | instskip(SKIP_1) | instid1(VALU_DEP_2)
	v_cmp_eq_f32_e64 s2, v20, v23
	v_cndmask_b32_e64 v20, 0, v21, s3
	s_ctz_i32_b32 s11, s2
	s_cmp_lg_u32 s2, 0
	s_cselect_b32 s2, s11, 0
	s_add_i32 s10, s10, -1
	v_readlane_b32 s11, v20, s2
	v_cndmask_b32_e32 v20, v22, v31, vcc_lo
	s_delay_alu instid0(VALU_DEP_2)
	v_cmp_eq_u32_e32 vcc_lo, s11, v21
	s_and_b32 s2, s11, 31
	s_and_b32 vcc_lo, s3, vcc_lo
	s_cmp_eq_u32 s10, 0
	v_cndmask_b32_e32 v20, 0, v20, vcc_lo
	v_add_co_ci_u32_e32 v7, vcc_lo, 0, v7, vcc_lo
	s_delay_alu instid0(VALU_DEP_2) | instskip(SKIP_2) | instid1(VALU_DEP_2)
	v_readlane_b32 s3, v20, s2
	v_cmp_eq_u32_e64 s2, 0, v19
	v_add_nc_u32_e32 v19, -1, v19
	v_cndmask_b32_e64 v6, v6, s3, s2
	v_cndmask_b32_e64 v1, v1, s11, s2
	s_cbranch_scc0 .LBB246_137
; %bb.138:
	s_mov_b32 s2, exec_lo
	v_cmpx_gt_i32_e64 s8, v0
	s_cbranch_execz .LBB246_140
.LBB246_139:
	s_clause 0x1
	s_load_b64 s[2:3], s[0:1], 0x20
	s_load_b32 s8, s[0:1], 0x30
	s_ashr_i32 s0, s15, 31
	v_lshlrev_b32_e32 v0, 2, v0
	s_waitcnt lgkmcnt(0)
	s_mul_i32 s1, s15, s3
	s_mul_hi_u32 s3, s15, s2
	s_mul_i32 s0, s0, s2
	s_add_i32 s1, s3, s1
	v_mul_f32_e32 v2, s8, v6
	s_add_i32 s1, s1, s0
	s_mul_i32 s0, s15, s2
	s_delay_alu instid0(SALU_CYCLE_1) | instskip(NEXT) | instid1(SALU_CYCLE_1)
	s_lshl_b64 s[0:1], s[0:1], 2
	s_add_u32 s2, s4, s0
	s_addc_u32 s3, s5, s1
	s_add_u32 s0, s6, s0
	s_addc_u32 s1, s7, s1
	s_clause 0x1
	global_store_b32 v0, v2, s[2:3]
	global_store_b32 v0, v1, s[0:1]
.LBB246_140:
	s_endpgm
.LBB246_141:
	v_dual_mov_b32 v1, 0 :: v_dual_mov_b32 v6, 0
	s_mov_b32 s2, exec_lo
	v_cmpx_gt_i32_e64 s8, v0
	s_cbranch_execnz .LBB246_139
	s_branch .LBB246_140
	.section	.rodata,"a",@progbits
	.p2align	6, 0x0
	.amdhsa_kernel _ZN5aiter24topk_softplus_kernel_optI12hip_bfloat166__halfLi384ELb0ELi1EEEvPKT_PKT0_PfPimiif
		.amdhsa_group_segment_fixed_size 0
		.amdhsa_private_segment_fixed_size 196
		.amdhsa_kernarg_size 52
		.amdhsa_user_sgpr_count 15
		.amdhsa_user_sgpr_dispatch_ptr 0
		.amdhsa_user_sgpr_queue_ptr 0
		.amdhsa_user_sgpr_kernarg_segment_ptr 1
		.amdhsa_user_sgpr_dispatch_id 0
		.amdhsa_user_sgpr_private_segment_size 0
		.amdhsa_wavefront_size32 1
		.amdhsa_uses_dynamic_stack 0
		.amdhsa_enable_private_segment 1
		.amdhsa_system_sgpr_workgroup_id_x 1
		.amdhsa_system_sgpr_workgroup_id_y 0
		.amdhsa_system_sgpr_workgroup_id_z 0
		.amdhsa_system_sgpr_workgroup_info 0
		.amdhsa_system_vgpr_workitem_id 0
		.amdhsa_next_free_vgpr 183
		.amdhsa_next_free_sgpr 16
		.amdhsa_reserve_vcc 1
		.amdhsa_float_round_mode_32 0
		.amdhsa_float_round_mode_16_64 0
		.amdhsa_float_denorm_mode_32 3
		.amdhsa_float_denorm_mode_16_64 3
		.amdhsa_dx10_clamp 1
		.amdhsa_ieee_mode 1
		.amdhsa_fp16_overflow 0
		.amdhsa_workgroup_processor_mode 1
		.amdhsa_memory_ordered 1
		.amdhsa_forward_progress 0
		.amdhsa_shared_vgpr_count 0
		.amdhsa_exception_fp_ieee_invalid_op 0
		.amdhsa_exception_fp_denorm_src 0
		.amdhsa_exception_fp_ieee_div_zero 0
		.amdhsa_exception_fp_ieee_overflow 0
		.amdhsa_exception_fp_ieee_underflow 0
		.amdhsa_exception_fp_ieee_inexact 0
		.amdhsa_exception_int_div_zero 0
	.end_amdhsa_kernel
	.section	.text._ZN5aiter24topk_softplus_kernel_optI12hip_bfloat166__halfLi384ELb0ELi1EEEvPKT_PKT0_PfPimiif,"axG",@progbits,_ZN5aiter24topk_softplus_kernel_optI12hip_bfloat166__halfLi384ELb0ELi1EEEvPKT_PKT0_PfPimiif,comdat
.Lfunc_end246:
	.size	_ZN5aiter24topk_softplus_kernel_optI12hip_bfloat166__halfLi384ELb0ELi1EEEvPKT_PKT0_PfPimiif, .Lfunc_end246-_ZN5aiter24topk_softplus_kernel_optI12hip_bfloat166__halfLi384ELb0ELi1EEEvPKT_PKT0_PfPimiif
                                        ; -- End function
	.section	.AMDGPU.csdata,"",@progbits
; Kernel info:
; codeLenInByte = 27972
; NumSgprs: 18
; NumVgprs: 183
; ScratchSize: 196
; MemoryBound: 0
; FloatMode: 240
; IeeeMode: 1
; LDSByteSize: 0 bytes/workgroup (compile time only)
; SGPRBlocks: 2
; VGPRBlocks: 22
; NumSGPRsForWavesPerEU: 18
; NumVGPRsForWavesPerEU: 183
; Occupancy: 8
; WaveLimiterHint : 0
; COMPUTE_PGM_RSRC2:SCRATCH_EN: 1
; COMPUTE_PGM_RSRC2:USER_SGPR: 15
; COMPUTE_PGM_RSRC2:TRAP_HANDLER: 0
; COMPUTE_PGM_RSRC2:TGID_X_EN: 1
; COMPUTE_PGM_RSRC2:TGID_Y_EN: 0
; COMPUTE_PGM_RSRC2:TGID_Z_EN: 0
; COMPUTE_PGM_RSRC2:TIDIG_COMP_CNT: 0
	.section	.text._ZN5aiter20topk_softplus_kernelI12hip_bfloat166__halfDv4_fLb1ELi1EEEvPKT_PKT0_PfPimiiif,"axG",@progbits,_ZN5aiter20topk_softplus_kernelI12hip_bfloat166__halfDv4_fLb1ELi1EEEvPKT_PKT0_PfPimiiif,comdat
	.protected	_ZN5aiter20topk_softplus_kernelI12hip_bfloat166__halfDv4_fLb1ELi1EEEvPKT_PKT0_PfPimiiif ; -- Begin function _ZN5aiter20topk_softplus_kernelI12hip_bfloat166__halfDv4_fLb1ELi1EEEvPKT_PKT0_PfPimiiif
	.globl	_ZN5aiter20topk_softplus_kernelI12hip_bfloat166__halfDv4_fLb1ELi1EEEvPKT_PKT0_PfPimiiif
	.p2align	8
	.type	_ZN5aiter20topk_softplus_kernelI12hip_bfloat166__halfDv4_fLb1ELi1EEEvPKT_PKT0_PfPimiiif,@function
_ZN5aiter20topk_softplus_kernelI12hip_bfloat166__halfDv4_fLb1ELi1EEEvPKT_PKT0_PfPimiiif: ; @_ZN5aiter20topk_softplus_kernelI12hip_bfloat166__halfDv4_fLb1ELi1EEEvPKT_PKT0_PfPimiiif
; %bb.0:
	s_clause 0x1
	s_load_b64 s[12:13], s[0:1], 0x28
	s_load_b256 s[4:11], s[0:1], 0x0
	v_lshlrev_b32_e32 v11, 2, v0
	v_lshl_add_u32 v12, v0, 4, 0
	s_waitcnt lgkmcnt(0)
	s_ashr_i32 s2, s12, 31
	s_mul_i32 s16, s15, s12
	s_lshr_b32 s2, s2, 30
	s_ashr_i32 s17, s16, 31
	s_add_i32 s2, s12, s2
	s_delay_alu instid0(SALU_CYCLE_1) | instskip(NEXT) | instid1(SALU_CYCLE_1)
	s_ashr_i32 s14, s2, 2
	v_cmp_gt_i32_e64 s2, s14, v0
	s_delay_alu instid0(VALU_DEP_1)
	s_and_saveexec_b32 s18, s2
	s_cbranch_execz .LBB247_11
; %bb.1:
	s_load_b32 s3, s[0:1], 0x44
	s_cmp_lg_u64 s[6:7], 0
	v_dual_mov_b32 v6, 0 :: v_dual_lshlrev_b32 v1, 3, v0
	s_cselect_b32 s20, -1, 0
	v_dual_mov_b32 v14, v0 :: v_dual_lshlrev_b32 v5, 2, v0
	v_lshl_add_u32 v13, v0, 4, 0
	s_mov_b32 s19, 0
	s_waitcnt lgkmcnt(0)
	s_and_b32 s21, s3, 0xffff
	s_add_u32 s22, s6, 2
	s_addc_u32 s23, s7, 0
	s_add_u32 s24, s6, 4
	s_addc_u32 s25, s7, 0
	s_add_u32 s26, s6, 6
	s_addc_u32 s27, s7, 0
	s_lshl_b64 s[28:29], s[16:17], 1
	s_delay_alu instid0(SALU_CYCLE_1) | instskip(SKIP_2) | instid1(VALU_DEP_1)
	s_add_u32 s3, s4, s28
	s_addc_u32 s28, s5, s29
	v_add_co_u32 v7, s3, s3, v1
	v_add_co_ci_u32_e64 v8, null, s28, 0, s3
	s_lshl_b32 s28, s21, 3
	s_lshl_b32 s29, s21, 2
	;; [unrolled: 1-line block ×3, first 2 shown]
	s_branch .LBB247_3
.LBB247_2:                              ;   in Loop: Header=BB247_3 Depth=1
	v_add_nc_u32_e32 v14, s21, v14
	v_add_co_u32 v7, s3, v7, s28
	ds_store_b128 v13, v[1:4]
	v_add_co_ci_u32_e64 v8, s3, 0, v8, s3
	v_cmp_le_i32_e32 vcc_lo, s14, v14
	v_add_nc_u32_e32 v5, s29, v5
	v_add_nc_u32_e32 v13, s30, v13
	s_or_b32 s19, vcc_lo, s19
	s_delay_alu instid0(SALU_CYCLE_1)
	s_and_not1_b32 exec_lo, exec_lo, s19
	s_cbranch_execz .LBB247_11
.LBB247_3:                              ; =>This Inner Loop Header: Depth=1
	global_load_b64 v[3:4], v[7:8], off
	v_lshlrev_b64 v[9:10], 1, v[5:6]
	s_waitcnt vmcnt(0)
	v_and_b32_e32 v1, 0xffff, v3
	s_delay_alu instid0(VALU_DEP_1) | instskip(NEXT) | instid1(VALU_DEP_1)
	v_cvt_f32_u32_e32 v1, v1
	v_mul_f32_e32 v2, 0xbfb8aa3b, v1
	s_delay_alu instid0(VALU_DEP_1) | instskip(SKIP_1) | instid1(VALU_DEP_1)
	v_cmp_gt_f32_e32 vcc_lo, 0xc2fc0000, v2
	v_cndmask_b32_e64 v2, 0, 0x42800000, vcc_lo
	v_fmac_f32_e32 v2, 0xbfb8aa3b, v1
	s_delay_alu instid0(VALU_DEP_1) | instskip(SKIP_4) | instid1(VALU_DEP_1)
	v_exp_f32_e32 v1, v2
	v_cndmask_b32_e64 v2, 1.0, 0x1f800000, vcc_lo
	s_and_not1_b32 vcc_lo, exec_lo, s20
	s_waitcnt_depctr 0xfff
	v_fma_f32 v1, v1, v2, 1.0
	v_rcp_f32_e32 v1, v1
	s_cbranch_vccnz .LBB247_5
; %bb.4:                                ;   in Loop: Header=BB247_3 Depth=1
	v_add_co_u32 v15, vcc_lo, s6, v9
	v_add_co_ci_u32_e32 v16, vcc_lo, s7, v10, vcc_lo
	global_load_u16 v2, v[15:16], off
	s_waitcnt vmcnt(0)
	v_cvt_f32_f16_e32 v2, v2
	s_delay_alu instid0(VALU_DEP_1)
	v_add_f32_e32 v1, v1, v2
.LBB247_5:                              ;   in Loop: Header=BB247_3 Depth=1
	v_lshrrev_b32_e32 v2, 16, v3
	s_delay_alu instid0(VALU_DEP_1) | instskip(NEXT) | instid1(VALU_DEP_1)
	v_cvt_f32_u32_e32 v2, v2
	v_mul_f32_e32 v3, 0xbfb8aa3b, v2
	s_delay_alu instid0(VALU_DEP_1) | instskip(SKIP_1) | instid1(VALU_DEP_1)
	v_cmp_gt_f32_e32 vcc_lo, 0xc2fc0000, v3
	v_cndmask_b32_e64 v3, 0, 0x42800000, vcc_lo
	v_fmac_f32_e32 v3, 0xbfb8aa3b, v2
	s_delay_alu instid0(VALU_DEP_1) | instskip(SKIP_4) | instid1(VALU_DEP_1)
	v_exp_f32_e32 v2, v3
	v_cndmask_b32_e64 v3, 1.0, 0x1f800000, vcc_lo
	s_and_not1_b32 vcc_lo, exec_lo, s20
	s_waitcnt_depctr 0xfff
	v_fma_f32 v2, v2, v3, 1.0
	v_rcp_f32_e32 v2, v2
	s_cbranch_vccnz .LBB247_7
; %bb.6:                                ;   in Loop: Header=BB247_3 Depth=1
	v_add_co_u32 v15, vcc_lo, s22, v9
	v_add_co_ci_u32_e32 v16, vcc_lo, s23, v10, vcc_lo
	global_load_u16 v3, v[15:16], off
	s_waitcnt vmcnt(0)
	v_cvt_f32_f16_e32 v3, v3
	s_delay_alu instid0(VALU_DEP_1)
	v_add_f32_e32 v2, v2, v3
.LBB247_7:                              ;   in Loop: Header=BB247_3 Depth=1
	v_and_b32_e32 v3, 0xffff, v4
	s_delay_alu instid0(VALU_DEP_1) | instskip(NEXT) | instid1(VALU_DEP_1)
	v_cvt_f32_u32_e32 v3, v3
	v_mul_f32_e32 v15, 0xbfb8aa3b, v3
	s_delay_alu instid0(VALU_DEP_1) | instskip(SKIP_1) | instid1(VALU_DEP_1)
	v_cmp_gt_f32_e32 vcc_lo, 0xc2fc0000, v15
	v_cndmask_b32_e64 v15, 0, 0x42800000, vcc_lo
	v_fmac_f32_e32 v15, 0xbfb8aa3b, v3
	s_delay_alu instid0(VALU_DEP_1) | instskip(SKIP_4) | instid1(VALU_DEP_1)
	v_exp_f32_e32 v3, v15
	v_cndmask_b32_e64 v15, 1.0, 0x1f800000, vcc_lo
	s_and_not1_b32 vcc_lo, exec_lo, s20
	s_waitcnt_depctr 0xfff
	v_fma_f32 v3, v3, v15, 1.0
	v_rcp_f32_e32 v3, v3
	s_cbranch_vccnz .LBB247_9
; %bb.8:                                ;   in Loop: Header=BB247_3 Depth=1
	v_add_co_u32 v15, vcc_lo, s24, v9
	v_add_co_ci_u32_e32 v16, vcc_lo, s25, v10, vcc_lo
	global_load_u16 v15, v[15:16], off
	s_waitcnt vmcnt(0)
	v_cvt_f32_f16_e32 v15, v15
	s_delay_alu instid0(VALU_DEP_1)
	v_add_f32_e32 v3, v3, v15
.LBB247_9:                              ;   in Loop: Header=BB247_3 Depth=1
	v_lshrrev_b32_e32 v4, 16, v4
	s_delay_alu instid0(VALU_DEP_1) | instskip(NEXT) | instid1(VALU_DEP_1)
	v_cvt_f32_u32_e32 v4, v4
	v_mul_f32_e32 v15, 0xbfb8aa3b, v4
	s_delay_alu instid0(VALU_DEP_1) | instskip(SKIP_1) | instid1(VALU_DEP_1)
	v_cmp_gt_f32_e32 vcc_lo, 0xc2fc0000, v15
	v_cndmask_b32_e64 v15, 0, 0x42800000, vcc_lo
	v_fmac_f32_e32 v15, 0xbfb8aa3b, v4
	s_delay_alu instid0(VALU_DEP_1) | instskip(SKIP_4) | instid1(VALU_DEP_1)
	v_exp_f32_e32 v4, v15
	v_cndmask_b32_e64 v15, 1.0, 0x1f800000, vcc_lo
	s_and_not1_b32 vcc_lo, exec_lo, s20
	s_waitcnt_depctr 0xfff
	v_fma_f32 v4, v4, v15, 1.0
	v_rcp_f32_e32 v4, v4
	s_cbranch_vccnz .LBB247_2
; %bb.10:                               ;   in Loop: Header=BB247_3 Depth=1
	v_add_co_u32 v9, vcc_lo, s26, v9
	v_add_co_ci_u32_e32 v10, vcc_lo, s27, v10, vcc_lo
	global_load_u16 v9, v[9:10], off
	s_waitcnt vmcnt(0)
	v_cvt_f32_f16_e32 v9, v9
	s_delay_alu instid0(VALU_DEP_1)
	v_add_f32_e32 v4, v4, v9
	s_branch .LBB247_2
.LBB247_11:
	s_or_b32 exec_lo, exec_lo, s18
	v_lshl_add_u32 v1, s14, 2, v0
	s_mov_b32 s3, exec_lo
	s_delay_alu instid0(VALU_DEP_1)
	v_cmpx_gt_i32_e64 s12, v1
	s_cbranch_execz .LBB247_16
; %bb.12:
	s_load_b32 s18, s[0:1], 0x44
	s_lshl_b64 s[16:17], s[16:17], 1
	v_lshlrev_b32_e32 v2, 2, v0
	s_add_u32 s4, s4, s16
	s_addc_u32 s5, s5, s17
	s_cmp_lg_u64 s[6:7], 0
	s_cselect_b32 s16, -1, 0
	s_lshl_b32 s17, s14, 4
	s_delay_alu instid0(SALU_CYCLE_1)
	v_add3_u32 v4, 0, s17, v2
	s_waitcnt lgkmcnt(0)
	s_and_b32 s17, s18, 0xffff
	s_mov_b32 s18, 0
	s_lshl_b32 s19, s17, 2
	s_set_inst_prefetch_distance 0x1
	s_branch .LBB247_14
	.p2align	6
.LBB247_13:                             ;   in Loop: Header=BB247_14 Depth=1
	v_add_nc_u32_e32 v1, s17, v1
	v_add_nc_u32_e32 v4, s19, v4
	s_delay_alu instid0(VALU_DEP_2) | instskip(SKIP_1) | instid1(SALU_CYCLE_1)
	v_cmp_le_i32_e32 vcc_lo, s12, v1
	s_or_b32 s18, vcc_lo, s18
	s_and_not1_b32 exec_lo, exec_lo, s18
	s_cbranch_execz .LBB247_16
.LBB247_14:                             ; =>This Inner Loop Header: Depth=1
	v_ashrrev_i32_e32 v2, 31, v1
	s_delay_alu instid0(VALU_DEP_1) | instskip(NEXT) | instid1(VALU_DEP_1)
	v_lshlrev_b64 v[2:3], 1, v[1:2]
	v_add_co_u32 v5, vcc_lo, s4, v2
	s_delay_alu instid0(VALU_DEP_2) | instskip(SKIP_3) | instid1(VALU_DEP_1)
	v_add_co_ci_u32_e32 v6, vcc_lo, s5, v3, vcc_lo
	global_load_u16 v5, v[5:6], off
	s_waitcnt vmcnt(0)
	v_lshlrev_b32_e32 v5, 16, v5
	v_mul_f32_e32 v6, 0xbfb8aa3b, v5
	s_delay_alu instid0(VALU_DEP_1) | instskip(SKIP_1) | instid1(VALU_DEP_1)
	v_cmp_gt_f32_e32 vcc_lo, 0xc2fc0000, v6
	v_cndmask_b32_e64 v6, 0, 0x42800000, vcc_lo
	v_fmac_f32_e32 v6, 0xbfb8aa3b, v5
	s_delay_alu instid0(VALU_DEP_1) | instskip(SKIP_4) | instid1(VALU_DEP_1)
	v_exp_f32_e32 v5, v6
	v_cndmask_b32_e64 v6, 1.0, 0x1f800000, vcc_lo
	s_and_not1_b32 vcc_lo, exec_lo, s16
	s_waitcnt_depctr 0xfff
	v_fma_f32 v5, v5, v6, 1.0
	v_rcp_f32_e32 v5, v5
	ds_store_b32 v4, v5
	s_cbranch_vccnz .LBB247_13
; %bb.15:                               ;   in Loop: Header=BB247_14 Depth=1
	v_add_co_u32 v2, vcc_lo, s6, v2
	v_add_co_ci_u32_e32 v3, vcc_lo, s7, v3, vcc_lo
	global_load_u16 v2, v[2:3], off
	s_waitcnt vmcnt(0)
	v_cvt_f32_f16_e32 v2, v2
	s_delay_alu instid0(VALU_DEP_1)
	v_add_f32_e32 v2, v5, v2
	ds_store_b32 v4, v2
	s_branch .LBB247_13
.LBB247_16:
	s_set_inst_prefetch_distance 0x2
	s_or_b32 exec_lo, exec_lo, s3
	v_mov_b32_e32 v2, 0
	s_cmp_lt_i32 s13, 1
	s_waitcnt lgkmcnt(0)
	s_barrier
	buffer_gl0_inv
	s_cbranch_scc1 .LBB247_25
; %bb.17:
	s_add_u32 s4, s0, 56
	s_addc_u32 s5, s1, 0
	v_dual_mov_b32 v2, 0 :: v_dual_mov_b32 v5, 0xff800000
	v_dual_mov_b32 v4, 0 :: v_dual_mov_b32 v1, 0
	v_mov_b32_e32 v3, 0
	s_cmp_lg_u64 s[6:7], 0
	s_mov_b32 s18, 0
	s_cselect_b32 s12, -1, 0
	s_mov_b32 s19, 0x76543210
	s_branch .LBB247_19
.LBB247_18:                             ;   in Loop: Header=BB247_19 Depth=1
	v_cmp_eq_u32_e32 vcc_lo, s18, v0
	s_delay_alu instid0(VALU_DEP_2)
	s_lshl_b32 s3, s16, 2
	s_add_i32 s18, s18, 1
	s_add_i32 s3, s3, 0
	v_add_f32_e32 v3, v3, v8
	v_cndmask_b32_e64 v1, v1, s16, vcc_lo
	v_mov_b32_e32 v6, s3
	v_cndmask_b32_e32 v2, v2, v8, vcc_lo
	s_cmp_eq_u32 s18, s13
	ds_store_b32 v6, v5
	s_cbranch_scc1 .LBB247_26
.LBB247_19:                             ; =>This Loop Header: Depth=1
                                        ;     Child Loop BB247_21 Depth 2
	v_dual_mov_b32 v6, s18 :: v_dual_mov_b32 v7, 0xff800000
	s_and_saveexec_b32 s16, s2
	s_cbranch_execz .LBB247_23
; %bb.20:                               ;   in Loop: Header=BB247_19 Depth=1
	s_load_b32 s3, s[4:5], 0xc
	v_dual_mov_b32 v6, s18 :: v_dual_mov_b32 v7, 0xff800000
	v_dual_mov_b32 v8, v12 :: v_dual_mov_b32 v9, v11
	v_mov_b32_e32 v10, v0
	s_mov_b32 s21, 0
	s_waitcnt lgkmcnt(0)
	s_and_b32 s17, s3, 0xffff
	s_delay_alu instid0(SALU_CYCLE_1)
	s_lshl_b32 s20, s17, 2
	s_lshl_b32 s22, s17, 4
	.p2align	6
.LBB247_21:                             ;   Parent Loop BB247_19 Depth=1
                                        ; =>  This Inner Loop Header: Depth=2
	ds_load_b128 v[13:16], v8
	v_add_nc_u32_e32 v8, s22, v8
	v_add_nc_u32_e32 v10, s17, v10
	s_delay_alu instid0(VALU_DEP_1) | instskip(NEXT) | instid1(VALU_DEP_1)
	v_cmp_le_i32_e64 s3, s14, v10
	s_or_b32 s21, s3, s21
	s_waitcnt lgkmcnt(0)
	v_cmp_gt_f32_e32 vcc_lo, v13, v7
	v_cndmask_b32_e32 v7, v7, v13, vcc_lo
	v_cndmask_b32_e32 v6, v6, v9, vcc_lo
	s_delay_alu instid0(VALU_DEP_2) | instskip(SKIP_2) | instid1(VALU_DEP_1)
	v_cmp_gt_f32_e32 vcc_lo, v14, v7
	v_dual_cndmask_b32 v7, v7, v14 :: v_dual_add_nc_u32 v14, 2, v9
	v_add_nc_u32_e32 v13, 1, v9
	v_cndmask_b32_e32 v6, v6, v13, vcc_lo
	s_delay_alu instid0(VALU_DEP_3) | instskip(SKIP_2) | instid1(VALU_DEP_4)
	v_cmp_gt_f32_e32 vcc_lo, v15, v7
	v_add_nc_u32_e32 v13, 3, v9
	v_add_nc_u32_e32 v9, s20, v9
	v_dual_cndmask_b32 v7, v7, v15 :: v_dual_cndmask_b32 v6, v6, v14
	s_delay_alu instid0(VALU_DEP_1) | instskip(NEXT) | instid1(VALU_DEP_2)
	v_cmp_gt_f32_e32 vcc_lo, v16, v7
	v_dual_cndmask_b32 v7, v7, v16 :: v_dual_cndmask_b32 v6, v6, v13
	s_and_not1_b32 exec_lo, exec_lo, s21
	s_cbranch_execnz .LBB247_21
; %bb.22:                               ;   in Loop: Header=BB247_19 Depth=1
	s_or_b32 exec_lo, exec_lo, s21
.LBB247_23:                             ;   in Loop: Header=BB247_19 Depth=1
	s_delay_alu instid0(SALU_CYCLE_1)
	s_or_b32 exec_lo, exec_lo, s16
	;;#ASMSTART
	v_max_f32 v8, v7, v7 quad_perm:[1,0,3,2] row_mask:0xf bank_mask:0xf bound_ctrl:1
	;;#ASMEND
	;;#ASMSTART
	v_max_f32 v9, v8, v8 quad_perm:[2,3,0,1] row_mask:0xf bank_mask:0xf bound_ctrl:1
	;;#ASMEND
	;;#ASMSTART
	v_max_f32 v8, v9, v9 row_half_mirror row_mask:0xf bank_mask:0xf bound_ctrl:1
	;;#ASMEND
	;;#ASMSTART
	v_max_f32 v9, v8, v8 row_mirror row_mask:0xf bank_mask:0xf bound_ctrl:1
	;;#ASMEND
	v_permlanex16_b32 v8, v9, s19, 0xfedcba98 op_sel:[1,1]
	s_delay_alu instid0(VALU_DEP_1) | instskip(NEXT) | instid1(VALU_DEP_1)
	v_dual_max_f32 v9, v9, v9 :: v_dual_max_f32 v8, v8, v8
	v_max_f32_e32 v8, v9, v8
	s_delay_alu instid0(VALU_DEP_1)
	v_cmp_eq_f32_e32 vcc_lo, v7, v8
	s_ctz_i32_b32 s3, vcc_lo
	s_cmp_lg_u32 vcc_lo, 0
	s_cselect_b32 s3, s3, 0
	s_and_b32 vcc_lo, exec_lo, s12
	v_readlane_b32 s16, v6, s3
	s_cbranch_vccz .LBB247_18
; %bb.24:                               ;   in Loop: Header=BB247_19 Depth=1
	s_delay_alu instid0(VALU_DEP_1) | instskip(NEXT) | instid1(SALU_CYCLE_1)
	s_ashr_i32 s17, s16, 31
	s_lshl_b64 s[20:21], s[16:17], 1
	s_delay_alu instid0(SALU_CYCLE_1) | instskip(SKIP_4) | instid1(VALU_DEP_1)
	s_add_u32 s20, s6, s20
	s_addc_u32 s21, s7, s21
	global_load_u16 v6, v4, s[20:21]
	s_waitcnt vmcnt(0)
	v_cvt_f32_f16_e32 v6, v6
	v_sub_f32_e32 v8, v8, v6
	s_branch .LBB247_18
.LBB247_25:
	v_mov_b32_e32 v1, 0
	v_mov_b32_e32 v3, 0
.LBB247_26:
	s_mov_b32 s2, exec_lo
	v_cmpx_gt_i32_e64 s13, v0
	s_cbranch_execz .LBB247_29
; %bb.27:
	s_clause 0x1
	s_load_b32 s2, s[0:1], 0x34
	s_load_b32 s3, s[0:1], 0x44
	v_max_f32_e32 v3, v3, v3
	s_load_b64 s[0:1], s[0:1], 0x20
	s_ashr_i32 s4, s15, 31
	s_delay_alu instid0(VALU_DEP_1) | instskip(SKIP_1) | instid1(VALU_DEP_1)
	v_max_f32_e32 v3, 0x1e3ce508, v3
	s_waitcnt lgkmcnt(0)
	v_div_scale_f32 v4, null, v3, v3, s2
	v_div_scale_f32 v7, vcc_lo, s2, v3, s2
	s_mul_i32 s1, s15, s1
	s_delay_alu instid0(VALU_DEP_2) | instskip(SKIP_4) | instid1(VALU_DEP_1)
	v_rcp_f32_e32 v5, v4
	s_mul_i32 s4, s4, s0
	s_and_b32 s3, s3, 0xffff
	s_waitcnt_depctr 0xfff
	v_fma_f32 v6, -v4, v5, 1.0
	v_fmac_f32_e32 v5, v6, v5
	s_delay_alu instid0(VALU_DEP_1) | instskip(NEXT) | instid1(VALU_DEP_1)
	v_mul_f32_e32 v6, v7, v5
	v_fma_f32 v8, -v4, v6, v7
	s_delay_alu instid0(VALU_DEP_1) | instskip(NEXT) | instid1(VALU_DEP_1)
	v_fmac_f32_e32 v6, v8, v5
	v_fma_f32 v4, -v4, v6, v7
	s_delay_alu instid0(VALU_DEP_1) | instskip(NEXT) | instid1(VALU_DEP_1)
	v_div_fmas_f32 v4, v4, v5, v6
	v_div_fixup_f32 v3, v4, v3, s2
	s_mul_hi_u32 s2, s15, s0
	s_delay_alu instid0(SALU_CYCLE_1) | instskip(SKIP_1) | instid1(VALU_DEP_1)
	s_add_i32 s1, s2, s1
	s_mul_i32 s2, s15, s0
	v_mul_f32_e32 v2, v2, v3
	s_add_i32 s1, s1, s4
	s_mov_b32 s4, 0
	.p2align	6
.LBB247_28:                             ; =>This Inner Loop Header: Depth=1
	v_ashrrev_i32_e32 v4, 31, v0
	v_add_co_u32 v3, vcc_lo, s2, v0
	v_add_nc_u32_e32 v0, s3, v0
	s_delay_alu instid0(VALU_DEP_3) | instskip(NEXT) | instid1(VALU_DEP_2)
	v_add_co_ci_u32_e32 v4, vcc_lo, s1, v4, vcc_lo
	v_cmp_le_i32_e32 vcc_lo, s13, v0
	s_delay_alu instid0(VALU_DEP_2) | instskip(SKIP_1) | instid1(VALU_DEP_1)
	v_lshlrev_b64 v[3:4], 2, v[3:4]
	s_or_b32 s4, vcc_lo, s4
	v_add_co_u32 v5, s0, s8, v3
	s_delay_alu instid0(VALU_DEP_1) | instskip(SKIP_1) | instid1(VALU_DEP_1)
	v_add_co_ci_u32_e64 v6, s0, s9, v4, s0
	v_add_co_u32 v3, s0, s10, v3
	v_add_co_ci_u32_e64 v4, s0, s11, v4, s0
	global_store_b32 v[5:6], v2, off
	global_store_b32 v[3:4], v1, off
	s_and_not1_b32 exec_lo, exec_lo, s4
	s_cbranch_execnz .LBB247_28
.LBB247_29:
	s_nop 0
	s_sendmsg sendmsg(MSG_DEALLOC_VGPRS)
	s_endpgm
	.section	.rodata,"a",@progbits
	.p2align	6, 0x0
	.amdhsa_kernel _ZN5aiter20topk_softplus_kernelI12hip_bfloat166__halfDv4_fLb1ELi1EEEvPKT_PKT0_PfPimiiif
		.amdhsa_group_segment_fixed_size 0
		.amdhsa_private_segment_fixed_size 0
		.amdhsa_kernarg_size 312
		.amdhsa_user_sgpr_count 15
		.amdhsa_user_sgpr_dispatch_ptr 0
		.amdhsa_user_sgpr_queue_ptr 0
		.amdhsa_user_sgpr_kernarg_segment_ptr 1
		.amdhsa_user_sgpr_dispatch_id 0
		.amdhsa_user_sgpr_private_segment_size 0
		.amdhsa_wavefront_size32 1
		.amdhsa_uses_dynamic_stack 0
		.amdhsa_enable_private_segment 0
		.amdhsa_system_sgpr_workgroup_id_x 1
		.amdhsa_system_sgpr_workgroup_id_y 0
		.amdhsa_system_sgpr_workgroup_id_z 0
		.amdhsa_system_sgpr_workgroup_info 0
		.amdhsa_system_vgpr_workitem_id 0
		.amdhsa_next_free_vgpr 17
		.amdhsa_next_free_sgpr 31
		.amdhsa_reserve_vcc 1
		.amdhsa_float_round_mode_32 0
		.amdhsa_float_round_mode_16_64 0
		.amdhsa_float_denorm_mode_32 3
		.amdhsa_float_denorm_mode_16_64 3
		.amdhsa_dx10_clamp 1
		.amdhsa_ieee_mode 1
		.amdhsa_fp16_overflow 0
		.amdhsa_workgroup_processor_mode 1
		.amdhsa_memory_ordered 1
		.amdhsa_forward_progress 0
		.amdhsa_shared_vgpr_count 0
		.amdhsa_exception_fp_ieee_invalid_op 0
		.amdhsa_exception_fp_denorm_src 0
		.amdhsa_exception_fp_ieee_div_zero 0
		.amdhsa_exception_fp_ieee_overflow 0
		.amdhsa_exception_fp_ieee_underflow 0
		.amdhsa_exception_fp_ieee_inexact 0
		.amdhsa_exception_int_div_zero 0
	.end_amdhsa_kernel
	.section	.text._ZN5aiter20topk_softplus_kernelI12hip_bfloat166__halfDv4_fLb1ELi1EEEvPKT_PKT0_PfPimiiif,"axG",@progbits,_ZN5aiter20topk_softplus_kernelI12hip_bfloat166__halfDv4_fLb1ELi1EEEvPKT_PKT0_PfPimiiif,comdat
.Lfunc_end247:
	.size	_ZN5aiter20topk_softplus_kernelI12hip_bfloat166__halfDv4_fLb1ELi1EEEvPKT_PKT0_PfPimiiif, .Lfunc_end247-_ZN5aiter20topk_softplus_kernelI12hip_bfloat166__halfDv4_fLb1ELi1EEEvPKT_PKT0_PfPimiiif
                                        ; -- End function
	.section	.AMDGPU.csdata,"",@progbits
; Kernel info:
; codeLenInByte = 2032
; NumSgprs: 33
; NumVgprs: 17
; ScratchSize: 0
; MemoryBound: 0
; FloatMode: 240
; IeeeMode: 1
; LDSByteSize: 0 bytes/workgroup (compile time only)
; SGPRBlocks: 4
; VGPRBlocks: 2
; NumSGPRsForWavesPerEU: 33
; NumVGPRsForWavesPerEU: 17
; Occupancy: 16
; WaveLimiterHint : 0
; COMPUTE_PGM_RSRC2:SCRATCH_EN: 0
; COMPUTE_PGM_RSRC2:USER_SGPR: 15
; COMPUTE_PGM_RSRC2:TRAP_HANDLER: 0
; COMPUTE_PGM_RSRC2:TGID_X_EN: 1
; COMPUTE_PGM_RSRC2:TGID_Y_EN: 0
; COMPUTE_PGM_RSRC2:TGID_Z_EN: 0
; COMPUTE_PGM_RSRC2:TIDIG_COMP_CNT: 0
	.section	.text._ZN5aiter20topk_softplus_kernelI12hip_bfloat166__halfDv4_fLb0ELi1EEEvPKT_PKT0_PfPimiiif,"axG",@progbits,_ZN5aiter20topk_softplus_kernelI12hip_bfloat166__halfDv4_fLb0ELi1EEEvPKT_PKT0_PfPimiiif,comdat
	.protected	_ZN5aiter20topk_softplus_kernelI12hip_bfloat166__halfDv4_fLb0ELi1EEEvPKT_PKT0_PfPimiiif ; -- Begin function _ZN5aiter20topk_softplus_kernelI12hip_bfloat166__halfDv4_fLb0ELi1EEEvPKT_PKT0_PfPimiiif
	.globl	_ZN5aiter20topk_softplus_kernelI12hip_bfloat166__halfDv4_fLb0ELi1EEEvPKT_PKT0_PfPimiiif
	.p2align	8
	.type	_ZN5aiter20topk_softplus_kernelI12hip_bfloat166__halfDv4_fLb0ELi1EEEvPKT_PKT0_PfPimiiif,@function
_ZN5aiter20topk_softplus_kernelI12hip_bfloat166__halfDv4_fLb0ELi1EEEvPKT_PKT0_PfPimiiif: ; @_ZN5aiter20topk_softplus_kernelI12hip_bfloat166__halfDv4_fLb0ELi1EEEvPKT_PKT0_PfPimiiif
; %bb.0:
	s_clause 0x1
	s_load_b64 s[12:13], s[0:1], 0x28
	s_load_b256 s[4:11], s[0:1], 0x0
	v_lshlrev_b32_e32 v11, 2, v0
	v_lshl_add_u32 v12, v0, 4, 0
	s_waitcnt lgkmcnt(0)
	s_ashr_i32 s2, s12, 31
	s_mul_i32 s16, s15, s12
	s_lshr_b32 s2, s2, 30
	s_ashr_i32 s17, s16, 31
	s_add_i32 s2, s12, s2
	s_delay_alu instid0(SALU_CYCLE_1) | instskip(NEXT) | instid1(SALU_CYCLE_1)
	s_ashr_i32 s14, s2, 2
	v_cmp_gt_i32_e64 s2, s14, v0
	s_delay_alu instid0(VALU_DEP_1)
	s_and_saveexec_b32 s18, s2
	s_cbranch_execz .LBB248_11
; %bb.1:
	s_load_b32 s3, s[0:1], 0x44
	s_cmp_lg_u64 s[6:7], 0
	v_dual_mov_b32 v6, 0 :: v_dual_lshlrev_b32 v1, 3, v0
	s_cselect_b32 s20, -1, 0
	v_dual_mov_b32 v14, v0 :: v_dual_lshlrev_b32 v5, 2, v0
	v_lshl_add_u32 v13, v0, 4, 0
	s_mov_b32 s19, 0
	s_waitcnt lgkmcnt(0)
	s_and_b32 s21, s3, 0xffff
	s_add_u32 s22, s6, 2
	s_addc_u32 s23, s7, 0
	s_add_u32 s24, s6, 4
	s_addc_u32 s25, s7, 0
	;; [unrolled: 2-line block ×3, first 2 shown]
	s_lshl_b64 s[28:29], s[16:17], 1
	s_delay_alu instid0(SALU_CYCLE_1) | instskip(SKIP_2) | instid1(VALU_DEP_1)
	s_add_u32 s3, s4, s28
	s_addc_u32 s28, s5, s29
	v_add_co_u32 v7, s3, s3, v1
	v_add_co_ci_u32_e64 v8, null, s28, 0, s3
	s_lshl_b32 s28, s21, 3
	s_lshl_b32 s29, s21, 2
	s_lshl_b32 s30, s21, 4
	s_branch .LBB248_3
.LBB248_2:                              ;   in Loop: Header=BB248_3 Depth=1
	v_add_nc_u32_e32 v14, s21, v14
	v_add_co_u32 v7, s3, v7, s28
	ds_store_b128 v13, v[1:4]
	v_add_co_ci_u32_e64 v8, s3, 0, v8, s3
	v_cmp_le_i32_e32 vcc_lo, s14, v14
	v_add_nc_u32_e32 v5, s29, v5
	v_add_nc_u32_e32 v13, s30, v13
	s_or_b32 s19, vcc_lo, s19
	s_delay_alu instid0(SALU_CYCLE_1)
	s_and_not1_b32 exec_lo, exec_lo, s19
	s_cbranch_execz .LBB248_11
.LBB248_3:                              ; =>This Inner Loop Header: Depth=1
	global_load_b64 v[3:4], v[7:8], off
	v_lshlrev_b64 v[9:10], 1, v[5:6]
	s_waitcnt vmcnt(0)
	v_and_b32_e32 v1, 0xffff, v3
	s_delay_alu instid0(VALU_DEP_1) | instskip(NEXT) | instid1(VALU_DEP_1)
	v_cvt_f32_u32_e32 v1, v1
	v_mul_f32_e32 v2, 0xbfb8aa3b, v1
	s_delay_alu instid0(VALU_DEP_1) | instskip(SKIP_1) | instid1(VALU_DEP_1)
	v_cmp_gt_f32_e32 vcc_lo, 0xc2fc0000, v2
	v_cndmask_b32_e64 v2, 0, 0x42800000, vcc_lo
	v_fmac_f32_e32 v2, 0xbfb8aa3b, v1
	s_delay_alu instid0(VALU_DEP_1) | instskip(SKIP_4) | instid1(VALU_DEP_1)
	v_exp_f32_e32 v1, v2
	v_cndmask_b32_e64 v2, 1.0, 0x1f800000, vcc_lo
	s_and_not1_b32 vcc_lo, exec_lo, s20
	s_waitcnt_depctr 0xfff
	v_fma_f32 v1, v1, v2, 1.0
	v_rcp_f32_e32 v1, v1
	s_cbranch_vccnz .LBB248_5
; %bb.4:                                ;   in Loop: Header=BB248_3 Depth=1
	v_add_co_u32 v15, vcc_lo, s6, v9
	v_add_co_ci_u32_e32 v16, vcc_lo, s7, v10, vcc_lo
	global_load_u16 v2, v[15:16], off
	s_waitcnt vmcnt(0)
	v_cvt_f32_f16_e32 v2, v2
	s_delay_alu instid0(VALU_DEP_1)
	v_add_f32_e32 v1, v1, v2
.LBB248_5:                              ;   in Loop: Header=BB248_3 Depth=1
	v_lshrrev_b32_e32 v2, 16, v3
	s_delay_alu instid0(VALU_DEP_1) | instskip(NEXT) | instid1(VALU_DEP_1)
	v_cvt_f32_u32_e32 v2, v2
	v_mul_f32_e32 v3, 0xbfb8aa3b, v2
	s_delay_alu instid0(VALU_DEP_1) | instskip(SKIP_1) | instid1(VALU_DEP_1)
	v_cmp_gt_f32_e32 vcc_lo, 0xc2fc0000, v3
	v_cndmask_b32_e64 v3, 0, 0x42800000, vcc_lo
	v_fmac_f32_e32 v3, 0xbfb8aa3b, v2
	s_delay_alu instid0(VALU_DEP_1) | instskip(SKIP_4) | instid1(VALU_DEP_1)
	v_exp_f32_e32 v2, v3
	v_cndmask_b32_e64 v3, 1.0, 0x1f800000, vcc_lo
	s_and_not1_b32 vcc_lo, exec_lo, s20
	s_waitcnt_depctr 0xfff
	v_fma_f32 v2, v2, v3, 1.0
	v_rcp_f32_e32 v2, v2
	s_cbranch_vccnz .LBB248_7
; %bb.6:                                ;   in Loop: Header=BB248_3 Depth=1
	v_add_co_u32 v15, vcc_lo, s22, v9
	v_add_co_ci_u32_e32 v16, vcc_lo, s23, v10, vcc_lo
	global_load_u16 v3, v[15:16], off
	s_waitcnt vmcnt(0)
	v_cvt_f32_f16_e32 v3, v3
	s_delay_alu instid0(VALU_DEP_1)
	v_add_f32_e32 v2, v2, v3
.LBB248_7:                              ;   in Loop: Header=BB248_3 Depth=1
	v_and_b32_e32 v3, 0xffff, v4
	s_delay_alu instid0(VALU_DEP_1) | instskip(NEXT) | instid1(VALU_DEP_1)
	v_cvt_f32_u32_e32 v3, v3
	v_mul_f32_e32 v15, 0xbfb8aa3b, v3
	s_delay_alu instid0(VALU_DEP_1) | instskip(SKIP_1) | instid1(VALU_DEP_1)
	v_cmp_gt_f32_e32 vcc_lo, 0xc2fc0000, v15
	v_cndmask_b32_e64 v15, 0, 0x42800000, vcc_lo
	v_fmac_f32_e32 v15, 0xbfb8aa3b, v3
	s_delay_alu instid0(VALU_DEP_1) | instskip(SKIP_4) | instid1(VALU_DEP_1)
	v_exp_f32_e32 v3, v15
	v_cndmask_b32_e64 v15, 1.0, 0x1f800000, vcc_lo
	s_and_not1_b32 vcc_lo, exec_lo, s20
	s_waitcnt_depctr 0xfff
	v_fma_f32 v3, v3, v15, 1.0
	v_rcp_f32_e32 v3, v3
	s_cbranch_vccnz .LBB248_9
; %bb.8:                                ;   in Loop: Header=BB248_3 Depth=1
	v_add_co_u32 v15, vcc_lo, s24, v9
	v_add_co_ci_u32_e32 v16, vcc_lo, s25, v10, vcc_lo
	global_load_u16 v15, v[15:16], off
	s_waitcnt vmcnt(0)
	v_cvt_f32_f16_e32 v15, v15
	s_delay_alu instid0(VALU_DEP_1)
	v_add_f32_e32 v3, v3, v15
.LBB248_9:                              ;   in Loop: Header=BB248_3 Depth=1
	v_lshrrev_b32_e32 v4, 16, v4
	s_delay_alu instid0(VALU_DEP_1) | instskip(NEXT) | instid1(VALU_DEP_1)
	v_cvt_f32_u32_e32 v4, v4
	v_mul_f32_e32 v15, 0xbfb8aa3b, v4
	s_delay_alu instid0(VALU_DEP_1) | instskip(SKIP_1) | instid1(VALU_DEP_1)
	v_cmp_gt_f32_e32 vcc_lo, 0xc2fc0000, v15
	v_cndmask_b32_e64 v15, 0, 0x42800000, vcc_lo
	v_fmac_f32_e32 v15, 0xbfb8aa3b, v4
	s_delay_alu instid0(VALU_DEP_1) | instskip(SKIP_4) | instid1(VALU_DEP_1)
	v_exp_f32_e32 v4, v15
	v_cndmask_b32_e64 v15, 1.0, 0x1f800000, vcc_lo
	s_and_not1_b32 vcc_lo, exec_lo, s20
	s_waitcnt_depctr 0xfff
	v_fma_f32 v4, v4, v15, 1.0
	v_rcp_f32_e32 v4, v4
	s_cbranch_vccnz .LBB248_2
; %bb.10:                               ;   in Loop: Header=BB248_3 Depth=1
	v_add_co_u32 v9, vcc_lo, s26, v9
	v_add_co_ci_u32_e32 v10, vcc_lo, s27, v10, vcc_lo
	global_load_u16 v9, v[9:10], off
	s_waitcnt vmcnt(0)
	v_cvt_f32_f16_e32 v9, v9
	s_delay_alu instid0(VALU_DEP_1)
	v_add_f32_e32 v4, v4, v9
	s_branch .LBB248_2
.LBB248_11:
	s_or_b32 exec_lo, exec_lo, s18
	v_lshl_add_u32 v1, s14, 2, v0
	s_mov_b32 s3, exec_lo
	s_delay_alu instid0(VALU_DEP_1)
	v_cmpx_gt_i32_e64 s12, v1
	s_cbranch_execz .LBB248_16
; %bb.12:
	s_load_b32 s18, s[0:1], 0x44
	s_lshl_b64 s[16:17], s[16:17], 1
	v_lshlrev_b32_e32 v2, 2, v0
	s_add_u32 s4, s4, s16
	s_addc_u32 s5, s5, s17
	s_cmp_lg_u64 s[6:7], 0
	s_cselect_b32 s16, -1, 0
	s_lshl_b32 s17, s14, 4
	s_delay_alu instid0(SALU_CYCLE_1)
	v_add3_u32 v4, 0, s17, v2
	s_waitcnt lgkmcnt(0)
	s_and_b32 s17, s18, 0xffff
	s_mov_b32 s18, 0
	s_lshl_b32 s19, s17, 2
	s_set_inst_prefetch_distance 0x1
	s_branch .LBB248_14
	.p2align	6
.LBB248_13:                             ;   in Loop: Header=BB248_14 Depth=1
	v_add_nc_u32_e32 v1, s17, v1
	v_add_nc_u32_e32 v4, s19, v4
	s_delay_alu instid0(VALU_DEP_2) | instskip(SKIP_1) | instid1(SALU_CYCLE_1)
	v_cmp_le_i32_e32 vcc_lo, s12, v1
	s_or_b32 s18, vcc_lo, s18
	s_and_not1_b32 exec_lo, exec_lo, s18
	s_cbranch_execz .LBB248_16
.LBB248_14:                             ; =>This Inner Loop Header: Depth=1
	v_ashrrev_i32_e32 v2, 31, v1
	s_delay_alu instid0(VALU_DEP_1) | instskip(NEXT) | instid1(VALU_DEP_1)
	v_lshlrev_b64 v[2:3], 1, v[1:2]
	v_add_co_u32 v5, vcc_lo, s4, v2
	s_delay_alu instid0(VALU_DEP_2) | instskip(SKIP_3) | instid1(VALU_DEP_1)
	v_add_co_ci_u32_e32 v6, vcc_lo, s5, v3, vcc_lo
	global_load_u16 v5, v[5:6], off
	s_waitcnt vmcnt(0)
	v_lshlrev_b32_e32 v5, 16, v5
	v_mul_f32_e32 v6, 0xbfb8aa3b, v5
	s_delay_alu instid0(VALU_DEP_1) | instskip(SKIP_1) | instid1(VALU_DEP_1)
	v_cmp_gt_f32_e32 vcc_lo, 0xc2fc0000, v6
	v_cndmask_b32_e64 v6, 0, 0x42800000, vcc_lo
	v_fmac_f32_e32 v6, 0xbfb8aa3b, v5
	s_delay_alu instid0(VALU_DEP_1) | instskip(SKIP_4) | instid1(VALU_DEP_1)
	v_exp_f32_e32 v5, v6
	v_cndmask_b32_e64 v6, 1.0, 0x1f800000, vcc_lo
	s_and_not1_b32 vcc_lo, exec_lo, s16
	s_waitcnt_depctr 0xfff
	v_fma_f32 v5, v5, v6, 1.0
	v_rcp_f32_e32 v5, v5
	ds_store_b32 v4, v5
	s_cbranch_vccnz .LBB248_13
; %bb.15:                               ;   in Loop: Header=BB248_14 Depth=1
	v_add_co_u32 v2, vcc_lo, s6, v2
	v_add_co_ci_u32_e32 v3, vcc_lo, s7, v3, vcc_lo
	global_load_u16 v2, v[2:3], off
	s_waitcnt vmcnt(0)
	v_cvt_f32_f16_e32 v2, v2
	s_delay_alu instid0(VALU_DEP_1)
	v_add_f32_e32 v2, v5, v2
	ds_store_b32 v4, v2
	s_branch .LBB248_13
.LBB248_16:
	s_set_inst_prefetch_distance 0x2
	s_or_b32 exec_lo, exec_lo, s3
	s_cmp_lt_i32 s13, 1
	s_waitcnt lgkmcnt(0)
	s_barrier
	buffer_gl0_inv
	s_cbranch_scc1 .LBB248_25
; %bb.17:
	s_add_u32 s4, s0, 56
	s_addc_u32 s5, s1, 0
	v_dual_mov_b32 v3, 0 :: v_dual_mov_b32 v4, 0xff800000
	v_dual_mov_b32 v1, 0 :: v_dual_mov_b32 v2, 0
	s_cmp_lg_u64 s[6:7], 0
	s_mov_b32 s18, 0
	s_cselect_b32 s12, -1, 0
	s_mov_b32 s19, 0x76543210
	s_branch .LBB248_19
.LBB248_18:                             ;   in Loop: Header=BB248_19 Depth=1
	v_cmp_eq_u32_e32 vcc_lo, s18, v0
	s_delay_alu instid0(VALU_DEP_2)
	s_lshl_b32 s3, s16, 2
	s_add_i32 s18, s18, 1
	s_add_i32 s3, s3, 0
	s_cmp_eq_u32 s18, s13
	v_cndmask_b32_e64 v1, v1, s16, vcc_lo
	v_dual_mov_b32 v5, s3 :: v_dual_cndmask_b32 v2, v2, v7
	ds_store_b32 v5, v4
	s_cbranch_scc1 .LBB248_26
.LBB248_19:                             ; =>This Loop Header: Depth=1
                                        ;     Child Loop BB248_21 Depth 2
	v_dual_mov_b32 v5, s18 :: v_dual_mov_b32 v6, 0xff800000
	s_and_saveexec_b32 s16, s2
	s_cbranch_execz .LBB248_23
; %bb.20:                               ;   in Loop: Header=BB248_19 Depth=1
	s_load_b32 s3, s[4:5], 0xc
	v_dual_mov_b32 v5, s18 :: v_dual_mov_b32 v6, 0xff800000
	v_dual_mov_b32 v7, v12 :: v_dual_mov_b32 v8, v11
	v_mov_b32_e32 v9, v0
	s_mov_b32 s21, 0
	s_waitcnt lgkmcnt(0)
	s_and_b32 s17, s3, 0xffff
	s_delay_alu instid0(SALU_CYCLE_1)
	s_lshl_b32 s20, s17, 2
	s_lshl_b32 s22, s17, 4
	.p2align	6
.LBB248_21:                             ;   Parent Loop BB248_19 Depth=1
                                        ; =>  This Inner Loop Header: Depth=2
	ds_load_b128 v[13:16], v7
	v_add_nc_u32_e32 v7, s22, v7
	s_waitcnt lgkmcnt(0)
	v_cmp_gt_f32_e32 vcc_lo, v13, v6
	v_dual_cndmask_b32 v6, v6, v13 :: v_dual_cndmask_b32 v5, v5, v8
	v_add_nc_u32_e32 v13, 2, v8
	v_add_nc_u32_e32 v10, 1, v8
	s_delay_alu instid0(VALU_DEP_3) | instskip(SKIP_1) | instid1(VALU_DEP_3)
	v_cmp_gt_f32_e32 vcc_lo, v14, v6
	v_cndmask_b32_e32 v6, v6, v14, vcc_lo
	v_dual_cndmask_b32 v5, v5, v10 :: v_dual_add_nc_u32 v10, 3, v8
	s_delay_alu instid0(VALU_DEP_2) | instskip(NEXT) | instid1(VALU_DEP_2)
	v_cmp_gt_f32_e32 vcc_lo, v15, v6
	v_dual_cndmask_b32 v6, v6, v15 :: v_dual_cndmask_b32 v5, v5, v13
	s_delay_alu instid0(VALU_DEP_1) | instskip(SKIP_1) | instid1(VALU_DEP_3)
	v_cmp_gt_f32_e32 vcc_lo, v16, v6
	v_add_nc_u32_e32 v9, s17, v9
	v_dual_cndmask_b32 v5, v5, v10 :: v_dual_add_nc_u32 v8, s20, v8
	v_cndmask_b32_e32 v6, v6, v16, vcc_lo
	s_delay_alu instid0(VALU_DEP_3) | instskip(NEXT) | instid1(VALU_DEP_1)
	v_cmp_le_i32_e64 s3, s14, v9
	s_or_b32 s21, s3, s21
	s_delay_alu instid0(SALU_CYCLE_1)
	s_and_not1_b32 exec_lo, exec_lo, s21
	s_cbranch_execnz .LBB248_21
; %bb.22:                               ;   in Loop: Header=BB248_19 Depth=1
	s_or_b32 exec_lo, exec_lo, s21
.LBB248_23:                             ;   in Loop: Header=BB248_19 Depth=1
	s_delay_alu instid0(SALU_CYCLE_1)
	s_or_b32 exec_lo, exec_lo, s16
	;;#ASMSTART
	v_max_f32 v7, v6, v6 quad_perm:[1,0,3,2] row_mask:0xf bank_mask:0xf bound_ctrl:1
	;;#ASMEND
	;;#ASMSTART
	v_max_f32 v8, v7, v7 quad_perm:[2,3,0,1] row_mask:0xf bank_mask:0xf bound_ctrl:1
	;;#ASMEND
	;;#ASMSTART
	v_max_f32 v7, v8, v8 row_half_mirror row_mask:0xf bank_mask:0xf bound_ctrl:1
	;;#ASMEND
	;;#ASMSTART
	v_max_f32 v8, v7, v7 row_mirror row_mask:0xf bank_mask:0xf bound_ctrl:1
	;;#ASMEND
	v_permlanex16_b32 v7, v8, s19, 0xfedcba98 op_sel:[1,1]
	s_delay_alu instid0(VALU_DEP_1) | instskip(NEXT) | instid1(VALU_DEP_1)
	v_dual_max_f32 v8, v8, v8 :: v_dual_max_f32 v7, v7, v7
	v_max_f32_e32 v7, v8, v7
	s_delay_alu instid0(VALU_DEP_1)
	v_cmp_eq_f32_e32 vcc_lo, v6, v7
	s_ctz_i32_b32 s3, vcc_lo
	s_cmp_lg_u32 vcc_lo, 0
	s_cselect_b32 s3, s3, 0
	s_and_b32 vcc_lo, exec_lo, s12
	v_readlane_b32 s16, v5, s3
	s_cbranch_vccz .LBB248_18
; %bb.24:                               ;   in Loop: Header=BB248_19 Depth=1
	s_delay_alu instid0(VALU_DEP_1) | instskip(NEXT) | instid1(SALU_CYCLE_1)
	s_ashr_i32 s17, s16, 31
	s_lshl_b64 s[20:21], s[16:17], 1
	s_delay_alu instid0(SALU_CYCLE_1) | instskip(SKIP_4) | instid1(VALU_DEP_1)
	s_add_u32 s20, s6, s20
	s_addc_u32 s21, s7, s21
	global_load_u16 v5, v3, s[20:21]
	s_waitcnt vmcnt(0)
	v_cvt_f32_f16_e32 v5, v5
	v_sub_f32_e32 v7, v7, v5
	s_branch .LBB248_18
.LBB248_25:
	v_dual_mov_b32 v2, 0 :: v_dual_mov_b32 v1, 0
.LBB248_26:
	s_mov_b32 s2, exec_lo
	v_cmpx_gt_i32_e64 s13, v0
	s_cbranch_execz .LBB248_29
; %bb.27:
	s_clause 0x2
	s_load_b32 s4, s[0:1], 0x34
	s_load_b64 s[2:3], s[0:1], 0x20
	s_load_b32 s0, s[0:1], 0x44
	s_ashr_i32 s1, s15, 31
	s_waitcnt lgkmcnt(0)
	v_mul_f32_e32 v2, s4, v2
	s_mul_i32 s3, s15, s3
	s_mul_hi_u32 s4, s15, s2
	s_mul_i32 s5, s1, s2
	s_add_i32 s3, s4, s3
	s_mul_i32 s1, s15, s2
	s_and_b32 s2, s0, 0xffff
	s_add_i32 s3, s3, s5
	s_mov_b32 s4, 0
	.p2align	6
.LBB248_28:                             ; =>This Inner Loop Header: Depth=1
	v_ashrrev_i32_e32 v4, 31, v0
	v_add_co_u32 v3, vcc_lo, s1, v0
	v_add_nc_u32_e32 v0, s2, v0
	s_delay_alu instid0(VALU_DEP_3) | instskip(NEXT) | instid1(VALU_DEP_2)
	v_add_co_ci_u32_e32 v4, vcc_lo, s3, v4, vcc_lo
	v_cmp_le_i32_e32 vcc_lo, s13, v0
	s_delay_alu instid0(VALU_DEP_2) | instskip(SKIP_1) | instid1(VALU_DEP_1)
	v_lshlrev_b64 v[3:4], 2, v[3:4]
	s_or_b32 s4, vcc_lo, s4
	v_add_co_u32 v5, s0, s8, v3
	s_delay_alu instid0(VALU_DEP_1) | instskip(SKIP_1) | instid1(VALU_DEP_1)
	v_add_co_ci_u32_e64 v6, s0, s9, v4, s0
	v_add_co_u32 v3, s0, s10, v3
	v_add_co_ci_u32_e64 v4, s0, s11, v4, s0
	global_store_b32 v[5:6], v2, off
	global_store_b32 v[3:4], v1, off
	s_and_not1_b32 exec_lo, exec_lo, s4
	s_cbranch_execnz .LBB248_28
.LBB248_29:
	s_nop 0
	s_sendmsg sendmsg(MSG_DEALLOC_VGPRS)
	s_endpgm
	.section	.rodata,"a",@progbits
	.p2align	6, 0x0
	.amdhsa_kernel _ZN5aiter20topk_softplus_kernelI12hip_bfloat166__halfDv4_fLb0ELi1EEEvPKT_PKT0_PfPimiiif
		.amdhsa_group_segment_fixed_size 0
		.amdhsa_private_segment_fixed_size 0
		.amdhsa_kernarg_size 312
		.amdhsa_user_sgpr_count 15
		.amdhsa_user_sgpr_dispatch_ptr 0
		.amdhsa_user_sgpr_queue_ptr 0
		.amdhsa_user_sgpr_kernarg_segment_ptr 1
		.amdhsa_user_sgpr_dispatch_id 0
		.amdhsa_user_sgpr_private_segment_size 0
		.amdhsa_wavefront_size32 1
		.amdhsa_uses_dynamic_stack 0
		.amdhsa_enable_private_segment 0
		.amdhsa_system_sgpr_workgroup_id_x 1
		.amdhsa_system_sgpr_workgroup_id_y 0
		.amdhsa_system_sgpr_workgroup_id_z 0
		.amdhsa_system_sgpr_workgroup_info 0
		.amdhsa_system_vgpr_workitem_id 0
		.amdhsa_next_free_vgpr 17
		.amdhsa_next_free_sgpr 31
		.amdhsa_reserve_vcc 1
		.amdhsa_float_round_mode_32 0
		.amdhsa_float_round_mode_16_64 0
		.amdhsa_float_denorm_mode_32 3
		.amdhsa_float_denorm_mode_16_64 3
		.amdhsa_dx10_clamp 1
		.amdhsa_ieee_mode 1
		.amdhsa_fp16_overflow 0
		.amdhsa_workgroup_processor_mode 1
		.amdhsa_memory_ordered 1
		.amdhsa_forward_progress 0
		.amdhsa_shared_vgpr_count 0
		.amdhsa_exception_fp_ieee_invalid_op 0
		.amdhsa_exception_fp_denorm_src 0
		.amdhsa_exception_fp_ieee_div_zero 0
		.amdhsa_exception_fp_ieee_overflow 0
		.amdhsa_exception_fp_ieee_underflow 0
		.amdhsa_exception_fp_ieee_inexact 0
		.amdhsa_exception_int_div_zero 0
	.end_amdhsa_kernel
	.section	.text._ZN5aiter20topk_softplus_kernelI12hip_bfloat166__halfDv4_fLb0ELi1EEEvPKT_PKT0_PfPimiiif,"axG",@progbits,_ZN5aiter20topk_softplus_kernelI12hip_bfloat166__halfDv4_fLb0ELi1EEEvPKT_PKT0_PfPimiiif,comdat
.Lfunc_end248:
	.size	_ZN5aiter20topk_softplus_kernelI12hip_bfloat166__halfDv4_fLb0ELi1EEEvPKT_PKT0_PfPimiiif, .Lfunc_end248-_ZN5aiter20topk_softplus_kernelI12hip_bfloat166__halfDv4_fLb0ELi1EEEvPKT_PKT0_PfPimiiif
                                        ; -- End function
	.section	.AMDGPU.csdata,"",@progbits
; Kernel info:
; codeLenInByte = 1912
; NumSgprs: 33
; NumVgprs: 17
; ScratchSize: 0
; MemoryBound: 0
; FloatMode: 240
; IeeeMode: 1
; LDSByteSize: 0 bytes/workgroup (compile time only)
; SGPRBlocks: 4
; VGPRBlocks: 2
; NumSGPRsForWavesPerEU: 33
; NumVGPRsForWavesPerEU: 17
; Occupancy: 16
; WaveLimiterHint : 0
; COMPUTE_PGM_RSRC2:SCRATCH_EN: 0
; COMPUTE_PGM_RSRC2:USER_SGPR: 15
; COMPUTE_PGM_RSRC2:TRAP_HANDLER: 0
; COMPUTE_PGM_RSRC2:TGID_X_EN: 1
; COMPUTE_PGM_RSRC2:TGID_Y_EN: 0
; COMPUTE_PGM_RSRC2:TGID_Z_EN: 0
; COMPUTE_PGM_RSRC2:TIDIG_COMP_CNT: 0
	.section	.text._ZN5aiter20topk_softplus_kernelI12hip_bfloat166__halfDv2_fLb1ELi1EEEvPKT_PKT0_PfPimiiif,"axG",@progbits,_ZN5aiter20topk_softplus_kernelI12hip_bfloat166__halfDv2_fLb1ELi1EEEvPKT_PKT0_PfPimiiif,comdat
	.protected	_ZN5aiter20topk_softplus_kernelI12hip_bfloat166__halfDv2_fLb1ELi1EEEvPKT_PKT0_PfPimiiif ; -- Begin function _ZN5aiter20topk_softplus_kernelI12hip_bfloat166__halfDv2_fLb1ELi1EEEvPKT_PKT0_PfPimiiif
	.globl	_ZN5aiter20topk_softplus_kernelI12hip_bfloat166__halfDv2_fLb1ELi1EEEvPKT_PKT0_PfPimiiif
	.p2align	8
	.type	_ZN5aiter20topk_softplus_kernelI12hip_bfloat166__halfDv2_fLb1ELi1EEEvPKT_PKT0_PfPimiiif,@function
_ZN5aiter20topk_softplus_kernelI12hip_bfloat166__halfDv2_fLb1ELi1EEEvPKT_PKT0_PfPimiiif: ; @_ZN5aiter20topk_softplus_kernelI12hip_bfloat166__halfDv2_fLb1ELi1EEEvPKT_PKT0_PfPimiiif
; %bb.0:
	s_clause 0x1
	s_load_b64 s[12:13], s[0:1], 0x28
	s_load_b256 s[4:11], s[0:1], 0x0
	v_lshl_add_u32 v4, v0, 3, 0
	s_waitcnt lgkmcnt(0)
	s_lshr_b32 s3, s12, 31
	s_mul_i32 s2, s15, s12
	s_add_i32 s14, s12, s3
	s_ashr_i32 s3, s2, 31
	s_ashr_i32 s14, s14, 1
	s_lshl_b64 s[16:17], s[2:3], 1
	v_cmp_gt_i32_e64 s2, s14, v0
	s_add_u32 s4, s4, s16
	s_addc_u32 s5, s5, s17
	s_delay_alu instid0(VALU_DEP_1)
	s_and_saveexec_b32 s16, s2
	s_cbranch_execz .LBB249_7
; %bb.1:
	s_load_b32 s3, s[0:1], 0x44
	s_cmp_lg_u64 s[6:7], 0
	v_lshlrev_b32_e32 v3, 2, v0
	v_mov_b32_e32 v5, 0
	v_lshl_add_u32 v6, v0, 3, 0
	v_mov_b32_e32 v7, v0
	s_cselect_b32 s17, -1, 0
	s_mov_b32 s19, 0
	s_waitcnt lgkmcnt(0)
	s_and_b32 s18, s3, 0xffff
	s_delay_alu instid0(SALU_CYCLE_1)
	s_lshl_b32 s20, s18, 2
	s_lshl_b32 s21, s18, 3
	s_branch .LBB249_3
.LBB249_2:                              ;   in Loop: Header=BB249_3 Depth=1
	v_add_nc_u32_e32 v7, s18, v7
	v_add_co_u32 v3, s3, v3, s20
	ds_store_b64 v6, v[1:2]
	v_add_co_ci_u32_e64 v5, s3, 0, v5, s3
	v_cmp_le_i32_e32 vcc_lo, s14, v7
	v_add_nc_u32_e32 v6, s21, v6
	s_or_b32 s19, vcc_lo, s19
	s_delay_alu instid0(SALU_CYCLE_1)
	s_and_not1_b32 exec_lo, exec_lo, s19
	s_cbranch_execz .LBB249_7
.LBB249_3:                              ; =>This Inner Loop Header: Depth=1
	v_add_co_u32 v1, vcc_lo, s4, v3
	v_add_co_ci_u32_e32 v2, vcc_lo, s5, v5, vcc_lo
	global_load_b32 v2, v[1:2], off
	s_waitcnt vmcnt(0)
	v_and_b32_e32 v1, 0xffff, v2
	s_delay_alu instid0(VALU_DEP_1) | instskip(NEXT) | instid1(VALU_DEP_1)
	v_cvt_f32_u32_e32 v1, v1
	v_mul_f32_e32 v8, 0xbfb8aa3b, v1
	s_delay_alu instid0(VALU_DEP_1) | instskip(SKIP_1) | instid1(VALU_DEP_1)
	v_cmp_gt_f32_e32 vcc_lo, 0xc2fc0000, v8
	v_cndmask_b32_e64 v8, 0, 0x42800000, vcc_lo
	v_fmac_f32_e32 v8, 0xbfb8aa3b, v1
	s_delay_alu instid0(VALU_DEP_1) | instskip(SKIP_4) | instid1(VALU_DEP_1)
	v_exp_f32_e32 v1, v8
	v_cndmask_b32_e64 v8, 1.0, 0x1f800000, vcc_lo
	s_and_not1_b32 vcc_lo, exec_lo, s17
	s_waitcnt_depctr 0xfff
	v_fma_f32 v1, v1, v8, 1.0
	v_rcp_f32_e32 v1, v1
	s_cbranch_vccnz .LBB249_5
; %bb.4:                                ;   in Loop: Header=BB249_3 Depth=1
	v_add_co_u32 v8, vcc_lo, s6, v3
	v_add_co_ci_u32_e32 v9, vcc_lo, s7, v5, vcc_lo
	global_load_u16 v8, v[8:9], off
	s_waitcnt vmcnt(0)
	v_cvt_f32_f16_e32 v8, v8
	s_delay_alu instid0(VALU_DEP_1)
	v_add_f32_e32 v1, v1, v8
.LBB249_5:                              ;   in Loop: Header=BB249_3 Depth=1
	v_lshrrev_b32_e32 v2, 16, v2
	s_delay_alu instid0(VALU_DEP_1) | instskip(NEXT) | instid1(VALU_DEP_1)
	v_cvt_f32_u32_e32 v2, v2
	v_mul_f32_e32 v8, 0xbfb8aa3b, v2
	s_delay_alu instid0(VALU_DEP_1) | instskip(SKIP_1) | instid1(VALU_DEP_1)
	v_cmp_gt_f32_e32 vcc_lo, 0xc2fc0000, v8
	v_cndmask_b32_e64 v8, 0, 0x42800000, vcc_lo
	v_fmac_f32_e32 v8, 0xbfb8aa3b, v2
	s_delay_alu instid0(VALU_DEP_1) | instskip(SKIP_4) | instid1(VALU_DEP_1)
	v_exp_f32_e32 v2, v8
	v_cndmask_b32_e64 v8, 1.0, 0x1f800000, vcc_lo
	s_and_not1_b32 vcc_lo, exec_lo, s17
	s_waitcnt_depctr 0xfff
	v_fma_f32 v2, v2, v8, 1.0
	v_rcp_f32_e32 v2, v2
	s_cbranch_vccnz .LBB249_2
; %bb.6:                                ;   in Loop: Header=BB249_3 Depth=1
	v_add_co_u32 v8, vcc_lo, s6, v3
	v_add_co_ci_u32_e32 v9, vcc_lo, s7, v5, vcc_lo
	global_load_u16 v8, v[8:9], off offset:2
	s_waitcnt vmcnt(0)
	v_cvt_f32_f16_e32 v8, v8
	s_delay_alu instid0(VALU_DEP_1)
	v_add_f32_e32 v2, v2, v8
	s_branch .LBB249_2
.LBB249_7:
	s_or_b32 exec_lo, exec_lo, s16
	v_lshl_add_u32 v1, s14, 1, v0
	s_mov_b32 s3, exec_lo
	s_delay_alu instid0(VALU_DEP_1)
	v_cmpx_gt_i32_e64 s12, v1
	s_cbranch_execz .LBB249_12
; %bb.8:
	s_load_b32 s17, s[0:1], 0x44
	v_lshlrev_b32_e32 v2, 2, v0
	s_cmp_lg_u64 s[6:7], 0
	s_cselect_b32 s16, -1, 0
	s_lshl_b32 s18, s14, 3
	s_delay_alu instid0(VALU_DEP_1) | instid1(SALU_CYCLE_1)
	v_add3_u32 v5, 0, s18, v2
	s_mov_b32 s18, 0
	s_waitcnt lgkmcnt(0)
	s_and_b32 s17, s17, 0xffff
	s_delay_alu instid0(SALU_CYCLE_1)
	s_lshl_b32 s19, s17, 2
	s_set_inst_prefetch_distance 0x1
	s_branch .LBB249_10
	.p2align	6
.LBB249_9:                              ;   in Loop: Header=BB249_10 Depth=1
	v_add_nc_u32_e32 v1, s17, v1
	v_add_nc_u32_e32 v5, s19, v5
	s_delay_alu instid0(VALU_DEP_2) | instskip(SKIP_1) | instid1(SALU_CYCLE_1)
	v_cmp_le_i32_e32 vcc_lo, s12, v1
	s_or_b32 s18, vcc_lo, s18
	s_and_not1_b32 exec_lo, exec_lo, s18
	s_cbranch_execz .LBB249_12
.LBB249_10:                             ; =>This Inner Loop Header: Depth=1
	v_ashrrev_i32_e32 v2, 31, v1
	s_delay_alu instid0(VALU_DEP_1) | instskip(NEXT) | instid1(VALU_DEP_1)
	v_lshlrev_b64 v[2:3], 1, v[1:2]
	v_add_co_u32 v6, vcc_lo, s4, v2
	s_delay_alu instid0(VALU_DEP_2) | instskip(SKIP_3) | instid1(VALU_DEP_1)
	v_add_co_ci_u32_e32 v7, vcc_lo, s5, v3, vcc_lo
	global_load_u16 v6, v[6:7], off
	s_waitcnt vmcnt(0)
	v_lshlrev_b32_e32 v6, 16, v6
	v_mul_f32_e32 v7, 0xbfb8aa3b, v6
	s_delay_alu instid0(VALU_DEP_1) | instskip(SKIP_1) | instid1(VALU_DEP_1)
	v_cmp_gt_f32_e32 vcc_lo, 0xc2fc0000, v7
	v_cndmask_b32_e64 v7, 0, 0x42800000, vcc_lo
	v_fmac_f32_e32 v7, 0xbfb8aa3b, v6
	s_delay_alu instid0(VALU_DEP_1) | instskip(SKIP_4) | instid1(VALU_DEP_1)
	v_exp_f32_e32 v6, v7
	v_cndmask_b32_e64 v7, 1.0, 0x1f800000, vcc_lo
	s_and_not1_b32 vcc_lo, exec_lo, s16
	s_waitcnt_depctr 0xfff
	v_fma_f32 v6, v6, v7, 1.0
	v_rcp_f32_e32 v6, v6
	ds_store_b32 v5, v6
	s_cbranch_vccnz .LBB249_9
; %bb.11:                               ;   in Loop: Header=BB249_10 Depth=1
	v_add_co_u32 v2, vcc_lo, s6, v2
	v_add_co_ci_u32_e32 v3, vcc_lo, s7, v3, vcc_lo
	global_load_u16 v2, v[2:3], off
	s_waitcnt vmcnt(0)
	v_cvt_f32_f16_e32 v2, v2
	s_delay_alu instid0(VALU_DEP_1)
	v_add_f32_e32 v2, v6, v2
	ds_store_b32 v5, v2
	s_branch .LBB249_9
.LBB249_12:
	s_set_inst_prefetch_distance 0x2
	s_or_b32 exec_lo, exec_lo, s3
	v_mov_b32_e32 v2, 0
	s_cmp_lt_i32 s13, 1
	s_waitcnt lgkmcnt(0)
	s_barrier
	buffer_gl0_inv
	s_cbranch_scc1 .LBB249_21
; %bb.13:
	s_add_u32 s4, s0, 56
	s_addc_u32 s5, s1, 0
	v_dual_mov_b32 v2, 0 :: v_dual_lshlrev_b32 v5, 1, v0
	v_dual_mov_b32 v6, 0 :: v_dual_mov_b32 v7, 0xff800000
	v_mov_b32_e32 v1, 0
	v_mov_b32_e32 v3, 0
	s_cmp_lg_u64 s[6:7], 0
	s_mov_b32 s18, 0
	s_cselect_b32 s12, -1, 0
	s_mov_b32 s19, 0x76543210
	s_branch .LBB249_15
.LBB249_14:                             ;   in Loop: Header=BB249_15 Depth=1
	v_cmp_eq_u32_e32 vcc_lo, s18, v0
	s_delay_alu instid0(VALU_DEP_2)
	s_lshl_b32 s3, s16, 2
	s_add_i32 s18, s18, 1
	s_add_i32 s3, s3, 0
	v_add_f32_e32 v3, v3, v10
	v_cndmask_b32_e64 v1, v1, s16, vcc_lo
	v_mov_b32_e32 v8, s3
	v_cndmask_b32_e32 v2, v2, v10, vcc_lo
	s_cmp_eq_u32 s18, s13
	ds_store_b32 v8, v7
	s_cbranch_scc1 .LBB249_22
.LBB249_15:                             ; =>This Loop Header: Depth=1
                                        ;     Child Loop BB249_17 Depth 2
	v_dual_mov_b32 v8, s18 :: v_dual_mov_b32 v9, 0xff800000
	s_and_saveexec_b32 s16, s2
	s_cbranch_execz .LBB249_19
; %bb.16:                               ;   in Loop: Header=BB249_15 Depth=1
	s_load_b32 s3, s[4:5], 0xc
	v_dual_mov_b32 v8, s18 :: v_dual_mov_b32 v9, 0xff800000
	v_dual_mov_b32 v10, v4 :: v_dual_mov_b32 v11, v5
	v_mov_b32_e32 v12, v0
	s_mov_b32 s21, 0
	s_waitcnt lgkmcnt(0)
	s_and_b32 s17, s3, 0xffff
	s_delay_alu instid0(SALU_CYCLE_1)
	s_lshl_b32 s20, s17, 1
	s_lshl_b32 s22, s17, 3
	.p2align	6
.LBB249_17:                             ;   Parent Loop BB249_15 Depth=1
                                        ; =>  This Inner Loop Header: Depth=2
	ds_load_b64 v[13:14], v10
	v_add_nc_u32_e32 v10, s22, v10
	v_add_nc_u32_e32 v12, s17, v12
	s_delay_alu instid0(VALU_DEP_1) | instskip(NEXT) | instid1(VALU_DEP_1)
	v_cmp_le_i32_e64 s3, s14, v12
	s_or_b32 s21, s3, s21
	s_waitcnt lgkmcnt(0)
	v_cmp_gt_f32_e32 vcc_lo, v13, v9
	v_cndmask_b32_e32 v9, v9, v13, vcc_lo
	v_add_nc_u32_e32 v13, 1, v11
	v_cndmask_b32_e32 v8, v8, v11, vcc_lo
	s_delay_alu instid0(VALU_DEP_3) | instskip(SKIP_1) | instid1(VALU_DEP_3)
	v_cmp_gt_f32_e32 vcc_lo, v14, v9
	v_cndmask_b32_e32 v9, v9, v14, vcc_lo
	v_dual_cndmask_b32 v8, v8, v13 :: v_dual_add_nc_u32 v11, s20, v11
	s_and_not1_b32 exec_lo, exec_lo, s21
	s_cbranch_execnz .LBB249_17
; %bb.18:                               ;   in Loop: Header=BB249_15 Depth=1
	s_or_b32 exec_lo, exec_lo, s21
.LBB249_19:                             ;   in Loop: Header=BB249_15 Depth=1
	s_delay_alu instid0(SALU_CYCLE_1)
	s_or_b32 exec_lo, exec_lo, s16
	;;#ASMSTART
	v_max_f32 v10, v9, v9 quad_perm:[1,0,3,2] row_mask:0xf bank_mask:0xf bound_ctrl:1
	;;#ASMEND
	;;#ASMSTART
	v_max_f32 v11, v10, v10 quad_perm:[2,3,0,1] row_mask:0xf bank_mask:0xf bound_ctrl:1
	;;#ASMEND
	;;#ASMSTART
	v_max_f32 v10, v11, v11 row_half_mirror row_mask:0xf bank_mask:0xf bound_ctrl:1
	;;#ASMEND
	;;#ASMSTART
	v_max_f32 v11, v10, v10 row_mirror row_mask:0xf bank_mask:0xf bound_ctrl:1
	;;#ASMEND
	v_permlanex16_b32 v10, v11, s19, 0xfedcba98 op_sel:[1,1]
	s_delay_alu instid0(VALU_DEP_1) | instskip(NEXT) | instid1(VALU_DEP_1)
	v_dual_max_f32 v11, v11, v11 :: v_dual_max_f32 v10, v10, v10
	v_max_f32_e32 v10, v11, v10
	s_delay_alu instid0(VALU_DEP_1)
	v_cmp_eq_f32_e32 vcc_lo, v9, v10
	s_ctz_i32_b32 s3, vcc_lo
	s_cmp_lg_u32 vcc_lo, 0
	s_cselect_b32 s3, s3, 0
	s_and_b32 vcc_lo, exec_lo, s12
	v_readlane_b32 s16, v8, s3
	s_cbranch_vccz .LBB249_14
; %bb.20:                               ;   in Loop: Header=BB249_15 Depth=1
	s_delay_alu instid0(VALU_DEP_1) | instskip(NEXT) | instid1(SALU_CYCLE_1)
	s_ashr_i32 s17, s16, 31
	s_lshl_b64 s[20:21], s[16:17], 1
	s_delay_alu instid0(SALU_CYCLE_1) | instskip(SKIP_4) | instid1(VALU_DEP_1)
	s_add_u32 s20, s6, s20
	s_addc_u32 s21, s7, s21
	global_load_u16 v8, v6, s[20:21]
	s_waitcnt vmcnt(0)
	v_cvt_f32_f16_e32 v8, v8
	v_sub_f32_e32 v10, v10, v8
	s_branch .LBB249_14
.LBB249_21:
	v_mov_b32_e32 v1, 0
	v_mov_b32_e32 v3, 0
.LBB249_22:
	s_mov_b32 s2, exec_lo
	v_cmpx_gt_i32_e64 s13, v0
	s_cbranch_execz .LBB249_25
; %bb.23:
	s_clause 0x1
	s_load_b32 s2, s[0:1], 0x34
	s_load_b32 s3, s[0:1], 0x44
	v_max_f32_e32 v3, v3, v3
	s_load_b64 s[0:1], s[0:1], 0x20
	s_ashr_i32 s4, s15, 31
	s_delay_alu instid0(VALU_DEP_1) | instskip(SKIP_1) | instid1(VALU_DEP_1)
	v_max_f32_e32 v3, 0x1e3ce508, v3
	s_waitcnt lgkmcnt(0)
	v_div_scale_f32 v4, null, v3, v3, s2
	v_div_scale_f32 v7, vcc_lo, s2, v3, s2
	s_mul_i32 s1, s15, s1
	s_delay_alu instid0(VALU_DEP_2) | instskip(SKIP_4) | instid1(VALU_DEP_1)
	v_rcp_f32_e32 v5, v4
	s_mul_i32 s4, s4, s0
	s_and_b32 s3, s3, 0xffff
	s_waitcnt_depctr 0xfff
	v_fma_f32 v6, -v4, v5, 1.0
	v_fmac_f32_e32 v5, v6, v5
	s_delay_alu instid0(VALU_DEP_1) | instskip(NEXT) | instid1(VALU_DEP_1)
	v_mul_f32_e32 v6, v7, v5
	v_fma_f32 v8, -v4, v6, v7
	s_delay_alu instid0(VALU_DEP_1) | instskip(NEXT) | instid1(VALU_DEP_1)
	v_fmac_f32_e32 v6, v8, v5
	v_fma_f32 v4, -v4, v6, v7
	s_delay_alu instid0(VALU_DEP_1) | instskip(NEXT) | instid1(VALU_DEP_1)
	v_div_fmas_f32 v4, v4, v5, v6
	v_div_fixup_f32 v3, v4, v3, s2
	s_mul_hi_u32 s2, s15, s0
	s_delay_alu instid0(SALU_CYCLE_1) | instskip(SKIP_1) | instid1(VALU_DEP_1)
	s_add_i32 s1, s2, s1
	s_mul_i32 s2, s15, s0
	v_mul_f32_e32 v2, v2, v3
	s_add_i32 s1, s1, s4
	s_mov_b32 s4, 0
	.p2align	6
.LBB249_24:                             ; =>This Inner Loop Header: Depth=1
	v_ashrrev_i32_e32 v4, 31, v0
	v_add_co_u32 v3, vcc_lo, s2, v0
	v_add_nc_u32_e32 v0, s3, v0
	s_delay_alu instid0(VALU_DEP_3) | instskip(NEXT) | instid1(VALU_DEP_2)
	v_add_co_ci_u32_e32 v4, vcc_lo, s1, v4, vcc_lo
	v_cmp_le_i32_e32 vcc_lo, s13, v0
	s_delay_alu instid0(VALU_DEP_2) | instskip(SKIP_1) | instid1(VALU_DEP_1)
	v_lshlrev_b64 v[3:4], 2, v[3:4]
	s_or_b32 s4, vcc_lo, s4
	v_add_co_u32 v5, s0, s8, v3
	s_delay_alu instid0(VALU_DEP_1) | instskip(SKIP_1) | instid1(VALU_DEP_1)
	v_add_co_ci_u32_e64 v6, s0, s9, v4, s0
	v_add_co_u32 v3, s0, s10, v3
	v_add_co_ci_u32_e64 v4, s0, s11, v4, s0
	global_store_b32 v[5:6], v2, off
	global_store_b32 v[3:4], v1, off
	s_and_not1_b32 exec_lo, exec_lo, s4
	s_cbranch_execnz .LBB249_24
.LBB249_25:
	s_nop 0
	s_sendmsg sendmsg(MSG_DEALLOC_VGPRS)
	s_endpgm
	.section	.rodata,"a",@progbits
	.p2align	6, 0x0
	.amdhsa_kernel _ZN5aiter20topk_softplus_kernelI12hip_bfloat166__halfDv2_fLb1ELi1EEEvPKT_PKT0_PfPimiiif
		.amdhsa_group_segment_fixed_size 0
		.amdhsa_private_segment_fixed_size 0
		.amdhsa_kernarg_size 312
		.amdhsa_user_sgpr_count 15
		.amdhsa_user_sgpr_dispatch_ptr 0
		.amdhsa_user_sgpr_queue_ptr 0
		.amdhsa_user_sgpr_kernarg_segment_ptr 1
		.amdhsa_user_sgpr_dispatch_id 0
		.amdhsa_user_sgpr_private_segment_size 0
		.amdhsa_wavefront_size32 1
		.amdhsa_uses_dynamic_stack 0
		.amdhsa_enable_private_segment 0
		.amdhsa_system_sgpr_workgroup_id_x 1
		.amdhsa_system_sgpr_workgroup_id_y 0
		.amdhsa_system_sgpr_workgroup_id_z 0
		.amdhsa_system_sgpr_workgroup_info 0
		.amdhsa_system_vgpr_workitem_id 0
		.amdhsa_next_free_vgpr 15
		.amdhsa_next_free_sgpr 23
		.amdhsa_reserve_vcc 1
		.amdhsa_float_round_mode_32 0
		.amdhsa_float_round_mode_16_64 0
		.amdhsa_float_denorm_mode_32 3
		.amdhsa_float_denorm_mode_16_64 3
		.amdhsa_dx10_clamp 1
		.amdhsa_ieee_mode 1
		.amdhsa_fp16_overflow 0
		.amdhsa_workgroup_processor_mode 1
		.amdhsa_memory_ordered 1
		.amdhsa_forward_progress 0
		.amdhsa_shared_vgpr_count 0
		.amdhsa_exception_fp_ieee_invalid_op 0
		.amdhsa_exception_fp_denorm_src 0
		.amdhsa_exception_fp_ieee_div_zero 0
		.amdhsa_exception_fp_ieee_overflow 0
		.amdhsa_exception_fp_ieee_underflow 0
		.amdhsa_exception_fp_ieee_inexact 0
		.amdhsa_exception_int_div_zero 0
	.end_amdhsa_kernel
	.section	.text._ZN5aiter20topk_softplus_kernelI12hip_bfloat166__halfDv2_fLb1ELi1EEEvPKT_PKT0_PfPimiiif,"axG",@progbits,_ZN5aiter20topk_softplus_kernelI12hip_bfloat166__halfDv2_fLb1ELi1EEEvPKT_PKT0_PfPimiiif,comdat
.Lfunc_end249:
	.size	_ZN5aiter20topk_softplus_kernelI12hip_bfloat166__halfDv2_fLb1ELi1EEEvPKT_PKT0_PfPimiiif, .Lfunc_end249-_ZN5aiter20topk_softplus_kernelI12hip_bfloat166__halfDv2_fLb1ELi1EEEvPKT_PKT0_PfPimiiif
                                        ; -- End function
	.section	.AMDGPU.csdata,"",@progbits
; Kernel info:
; codeLenInByte = 1660
; NumSgprs: 25
; NumVgprs: 15
; ScratchSize: 0
; MemoryBound: 0
; FloatMode: 240
; IeeeMode: 1
; LDSByteSize: 0 bytes/workgroup (compile time only)
; SGPRBlocks: 3
; VGPRBlocks: 1
; NumSGPRsForWavesPerEU: 25
; NumVGPRsForWavesPerEU: 15
; Occupancy: 16
; WaveLimiterHint : 0
; COMPUTE_PGM_RSRC2:SCRATCH_EN: 0
; COMPUTE_PGM_RSRC2:USER_SGPR: 15
; COMPUTE_PGM_RSRC2:TRAP_HANDLER: 0
; COMPUTE_PGM_RSRC2:TGID_X_EN: 1
; COMPUTE_PGM_RSRC2:TGID_Y_EN: 0
; COMPUTE_PGM_RSRC2:TGID_Z_EN: 0
; COMPUTE_PGM_RSRC2:TIDIG_COMP_CNT: 0
	.section	.text._ZN5aiter20topk_softplus_kernelI12hip_bfloat166__halfDv2_fLb0ELi1EEEvPKT_PKT0_PfPimiiif,"axG",@progbits,_ZN5aiter20topk_softplus_kernelI12hip_bfloat166__halfDv2_fLb0ELi1EEEvPKT_PKT0_PfPimiiif,comdat
	.protected	_ZN5aiter20topk_softplus_kernelI12hip_bfloat166__halfDv2_fLb0ELi1EEEvPKT_PKT0_PfPimiiif ; -- Begin function _ZN5aiter20topk_softplus_kernelI12hip_bfloat166__halfDv2_fLb0ELi1EEEvPKT_PKT0_PfPimiiif
	.globl	_ZN5aiter20topk_softplus_kernelI12hip_bfloat166__halfDv2_fLb0ELi1EEEvPKT_PKT0_PfPimiiif
	.p2align	8
	.type	_ZN5aiter20topk_softplus_kernelI12hip_bfloat166__halfDv2_fLb0ELi1EEEvPKT_PKT0_PfPimiiif,@function
_ZN5aiter20topk_softplus_kernelI12hip_bfloat166__halfDv2_fLb0ELi1EEEvPKT_PKT0_PfPimiiif: ; @_ZN5aiter20topk_softplus_kernelI12hip_bfloat166__halfDv2_fLb0ELi1EEEvPKT_PKT0_PfPimiiif
; %bb.0:
	s_clause 0x1
	s_load_b64 s[12:13], s[0:1], 0x28
	s_load_b256 s[4:11], s[0:1], 0x0
	v_lshl_add_u32 v4, v0, 3, 0
	s_waitcnt lgkmcnt(0)
	s_lshr_b32 s3, s12, 31
	s_mul_i32 s2, s15, s12
	s_add_i32 s14, s12, s3
	s_ashr_i32 s3, s2, 31
	s_ashr_i32 s14, s14, 1
	s_lshl_b64 s[16:17], s[2:3], 1
	v_cmp_gt_i32_e64 s2, s14, v0
	s_add_u32 s4, s4, s16
	s_addc_u32 s5, s5, s17
	s_delay_alu instid0(VALU_DEP_1)
	s_and_saveexec_b32 s16, s2
	s_cbranch_execz .LBB250_7
; %bb.1:
	s_load_b32 s3, s[0:1], 0x44
	s_cmp_lg_u64 s[6:7], 0
	v_lshlrev_b32_e32 v3, 2, v0
	v_mov_b32_e32 v5, 0
	v_lshl_add_u32 v6, v0, 3, 0
	v_mov_b32_e32 v7, v0
	s_cselect_b32 s17, -1, 0
	s_mov_b32 s19, 0
	s_waitcnt lgkmcnt(0)
	s_and_b32 s18, s3, 0xffff
	s_delay_alu instid0(SALU_CYCLE_1)
	s_lshl_b32 s20, s18, 2
	s_lshl_b32 s21, s18, 3
	s_branch .LBB250_3
.LBB250_2:                              ;   in Loop: Header=BB250_3 Depth=1
	v_add_nc_u32_e32 v7, s18, v7
	v_add_co_u32 v3, s3, v3, s20
	ds_store_b64 v6, v[1:2]
	v_add_co_ci_u32_e64 v5, s3, 0, v5, s3
	v_cmp_le_i32_e32 vcc_lo, s14, v7
	v_add_nc_u32_e32 v6, s21, v6
	s_or_b32 s19, vcc_lo, s19
	s_delay_alu instid0(SALU_CYCLE_1)
	s_and_not1_b32 exec_lo, exec_lo, s19
	s_cbranch_execz .LBB250_7
.LBB250_3:                              ; =>This Inner Loop Header: Depth=1
	v_add_co_u32 v1, vcc_lo, s4, v3
	v_add_co_ci_u32_e32 v2, vcc_lo, s5, v5, vcc_lo
	global_load_b32 v2, v[1:2], off
	s_waitcnt vmcnt(0)
	v_and_b32_e32 v1, 0xffff, v2
	s_delay_alu instid0(VALU_DEP_1) | instskip(NEXT) | instid1(VALU_DEP_1)
	v_cvt_f32_u32_e32 v1, v1
	v_mul_f32_e32 v8, 0xbfb8aa3b, v1
	s_delay_alu instid0(VALU_DEP_1) | instskip(SKIP_1) | instid1(VALU_DEP_1)
	v_cmp_gt_f32_e32 vcc_lo, 0xc2fc0000, v8
	v_cndmask_b32_e64 v8, 0, 0x42800000, vcc_lo
	v_fmac_f32_e32 v8, 0xbfb8aa3b, v1
	s_delay_alu instid0(VALU_DEP_1) | instskip(SKIP_4) | instid1(VALU_DEP_1)
	v_exp_f32_e32 v1, v8
	v_cndmask_b32_e64 v8, 1.0, 0x1f800000, vcc_lo
	s_and_not1_b32 vcc_lo, exec_lo, s17
	s_waitcnt_depctr 0xfff
	v_fma_f32 v1, v1, v8, 1.0
	v_rcp_f32_e32 v1, v1
	s_cbranch_vccnz .LBB250_5
; %bb.4:                                ;   in Loop: Header=BB250_3 Depth=1
	v_add_co_u32 v8, vcc_lo, s6, v3
	v_add_co_ci_u32_e32 v9, vcc_lo, s7, v5, vcc_lo
	global_load_u16 v8, v[8:9], off
	s_waitcnt vmcnt(0)
	v_cvt_f32_f16_e32 v8, v8
	s_delay_alu instid0(VALU_DEP_1)
	v_add_f32_e32 v1, v1, v8
.LBB250_5:                              ;   in Loop: Header=BB250_3 Depth=1
	v_lshrrev_b32_e32 v2, 16, v2
	s_delay_alu instid0(VALU_DEP_1) | instskip(NEXT) | instid1(VALU_DEP_1)
	v_cvt_f32_u32_e32 v2, v2
	v_mul_f32_e32 v8, 0xbfb8aa3b, v2
	s_delay_alu instid0(VALU_DEP_1) | instskip(SKIP_1) | instid1(VALU_DEP_1)
	v_cmp_gt_f32_e32 vcc_lo, 0xc2fc0000, v8
	v_cndmask_b32_e64 v8, 0, 0x42800000, vcc_lo
	v_fmac_f32_e32 v8, 0xbfb8aa3b, v2
	s_delay_alu instid0(VALU_DEP_1) | instskip(SKIP_4) | instid1(VALU_DEP_1)
	v_exp_f32_e32 v2, v8
	v_cndmask_b32_e64 v8, 1.0, 0x1f800000, vcc_lo
	s_and_not1_b32 vcc_lo, exec_lo, s17
	s_waitcnt_depctr 0xfff
	v_fma_f32 v2, v2, v8, 1.0
	v_rcp_f32_e32 v2, v2
	s_cbranch_vccnz .LBB250_2
; %bb.6:                                ;   in Loop: Header=BB250_3 Depth=1
	v_add_co_u32 v8, vcc_lo, s6, v3
	v_add_co_ci_u32_e32 v9, vcc_lo, s7, v5, vcc_lo
	global_load_u16 v8, v[8:9], off offset:2
	s_waitcnt vmcnt(0)
	v_cvt_f32_f16_e32 v8, v8
	s_delay_alu instid0(VALU_DEP_1)
	v_add_f32_e32 v2, v2, v8
	s_branch .LBB250_2
.LBB250_7:
	s_or_b32 exec_lo, exec_lo, s16
	v_lshl_add_u32 v1, s14, 1, v0
	s_mov_b32 s3, exec_lo
	s_delay_alu instid0(VALU_DEP_1)
	v_cmpx_gt_i32_e64 s12, v1
	s_cbranch_execz .LBB250_12
; %bb.8:
	s_load_b32 s17, s[0:1], 0x44
	v_lshlrev_b32_e32 v2, 2, v0
	s_cmp_lg_u64 s[6:7], 0
	s_cselect_b32 s16, -1, 0
	s_lshl_b32 s18, s14, 3
	s_delay_alu instid0(VALU_DEP_1) | instid1(SALU_CYCLE_1)
	v_add3_u32 v5, 0, s18, v2
	s_mov_b32 s18, 0
	s_waitcnt lgkmcnt(0)
	s_and_b32 s17, s17, 0xffff
	s_delay_alu instid0(SALU_CYCLE_1)
	s_lshl_b32 s19, s17, 2
	s_set_inst_prefetch_distance 0x1
	s_branch .LBB250_10
	.p2align	6
.LBB250_9:                              ;   in Loop: Header=BB250_10 Depth=1
	v_add_nc_u32_e32 v1, s17, v1
	v_add_nc_u32_e32 v5, s19, v5
	s_delay_alu instid0(VALU_DEP_2) | instskip(SKIP_1) | instid1(SALU_CYCLE_1)
	v_cmp_le_i32_e32 vcc_lo, s12, v1
	s_or_b32 s18, vcc_lo, s18
	s_and_not1_b32 exec_lo, exec_lo, s18
	s_cbranch_execz .LBB250_12
.LBB250_10:                             ; =>This Inner Loop Header: Depth=1
	v_ashrrev_i32_e32 v2, 31, v1
	s_delay_alu instid0(VALU_DEP_1) | instskip(NEXT) | instid1(VALU_DEP_1)
	v_lshlrev_b64 v[2:3], 1, v[1:2]
	v_add_co_u32 v6, vcc_lo, s4, v2
	s_delay_alu instid0(VALU_DEP_2) | instskip(SKIP_3) | instid1(VALU_DEP_1)
	v_add_co_ci_u32_e32 v7, vcc_lo, s5, v3, vcc_lo
	global_load_u16 v6, v[6:7], off
	s_waitcnt vmcnt(0)
	v_lshlrev_b32_e32 v6, 16, v6
	v_mul_f32_e32 v7, 0xbfb8aa3b, v6
	s_delay_alu instid0(VALU_DEP_1) | instskip(SKIP_1) | instid1(VALU_DEP_1)
	v_cmp_gt_f32_e32 vcc_lo, 0xc2fc0000, v7
	v_cndmask_b32_e64 v7, 0, 0x42800000, vcc_lo
	v_fmac_f32_e32 v7, 0xbfb8aa3b, v6
	s_delay_alu instid0(VALU_DEP_1) | instskip(SKIP_4) | instid1(VALU_DEP_1)
	v_exp_f32_e32 v6, v7
	v_cndmask_b32_e64 v7, 1.0, 0x1f800000, vcc_lo
	s_and_not1_b32 vcc_lo, exec_lo, s16
	s_waitcnt_depctr 0xfff
	v_fma_f32 v6, v6, v7, 1.0
	v_rcp_f32_e32 v6, v6
	ds_store_b32 v5, v6
	s_cbranch_vccnz .LBB250_9
; %bb.11:                               ;   in Loop: Header=BB250_10 Depth=1
	v_add_co_u32 v2, vcc_lo, s6, v2
	v_add_co_ci_u32_e32 v3, vcc_lo, s7, v3, vcc_lo
	global_load_u16 v2, v[2:3], off
	s_waitcnt vmcnt(0)
	v_cvt_f32_f16_e32 v2, v2
	s_delay_alu instid0(VALU_DEP_1)
	v_add_f32_e32 v2, v6, v2
	ds_store_b32 v5, v2
	s_branch .LBB250_9
.LBB250_12:
	s_set_inst_prefetch_distance 0x2
	s_or_b32 exec_lo, exec_lo, s3
	s_cmp_lt_i32 s13, 1
	s_waitcnt lgkmcnt(0)
	s_barrier
	buffer_gl0_inv
	s_cbranch_scc1 .LBB250_21
; %bb.13:
	s_add_u32 s4, s0, 56
	s_addc_u32 s5, s1, 0
	v_dual_mov_b32 v6, 0xff800000 :: v_dual_lshlrev_b32 v3, 1, v0
	v_dual_mov_b32 v5, 0 :: v_dual_mov_b32 v2, 0
	v_mov_b32_e32 v1, 0
	s_cmp_lg_u64 s[6:7], 0
	s_mov_b32 s18, 0
	s_cselect_b32 s12, -1, 0
	s_mov_b32 s19, 0x76543210
	s_branch .LBB250_15
.LBB250_14:                             ;   in Loop: Header=BB250_15 Depth=1
	v_cmp_eq_u32_e32 vcc_lo, s18, v0
	s_delay_alu instid0(VALU_DEP_2)
	s_lshl_b32 s3, s16, 2
	s_add_i32 s18, s18, 1
	s_add_i32 s3, s3, 0
	s_cmp_eq_u32 s18, s13
	v_cndmask_b32_e64 v1, v1, s16, vcc_lo
	v_dual_mov_b32 v7, s3 :: v_dual_cndmask_b32 v2, v2, v9
	ds_store_b32 v7, v6
	s_cbranch_scc1 .LBB250_22
.LBB250_15:                             ; =>This Loop Header: Depth=1
                                        ;     Child Loop BB250_17 Depth 2
	v_dual_mov_b32 v7, s18 :: v_dual_mov_b32 v8, 0xff800000
	s_and_saveexec_b32 s16, s2
	s_cbranch_execz .LBB250_19
; %bb.16:                               ;   in Loop: Header=BB250_15 Depth=1
	s_load_b32 s3, s[4:5], 0xc
	v_dual_mov_b32 v7, s18 :: v_dual_mov_b32 v8, 0xff800000
	v_dual_mov_b32 v9, v4 :: v_dual_mov_b32 v10, v3
	v_mov_b32_e32 v11, v0
	s_mov_b32 s21, 0
	s_waitcnt lgkmcnt(0)
	s_and_b32 s17, s3, 0xffff
	s_delay_alu instid0(SALU_CYCLE_1)
	s_lshl_b32 s20, s17, 1
	s_lshl_b32 s22, s17, 3
	.p2align	6
.LBB250_17:                             ;   Parent Loop BB250_15 Depth=1
                                        ; =>  This Inner Loop Header: Depth=2
	ds_load_b64 v[12:13], v9
	v_add_nc_u32_e32 v9, s22, v9
	v_add_nc_u32_e32 v11, s17, v11
	s_delay_alu instid0(VALU_DEP_1) | instskip(NEXT) | instid1(VALU_DEP_1)
	v_cmp_le_i32_e64 s3, s14, v11
	s_or_b32 s21, s3, s21
	s_waitcnt lgkmcnt(0)
	v_cmp_gt_f32_e32 vcc_lo, v12, v8
	v_cndmask_b32_e32 v8, v8, v12, vcc_lo
	v_add_nc_u32_e32 v12, 1, v10
	v_cndmask_b32_e32 v7, v7, v10, vcc_lo
	s_delay_alu instid0(VALU_DEP_3) | instskip(SKIP_1) | instid1(VALU_DEP_3)
	v_cmp_gt_f32_e32 vcc_lo, v13, v8
	v_cndmask_b32_e32 v8, v8, v13, vcc_lo
	v_dual_cndmask_b32 v7, v7, v12 :: v_dual_add_nc_u32 v10, s20, v10
	s_and_not1_b32 exec_lo, exec_lo, s21
	s_cbranch_execnz .LBB250_17
; %bb.18:                               ;   in Loop: Header=BB250_15 Depth=1
	s_or_b32 exec_lo, exec_lo, s21
.LBB250_19:                             ;   in Loop: Header=BB250_15 Depth=1
	s_delay_alu instid0(SALU_CYCLE_1)
	s_or_b32 exec_lo, exec_lo, s16
	;;#ASMSTART
	v_max_f32 v9, v8, v8 quad_perm:[1,0,3,2] row_mask:0xf bank_mask:0xf bound_ctrl:1
	;;#ASMEND
	;;#ASMSTART
	v_max_f32 v10, v9, v9 quad_perm:[2,3,0,1] row_mask:0xf bank_mask:0xf bound_ctrl:1
	;;#ASMEND
	;;#ASMSTART
	v_max_f32 v9, v10, v10 row_half_mirror row_mask:0xf bank_mask:0xf bound_ctrl:1
	;;#ASMEND
	;;#ASMSTART
	v_max_f32 v10, v9, v9 row_mirror row_mask:0xf bank_mask:0xf bound_ctrl:1
	;;#ASMEND
	v_permlanex16_b32 v9, v10, s19, 0xfedcba98 op_sel:[1,1]
	s_delay_alu instid0(VALU_DEP_1) | instskip(NEXT) | instid1(VALU_DEP_1)
	v_dual_max_f32 v10, v10, v10 :: v_dual_max_f32 v9, v9, v9
	v_max_f32_e32 v9, v10, v9
	s_delay_alu instid0(VALU_DEP_1)
	v_cmp_eq_f32_e32 vcc_lo, v8, v9
	s_ctz_i32_b32 s3, vcc_lo
	s_cmp_lg_u32 vcc_lo, 0
	s_cselect_b32 s3, s3, 0
	s_and_b32 vcc_lo, exec_lo, s12
	v_readlane_b32 s16, v7, s3
	s_cbranch_vccz .LBB250_14
; %bb.20:                               ;   in Loop: Header=BB250_15 Depth=1
	s_delay_alu instid0(VALU_DEP_1) | instskip(NEXT) | instid1(SALU_CYCLE_1)
	s_ashr_i32 s17, s16, 31
	s_lshl_b64 s[20:21], s[16:17], 1
	s_delay_alu instid0(SALU_CYCLE_1) | instskip(SKIP_4) | instid1(VALU_DEP_1)
	s_add_u32 s20, s6, s20
	s_addc_u32 s21, s7, s21
	global_load_u16 v7, v5, s[20:21]
	s_waitcnt vmcnt(0)
	v_cvt_f32_f16_e32 v7, v7
	v_sub_f32_e32 v9, v9, v7
	s_branch .LBB250_14
.LBB250_21:
	v_dual_mov_b32 v2, 0 :: v_dual_mov_b32 v1, 0
.LBB250_22:
	s_mov_b32 s2, exec_lo
	v_cmpx_gt_i32_e64 s13, v0
	s_cbranch_execz .LBB250_25
; %bb.23:
	s_clause 0x2
	s_load_b32 s4, s[0:1], 0x34
	s_load_b64 s[2:3], s[0:1], 0x20
	s_load_b32 s0, s[0:1], 0x44
	s_ashr_i32 s1, s15, 31
	s_waitcnt lgkmcnt(0)
	v_mul_f32_e32 v2, s4, v2
	s_mul_i32 s3, s15, s3
	s_mul_hi_u32 s4, s15, s2
	s_mul_i32 s5, s1, s2
	s_add_i32 s3, s4, s3
	s_mul_i32 s1, s15, s2
	s_and_b32 s2, s0, 0xffff
	s_add_i32 s3, s3, s5
	s_mov_b32 s4, 0
	.p2align	6
.LBB250_24:                             ; =>This Inner Loop Header: Depth=1
	v_ashrrev_i32_e32 v4, 31, v0
	v_add_co_u32 v3, vcc_lo, s1, v0
	v_add_nc_u32_e32 v0, s2, v0
	s_delay_alu instid0(VALU_DEP_3) | instskip(NEXT) | instid1(VALU_DEP_2)
	v_add_co_ci_u32_e32 v4, vcc_lo, s3, v4, vcc_lo
	v_cmp_le_i32_e32 vcc_lo, s13, v0
	s_delay_alu instid0(VALU_DEP_2) | instskip(SKIP_1) | instid1(VALU_DEP_1)
	v_lshlrev_b64 v[3:4], 2, v[3:4]
	s_or_b32 s4, vcc_lo, s4
	v_add_co_u32 v5, s0, s8, v3
	s_delay_alu instid0(VALU_DEP_1) | instskip(SKIP_1) | instid1(VALU_DEP_1)
	v_add_co_ci_u32_e64 v6, s0, s9, v4, s0
	v_add_co_u32 v3, s0, s10, v3
	v_add_co_ci_u32_e64 v4, s0, s11, v4, s0
	global_store_b32 v[5:6], v2, off
	global_store_b32 v[3:4], v1, off
	s_and_not1_b32 exec_lo, exec_lo, s4
	s_cbranch_execnz .LBB250_24
.LBB250_25:
	s_nop 0
	s_sendmsg sendmsg(MSG_DEALLOC_VGPRS)
	s_endpgm
	.section	.rodata,"a",@progbits
	.p2align	6, 0x0
	.amdhsa_kernel _ZN5aiter20topk_softplus_kernelI12hip_bfloat166__halfDv2_fLb0ELi1EEEvPKT_PKT0_PfPimiiif
		.amdhsa_group_segment_fixed_size 0
		.amdhsa_private_segment_fixed_size 0
		.amdhsa_kernarg_size 312
		.amdhsa_user_sgpr_count 15
		.amdhsa_user_sgpr_dispatch_ptr 0
		.amdhsa_user_sgpr_queue_ptr 0
		.amdhsa_user_sgpr_kernarg_segment_ptr 1
		.amdhsa_user_sgpr_dispatch_id 0
		.amdhsa_user_sgpr_private_segment_size 0
		.amdhsa_wavefront_size32 1
		.amdhsa_uses_dynamic_stack 0
		.amdhsa_enable_private_segment 0
		.amdhsa_system_sgpr_workgroup_id_x 1
		.amdhsa_system_sgpr_workgroup_id_y 0
		.amdhsa_system_sgpr_workgroup_id_z 0
		.amdhsa_system_sgpr_workgroup_info 0
		.amdhsa_system_vgpr_workitem_id 0
		.amdhsa_next_free_vgpr 14
		.amdhsa_next_free_sgpr 23
		.amdhsa_reserve_vcc 1
		.amdhsa_float_round_mode_32 0
		.amdhsa_float_round_mode_16_64 0
		.amdhsa_float_denorm_mode_32 3
		.amdhsa_float_denorm_mode_16_64 3
		.amdhsa_dx10_clamp 1
		.amdhsa_ieee_mode 1
		.amdhsa_fp16_overflow 0
		.amdhsa_workgroup_processor_mode 1
		.amdhsa_memory_ordered 1
		.amdhsa_forward_progress 0
		.amdhsa_shared_vgpr_count 0
		.amdhsa_exception_fp_ieee_invalid_op 0
		.amdhsa_exception_fp_denorm_src 0
		.amdhsa_exception_fp_ieee_div_zero 0
		.amdhsa_exception_fp_ieee_overflow 0
		.amdhsa_exception_fp_ieee_underflow 0
		.amdhsa_exception_fp_ieee_inexact 0
		.amdhsa_exception_int_div_zero 0
	.end_amdhsa_kernel
	.section	.text._ZN5aiter20topk_softplus_kernelI12hip_bfloat166__halfDv2_fLb0ELi1EEEvPKT_PKT0_PfPimiiif,"axG",@progbits,_ZN5aiter20topk_softplus_kernelI12hip_bfloat166__halfDv2_fLb0ELi1EEEvPKT_PKT0_PfPimiiif,comdat
.Lfunc_end250:
	.size	_ZN5aiter20topk_softplus_kernelI12hip_bfloat166__halfDv2_fLb0ELi1EEEvPKT_PKT0_PfPimiiif, .Lfunc_end250-_ZN5aiter20topk_softplus_kernelI12hip_bfloat166__halfDv2_fLb0ELi1EEEvPKT_PKT0_PfPimiiif
                                        ; -- End function
	.section	.AMDGPU.csdata,"",@progbits
; Kernel info:
; codeLenInByte = 1536
; NumSgprs: 25
; NumVgprs: 14
; ScratchSize: 0
; MemoryBound: 0
; FloatMode: 240
; IeeeMode: 1
; LDSByteSize: 0 bytes/workgroup (compile time only)
; SGPRBlocks: 3
; VGPRBlocks: 1
; NumSGPRsForWavesPerEU: 25
; NumVGPRsForWavesPerEU: 14
; Occupancy: 16
; WaveLimiterHint : 0
; COMPUTE_PGM_RSRC2:SCRATCH_EN: 0
; COMPUTE_PGM_RSRC2:USER_SGPR: 15
; COMPUTE_PGM_RSRC2:TRAP_HANDLER: 0
; COMPUTE_PGM_RSRC2:TGID_X_EN: 1
; COMPUTE_PGM_RSRC2:TGID_Y_EN: 0
; COMPUTE_PGM_RSRC2:TGID_Z_EN: 0
; COMPUTE_PGM_RSRC2:TIDIG_COMP_CNT: 0
	.section	.text._ZN5aiter20topk_softplus_kernelI12hip_bfloat166__halfDv1_fLb1ELi1EEEvPKT_PKT0_PfPimiiif,"axG",@progbits,_ZN5aiter20topk_softplus_kernelI12hip_bfloat166__halfDv1_fLb1ELi1EEEvPKT_PKT0_PfPimiiif,comdat
	.protected	_ZN5aiter20topk_softplus_kernelI12hip_bfloat166__halfDv1_fLb1ELi1EEEvPKT_PKT0_PfPimiiif ; -- Begin function _ZN5aiter20topk_softplus_kernelI12hip_bfloat166__halfDv1_fLb1ELi1EEEvPKT_PKT0_PfPimiiif
	.globl	_ZN5aiter20topk_softplus_kernelI12hip_bfloat166__halfDv1_fLb1ELi1EEEvPKT_PKT0_PfPimiiif
	.p2align	8
	.type	_ZN5aiter20topk_softplus_kernelI12hip_bfloat166__halfDv1_fLb1ELi1EEEvPKT_PKT0_PfPimiiif,@function
_ZN5aiter20topk_softplus_kernelI12hip_bfloat166__halfDv1_fLb1ELi1EEEvPKT_PKT0_PfPimiiif: ; @_ZN5aiter20topk_softplus_kernelI12hip_bfloat166__halfDv1_fLb1ELi1EEEvPKT_PKT0_PfPimiiif
; %bb.0:
	s_clause 0x1
	s_load_b64 s[12:13], s[0:1], 0x28
	s_load_b256 s[4:11], s[0:1], 0x0
	v_lshl_add_u32 v4, v0, 2, 0
	s_waitcnt lgkmcnt(0)
	s_mul_i32 s16, s15, s12
	v_cmp_gt_i32_e64 s2, s12, v0
	s_ashr_i32 s17, s16, 31
	s_delay_alu instid0(SALU_CYCLE_1) | instskip(NEXT) | instid1(SALU_CYCLE_1)
	s_lshl_b64 s[16:17], s[16:17], 1
	s_add_u32 s3, s4, s16
	s_addc_u32 s4, s5, s17
	s_and_saveexec_b32 s5, s2
	s_cbranch_execz .LBB251_5
; %bb.1:
	s_load_b32 s16, s[0:1], 0x44
	s_cmp_lg_u64 s[6:7], 0
	v_lshl_add_u32 v5, v0, 2, 0
	v_mov_b32_e32 v1, v0
	s_cselect_b32 s14, -1, 0
	s_mov_b32 s17, 0
	s_waitcnt lgkmcnt(0)
	s_and_b32 s16, s16, 0xffff
	s_delay_alu instid0(SALU_CYCLE_1)
	s_lshl_b32 s18, s16, 2
	s_set_inst_prefetch_distance 0x1
	s_branch .LBB251_3
	.p2align	6
.LBB251_2:                              ;   in Loop: Header=BB251_3 Depth=1
	v_add_nc_u32_e32 v1, s16, v1
	ds_store_b32 v5, v6
	v_add_nc_u32_e32 v5, s18, v5
	v_cmp_le_i32_e32 vcc_lo, s12, v1
	s_or_b32 s17, vcc_lo, s17
	s_delay_alu instid0(SALU_CYCLE_1)
	s_and_not1_b32 exec_lo, exec_lo, s17
	s_cbranch_execz .LBB251_5
.LBB251_3:                              ; =>This Inner Loop Header: Depth=1
	v_ashrrev_i32_e32 v2, 31, v1
	s_delay_alu instid0(VALU_DEP_1) | instskip(NEXT) | instid1(VALU_DEP_1)
	v_lshlrev_b64 v[2:3], 1, v[1:2]
	v_add_co_u32 v6, vcc_lo, s3, v2
	s_delay_alu instid0(VALU_DEP_2) | instskip(SKIP_3) | instid1(VALU_DEP_1)
	v_add_co_ci_u32_e32 v7, vcc_lo, s4, v3, vcc_lo
	global_load_u16 v6, v[6:7], off
	s_waitcnt vmcnt(0)
	v_cvt_f32_u32_e32 v6, v6
	v_mul_f32_e32 v7, 0xbfb8aa3b, v6
	s_delay_alu instid0(VALU_DEP_1) | instskip(SKIP_1) | instid1(VALU_DEP_1)
	v_cmp_gt_f32_e32 vcc_lo, 0xc2fc0000, v7
	v_cndmask_b32_e64 v7, 0, 0x42800000, vcc_lo
	v_fmac_f32_e32 v7, 0xbfb8aa3b, v6
	s_delay_alu instid0(VALU_DEP_1) | instskip(SKIP_4) | instid1(VALU_DEP_1)
	v_exp_f32_e32 v6, v7
	v_cndmask_b32_e64 v7, 1.0, 0x1f800000, vcc_lo
	s_and_not1_b32 vcc_lo, exec_lo, s14
	s_waitcnt_depctr 0xfff
	v_fma_f32 v6, v6, v7, 1.0
	v_rcp_f32_e32 v6, v6
	s_cbranch_vccnz .LBB251_2
; %bb.4:                                ;   in Loop: Header=BB251_3 Depth=1
	v_add_co_u32 v2, vcc_lo, s6, v2
	v_add_co_ci_u32_e32 v3, vcc_lo, s7, v3, vcc_lo
	global_load_u16 v2, v[2:3], off
	s_waitcnt vmcnt(0)
	v_cvt_f32_f16_e32 v2, v2
	s_delay_alu instid0(VALU_DEP_1)
	v_add_f32_e32 v6, v6, v2
	s_branch .LBB251_2
.LBB251_5:
	s_set_inst_prefetch_distance 0x2
	s_or_b32 exec_lo, exec_lo, s5
	v_add_nc_u32_e32 v1, s12, v0
	s_mov_b32 s5, exec_lo
	s_delay_alu instid0(VALU_DEP_1)
	v_cmpx_gt_i32_e64 s12, v1
	s_cbranch_execz .LBB251_10
; %bb.6:
	s_load_b32 s16, s[0:1], 0x44
	s_cmp_lg_u64 s[6:7], 0
	v_lshl_add_u32 v5, v1, 2, 0
	s_cselect_b32 s14, -1, 0
	s_mov_b32 s17, 0
	s_waitcnt lgkmcnt(0)
	s_and_b32 s16, s16, 0xffff
	s_delay_alu instid0(SALU_CYCLE_1)
	s_lshl_b32 s18, s16, 2
	s_set_inst_prefetch_distance 0x1
	s_branch .LBB251_8
	.p2align	6
.LBB251_7:                              ;   in Loop: Header=BB251_8 Depth=1
	v_add_nc_u32_e32 v1, s16, v1
	v_add_nc_u32_e32 v5, s18, v5
	s_delay_alu instid0(VALU_DEP_2) | instskip(SKIP_1) | instid1(SALU_CYCLE_1)
	v_cmp_le_i32_e32 vcc_lo, s12, v1
	s_or_b32 s17, vcc_lo, s17
	s_and_not1_b32 exec_lo, exec_lo, s17
	s_cbranch_execz .LBB251_10
.LBB251_8:                              ; =>This Inner Loop Header: Depth=1
	v_ashrrev_i32_e32 v2, 31, v1
	s_delay_alu instid0(VALU_DEP_1) | instskip(NEXT) | instid1(VALU_DEP_1)
	v_lshlrev_b64 v[2:3], 1, v[1:2]
	v_add_co_u32 v6, vcc_lo, s3, v2
	s_delay_alu instid0(VALU_DEP_2) | instskip(SKIP_3) | instid1(VALU_DEP_1)
	v_add_co_ci_u32_e32 v7, vcc_lo, s4, v3, vcc_lo
	global_load_u16 v6, v[6:7], off
	s_waitcnt vmcnt(0)
	v_lshlrev_b32_e32 v6, 16, v6
	v_mul_f32_e32 v7, 0xbfb8aa3b, v6
	s_delay_alu instid0(VALU_DEP_1) | instskip(SKIP_1) | instid1(VALU_DEP_1)
	v_cmp_gt_f32_e32 vcc_lo, 0xc2fc0000, v7
	v_cndmask_b32_e64 v7, 0, 0x42800000, vcc_lo
	v_fmac_f32_e32 v7, 0xbfb8aa3b, v6
	s_delay_alu instid0(VALU_DEP_1) | instskip(SKIP_4) | instid1(VALU_DEP_1)
	v_exp_f32_e32 v6, v7
	v_cndmask_b32_e64 v7, 1.0, 0x1f800000, vcc_lo
	s_and_not1_b32 vcc_lo, exec_lo, s14
	s_waitcnt_depctr 0xfff
	v_fma_f32 v6, v6, v7, 1.0
	v_rcp_f32_e32 v6, v6
	ds_store_b32 v5, v6
	s_cbranch_vccnz .LBB251_7
; %bb.9:                                ;   in Loop: Header=BB251_8 Depth=1
	v_add_co_u32 v2, vcc_lo, s6, v2
	v_add_co_ci_u32_e32 v3, vcc_lo, s7, v3, vcc_lo
	global_load_u16 v2, v[2:3], off
	s_waitcnt vmcnt(0)
	v_cvt_f32_f16_e32 v2, v2
	s_delay_alu instid0(VALU_DEP_1)
	v_add_f32_e32 v2, v6, v2
	ds_store_b32 v5, v2
	s_branch .LBB251_7
.LBB251_10:
	s_set_inst_prefetch_distance 0x2
	s_or_b32 exec_lo, exec_lo, s5
	v_mov_b32_e32 v2, 0
	s_cmp_lt_i32 s13, 1
	s_waitcnt lgkmcnt(0)
	s_barrier
	buffer_gl0_inv
	s_cbranch_scc1 .LBB251_19
; %bb.11:
	s_add_u32 s4, s0, 56
	s_addc_u32 s5, s1, 0
	v_dual_mov_b32 v2, 0 :: v_dual_mov_b32 v5, 0
	v_dual_mov_b32 v6, 0xff800000 :: v_dual_mov_b32 v1, 0
	v_mov_b32_e32 v3, 0
	s_cmp_lg_u64 s[6:7], 0
	s_mov_b32 s14, 0
	s_cselect_b32 s3, -1, 0
	s_mov_b32 s18, 0x76543210
	s_branch .LBB251_13
.LBB251_12:                             ;   in Loop: Header=BB251_13 Depth=1
	v_cmp_eq_u32_e32 vcc_lo, s14, v0
	s_delay_alu instid0(VALU_DEP_2) | instskip(NEXT) | instid1(VALU_DEP_2)
	s_lshl_b32 s17, s16, 2
	v_add_f32_e32 v3, v3, v9
	s_add_i32 s17, s17, 0
	s_add_i32 s14, s14, 1
	v_cndmask_b32_e64 v1, v1, s16, vcc_lo
	v_dual_mov_b32 v7, s17 :: v_dual_cndmask_b32 v2, v2, v9
	s_cmp_eq_u32 s14, s13
	ds_store_b32 v7, v6
	s_cbranch_scc1 .LBB251_20
.LBB251_13:                             ; =>This Loop Header: Depth=1
                                        ;     Child Loop BB251_15 Depth 2
	v_dual_mov_b32 v7, s14 :: v_dual_mov_b32 v8, 0xff800000
	s_and_saveexec_b32 s16, s2
	s_cbranch_execz .LBB251_17
; %bb.14:                               ;   in Loop: Header=BB251_13 Depth=1
	s_load_b32 s17, s[4:5], 0xc
	v_dual_mov_b32 v7, s14 :: v_dual_mov_b32 v8, 0xff800000
	v_mov_b32_e32 v9, v4
	v_mov_b32_e32 v10, v0
	s_mov_b32 s19, 0
	s_waitcnt lgkmcnt(0)
	s_and_b32 s17, s17, 0xffff
	s_delay_alu instid0(SALU_CYCLE_1)
	s_lshl_b32 s20, s17, 2
.LBB251_15:                             ;   Parent Loop BB251_13 Depth=1
                                        ; =>  This Inner Loop Header: Depth=2
	ds_load_b32 v11, v9
	v_add_nc_u32_e32 v9, s20, v9
	s_waitcnt lgkmcnt(0)
	v_cmp_gt_f32_e32 vcc_lo, v11, v8
	v_dual_cndmask_b32 v8, v8, v11 :: v_dual_cndmask_b32 v7, v7, v10
	v_add_nc_u32_e32 v10, s17, v10
	s_delay_alu instid0(VALU_DEP_1) | instskip(SKIP_1) | instid1(SALU_CYCLE_1)
	v_cmp_le_i32_e32 vcc_lo, s12, v10
	s_or_b32 s19, vcc_lo, s19
	s_and_not1_b32 exec_lo, exec_lo, s19
	s_cbranch_execnz .LBB251_15
; %bb.16:                               ;   in Loop: Header=BB251_13 Depth=1
	s_or_b32 exec_lo, exec_lo, s19
.LBB251_17:                             ;   in Loop: Header=BB251_13 Depth=1
	s_delay_alu instid0(SALU_CYCLE_1)
	s_or_b32 exec_lo, exec_lo, s16
	;;#ASMSTART
	v_max_f32 v9, v8, v8 quad_perm:[1,0,3,2] row_mask:0xf bank_mask:0xf bound_ctrl:1
	;;#ASMEND
	;;#ASMSTART
	v_max_f32 v10, v9, v9 quad_perm:[2,3,0,1] row_mask:0xf bank_mask:0xf bound_ctrl:1
	;;#ASMEND
	;;#ASMSTART
	v_max_f32 v9, v10, v10 row_half_mirror row_mask:0xf bank_mask:0xf bound_ctrl:1
	;;#ASMEND
	;;#ASMSTART
	v_max_f32 v10, v9, v9 row_mirror row_mask:0xf bank_mask:0xf bound_ctrl:1
	;;#ASMEND
	v_permlanex16_b32 v9, v10, s18, 0xfedcba98 op_sel:[1,1]
	s_delay_alu instid0(VALU_DEP_1) | instskip(NEXT) | instid1(VALU_DEP_1)
	v_dual_max_f32 v10, v10, v10 :: v_dual_max_f32 v9, v9, v9
	v_max_f32_e32 v9, v10, v9
	s_delay_alu instid0(VALU_DEP_1)
	v_cmp_eq_f32_e32 vcc_lo, v8, v9
	s_ctz_i32_b32 s16, vcc_lo
	s_cmp_lg_u32 vcc_lo, 0
	s_cselect_b32 s16, s16, 0
	s_and_b32 vcc_lo, exec_lo, s3
	v_readlane_b32 s16, v7, s16
	s_cbranch_vccz .LBB251_12
; %bb.18:                               ;   in Loop: Header=BB251_13 Depth=1
	s_delay_alu instid0(VALU_DEP_1) | instskip(NEXT) | instid1(SALU_CYCLE_1)
	s_ashr_i32 s17, s16, 31
	s_lshl_b64 s[20:21], s[16:17], 1
	s_delay_alu instid0(SALU_CYCLE_1) | instskip(SKIP_4) | instid1(VALU_DEP_1)
	s_add_u32 s20, s6, s20
	s_addc_u32 s21, s7, s21
	global_load_u16 v7, v5, s[20:21]
	s_waitcnt vmcnt(0)
	v_cvt_f32_f16_e32 v7, v7
	v_sub_f32_e32 v9, v9, v7
	s_branch .LBB251_12
.LBB251_19:
	v_mov_b32_e32 v1, 0
	v_mov_b32_e32 v3, 0
.LBB251_20:
	s_mov_b32 s2, exec_lo
	v_cmpx_gt_i32_e64 s13, v0
	s_cbranch_execz .LBB251_23
; %bb.21:
	s_clause 0x1
	s_load_b32 s2, s[0:1], 0x34
	s_load_b32 s3, s[0:1], 0x44
	v_max_f32_e32 v3, v3, v3
	s_load_b64 s[0:1], s[0:1], 0x20
	s_ashr_i32 s4, s15, 31
	s_delay_alu instid0(VALU_DEP_1) | instskip(SKIP_1) | instid1(VALU_DEP_1)
	v_max_f32_e32 v3, 0x1e3ce508, v3
	s_waitcnt lgkmcnt(0)
	v_div_scale_f32 v4, null, v3, v3, s2
	v_div_scale_f32 v7, vcc_lo, s2, v3, s2
	s_mul_i32 s1, s15, s1
	s_delay_alu instid0(VALU_DEP_2) | instskip(SKIP_4) | instid1(VALU_DEP_1)
	v_rcp_f32_e32 v5, v4
	s_mul_i32 s4, s4, s0
	s_and_b32 s3, s3, 0xffff
	s_waitcnt_depctr 0xfff
	v_fma_f32 v6, -v4, v5, 1.0
	v_fmac_f32_e32 v5, v6, v5
	s_delay_alu instid0(VALU_DEP_1) | instskip(NEXT) | instid1(VALU_DEP_1)
	v_mul_f32_e32 v6, v7, v5
	v_fma_f32 v8, -v4, v6, v7
	s_delay_alu instid0(VALU_DEP_1) | instskip(NEXT) | instid1(VALU_DEP_1)
	v_fmac_f32_e32 v6, v8, v5
	v_fma_f32 v4, -v4, v6, v7
	s_delay_alu instid0(VALU_DEP_1) | instskip(NEXT) | instid1(VALU_DEP_1)
	v_div_fmas_f32 v4, v4, v5, v6
	v_div_fixup_f32 v3, v4, v3, s2
	s_mul_hi_u32 s2, s15, s0
	s_delay_alu instid0(SALU_CYCLE_1) | instskip(SKIP_1) | instid1(VALU_DEP_1)
	s_add_i32 s1, s2, s1
	s_mul_i32 s2, s15, s0
	v_mul_f32_e32 v2, v2, v3
	s_add_i32 s1, s1, s4
	s_mov_b32 s4, 0
	.p2align	6
.LBB251_22:                             ; =>This Inner Loop Header: Depth=1
	v_ashrrev_i32_e32 v4, 31, v0
	v_add_co_u32 v3, vcc_lo, s2, v0
	v_add_nc_u32_e32 v0, s3, v0
	s_delay_alu instid0(VALU_DEP_3) | instskip(NEXT) | instid1(VALU_DEP_2)
	v_add_co_ci_u32_e32 v4, vcc_lo, s1, v4, vcc_lo
	v_cmp_le_i32_e32 vcc_lo, s13, v0
	s_delay_alu instid0(VALU_DEP_2) | instskip(SKIP_1) | instid1(VALU_DEP_1)
	v_lshlrev_b64 v[3:4], 2, v[3:4]
	s_or_b32 s4, vcc_lo, s4
	v_add_co_u32 v5, s0, s8, v3
	s_delay_alu instid0(VALU_DEP_1) | instskip(SKIP_1) | instid1(VALU_DEP_1)
	v_add_co_ci_u32_e64 v6, s0, s9, v4, s0
	v_add_co_u32 v3, s0, s10, v3
	v_add_co_ci_u32_e64 v4, s0, s11, v4, s0
	global_store_b32 v[5:6], v2, off
	global_store_b32 v[3:4], v1, off
	s_and_not1_b32 exec_lo, exec_lo, s4
	s_cbranch_execnz .LBB251_22
.LBB251_23:
	s_nop 0
	s_sendmsg sendmsg(MSG_DEALLOC_VGPRS)
	s_endpgm
	.section	.rodata,"a",@progbits
	.p2align	6, 0x0
	.amdhsa_kernel _ZN5aiter20topk_softplus_kernelI12hip_bfloat166__halfDv1_fLb1ELi1EEEvPKT_PKT0_PfPimiiif
		.amdhsa_group_segment_fixed_size 0
		.amdhsa_private_segment_fixed_size 0
		.amdhsa_kernarg_size 312
		.amdhsa_user_sgpr_count 15
		.amdhsa_user_sgpr_dispatch_ptr 0
		.amdhsa_user_sgpr_queue_ptr 0
		.amdhsa_user_sgpr_kernarg_segment_ptr 1
		.amdhsa_user_sgpr_dispatch_id 0
		.amdhsa_user_sgpr_private_segment_size 0
		.amdhsa_wavefront_size32 1
		.amdhsa_uses_dynamic_stack 0
		.amdhsa_enable_private_segment 0
		.amdhsa_system_sgpr_workgroup_id_x 1
		.amdhsa_system_sgpr_workgroup_id_y 0
		.amdhsa_system_sgpr_workgroup_id_z 0
		.amdhsa_system_sgpr_workgroup_info 0
		.amdhsa_system_vgpr_workitem_id 0
		.amdhsa_next_free_vgpr 12
		.amdhsa_next_free_sgpr 22
		.amdhsa_reserve_vcc 1
		.amdhsa_float_round_mode_32 0
		.amdhsa_float_round_mode_16_64 0
		.amdhsa_float_denorm_mode_32 3
		.amdhsa_float_denorm_mode_16_64 3
		.amdhsa_dx10_clamp 1
		.amdhsa_ieee_mode 1
		.amdhsa_fp16_overflow 0
		.amdhsa_workgroup_processor_mode 1
		.amdhsa_memory_ordered 1
		.amdhsa_forward_progress 0
		.amdhsa_shared_vgpr_count 0
		.amdhsa_exception_fp_ieee_invalid_op 0
		.amdhsa_exception_fp_denorm_src 0
		.amdhsa_exception_fp_ieee_div_zero 0
		.amdhsa_exception_fp_ieee_overflow 0
		.amdhsa_exception_fp_ieee_underflow 0
		.amdhsa_exception_fp_ieee_inexact 0
		.amdhsa_exception_int_div_zero 0
	.end_amdhsa_kernel
	.section	.text._ZN5aiter20topk_softplus_kernelI12hip_bfloat166__halfDv1_fLb1ELi1EEEvPKT_PKT0_PfPimiiif,"axG",@progbits,_ZN5aiter20topk_softplus_kernelI12hip_bfloat166__halfDv1_fLb1ELi1EEEvPKT_PKT0_PfPimiiif,comdat
.Lfunc_end251:
	.size	_ZN5aiter20topk_softplus_kernelI12hip_bfloat166__halfDv1_fLb1ELi1EEEvPKT_PKT0_PfPimiiif, .Lfunc_end251-_ZN5aiter20topk_softplus_kernelI12hip_bfloat166__halfDv1_fLb1ELi1EEEvPKT_PKT0_PfPimiiif
                                        ; -- End function
	.section	.AMDGPU.csdata,"",@progbits
; Kernel info:
; codeLenInByte = 1448
; NumSgprs: 24
; NumVgprs: 12
; ScratchSize: 0
; MemoryBound: 0
; FloatMode: 240
; IeeeMode: 1
; LDSByteSize: 0 bytes/workgroup (compile time only)
; SGPRBlocks: 2
; VGPRBlocks: 1
; NumSGPRsForWavesPerEU: 24
; NumVGPRsForWavesPerEU: 12
; Occupancy: 16
; WaveLimiterHint : 0
; COMPUTE_PGM_RSRC2:SCRATCH_EN: 0
; COMPUTE_PGM_RSRC2:USER_SGPR: 15
; COMPUTE_PGM_RSRC2:TRAP_HANDLER: 0
; COMPUTE_PGM_RSRC2:TGID_X_EN: 1
; COMPUTE_PGM_RSRC2:TGID_Y_EN: 0
; COMPUTE_PGM_RSRC2:TGID_Z_EN: 0
; COMPUTE_PGM_RSRC2:TIDIG_COMP_CNT: 0
	.section	.text._ZN5aiter20topk_softplus_kernelI12hip_bfloat166__halfDv1_fLb0ELi1EEEvPKT_PKT0_PfPimiiif,"axG",@progbits,_ZN5aiter20topk_softplus_kernelI12hip_bfloat166__halfDv1_fLb0ELi1EEEvPKT_PKT0_PfPimiiif,comdat
	.protected	_ZN5aiter20topk_softplus_kernelI12hip_bfloat166__halfDv1_fLb0ELi1EEEvPKT_PKT0_PfPimiiif ; -- Begin function _ZN5aiter20topk_softplus_kernelI12hip_bfloat166__halfDv1_fLb0ELi1EEEvPKT_PKT0_PfPimiiif
	.globl	_ZN5aiter20topk_softplus_kernelI12hip_bfloat166__halfDv1_fLb0ELi1EEEvPKT_PKT0_PfPimiiif
	.p2align	8
	.type	_ZN5aiter20topk_softplus_kernelI12hip_bfloat166__halfDv1_fLb0ELi1EEEvPKT_PKT0_PfPimiiif,@function
_ZN5aiter20topk_softplus_kernelI12hip_bfloat166__halfDv1_fLb0ELi1EEEvPKT_PKT0_PfPimiiif: ; @_ZN5aiter20topk_softplus_kernelI12hip_bfloat166__halfDv1_fLb0ELi1EEEvPKT_PKT0_PfPimiiif
; %bb.0:
	s_clause 0x1
	s_load_b64 s[12:13], s[0:1], 0x28
	s_load_b256 s[4:11], s[0:1], 0x0
	v_lshl_add_u32 v4, v0, 2, 0
	s_waitcnt lgkmcnt(0)
	s_mul_i32 s16, s15, s12
	v_cmp_gt_i32_e64 s2, s12, v0
	s_ashr_i32 s17, s16, 31
	s_delay_alu instid0(SALU_CYCLE_1) | instskip(NEXT) | instid1(SALU_CYCLE_1)
	s_lshl_b64 s[16:17], s[16:17], 1
	s_add_u32 s3, s4, s16
	s_addc_u32 s4, s5, s17
	s_and_saveexec_b32 s5, s2
	s_cbranch_execz .LBB252_5
; %bb.1:
	s_load_b32 s16, s[0:1], 0x44
	s_cmp_lg_u64 s[6:7], 0
	v_lshl_add_u32 v5, v0, 2, 0
	v_mov_b32_e32 v1, v0
	s_cselect_b32 s14, -1, 0
	s_mov_b32 s17, 0
	s_waitcnt lgkmcnt(0)
	s_and_b32 s16, s16, 0xffff
	s_delay_alu instid0(SALU_CYCLE_1)
	s_lshl_b32 s18, s16, 2
	s_set_inst_prefetch_distance 0x1
	s_branch .LBB252_3
	.p2align	6
.LBB252_2:                              ;   in Loop: Header=BB252_3 Depth=1
	v_add_nc_u32_e32 v1, s16, v1
	ds_store_b32 v5, v6
	v_add_nc_u32_e32 v5, s18, v5
	v_cmp_le_i32_e32 vcc_lo, s12, v1
	s_or_b32 s17, vcc_lo, s17
	s_delay_alu instid0(SALU_CYCLE_1)
	s_and_not1_b32 exec_lo, exec_lo, s17
	s_cbranch_execz .LBB252_5
.LBB252_3:                              ; =>This Inner Loop Header: Depth=1
	v_ashrrev_i32_e32 v2, 31, v1
	s_delay_alu instid0(VALU_DEP_1) | instskip(NEXT) | instid1(VALU_DEP_1)
	v_lshlrev_b64 v[2:3], 1, v[1:2]
	v_add_co_u32 v6, vcc_lo, s3, v2
	s_delay_alu instid0(VALU_DEP_2) | instskip(SKIP_3) | instid1(VALU_DEP_1)
	v_add_co_ci_u32_e32 v7, vcc_lo, s4, v3, vcc_lo
	global_load_u16 v6, v[6:7], off
	s_waitcnt vmcnt(0)
	v_cvt_f32_u32_e32 v6, v6
	v_mul_f32_e32 v7, 0xbfb8aa3b, v6
	s_delay_alu instid0(VALU_DEP_1) | instskip(SKIP_1) | instid1(VALU_DEP_1)
	v_cmp_gt_f32_e32 vcc_lo, 0xc2fc0000, v7
	v_cndmask_b32_e64 v7, 0, 0x42800000, vcc_lo
	v_fmac_f32_e32 v7, 0xbfb8aa3b, v6
	s_delay_alu instid0(VALU_DEP_1) | instskip(SKIP_4) | instid1(VALU_DEP_1)
	v_exp_f32_e32 v6, v7
	v_cndmask_b32_e64 v7, 1.0, 0x1f800000, vcc_lo
	s_and_not1_b32 vcc_lo, exec_lo, s14
	s_waitcnt_depctr 0xfff
	v_fma_f32 v6, v6, v7, 1.0
	v_rcp_f32_e32 v6, v6
	s_cbranch_vccnz .LBB252_2
; %bb.4:                                ;   in Loop: Header=BB252_3 Depth=1
	v_add_co_u32 v2, vcc_lo, s6, v2
	v_add_co_ci_u32_e32 v3, vcc_lo, s7, v3, vcc_lo
	global_load_u16 v2, v[2:3], off
	s_waitcnt vmcnt(0)
	v_cvt_f32_f16_e32 v2, v2
	s_delay_alu instid0(VALU_DEP_1)
	v_add_f32_e32 v6, v6, v2
	s_branch .LBB252_2
.LBB252_5:
	s_set_inst_prefetch_distance 0x2
	s_or_b32 exec_lo, exec_lo, s5
	v_add_nc_u32_e32 v1, s12, v0
	s_mov_b32 s5, exec_lo
	s_delay_alu instid0(VALU_DEP_1)
	v_cmpx_gt_i32_e64 s12, v1
	s_cbranch_execz .LBB252_10
; %bb.6:
	s_load_b32 s16, s[0:1], 0x44
	s_cmp_lg_u64 s[6:7], 0
	v_lshl_add_u32 v5, v1, 2, 0
	s_cselect_b32 s14, -1, 0
	s_mov_b32 s17, 0
	s_waitcnt lgkmcnt(0)
	s_and_b32 s16, s16, 0xffff
	s_delay_alu instid0(SALU_CYCLE_1)
	s_lshl_b32 s18, s16, 2
	s_set_inst_prefetch_distance 0x1
	s_branch .LBB252_8
	.p2align	6
.LBB252_7:                              ;   in Loop: Header=BB252_8 Depth=1
	v_add_nc_u32_e32 v1, s16, v1
	v_add_nc_u32_e32 v5, s18, v5
	s_delay_alu instid0(VALU_DEP_2) | instskip(SKIP_1) | instid1(SALU_CYCLE_1)
	v_cmp_le_i32_e32 vcc_lo, s12, v1
	s_or_b32 s17, vcc_lo, s17
	s_and_not1_b32 exec_lo, exec_lo, s17
	s_cbranch_execz .LBB252_10
.LBB252_8:                              ; =>This Inner Loop Header: Depth=1
	v_ashrrev_i32_e32 v2, 31, v1
	s_delay_alu instid0(VALU_DEP_1) | instskip(NEXT) | instid1(VALU_DEP_1)
	v_lshlrev_b64 v[2:3], 1, v[1:2]
	v_add_co_u32 v6, vcc_lo, s3, v2
	s_delay_alu instid0(VALU_DEP_2) | instskip(SKIP_3) | instid1(VALU_DEP_1)
	v_add_co_ci_u32_e32 v7, vcc_lo, s4, v3, vcc_lo
	global_load_u16 v6, v[6:7], off
	s_waitcnt vmcnt(0)
	v_lshlrev_b32_e32 v6, 16, v6
	v_mul_f32_e32 v7, 0xbfb8aa3b, v6
	s_delay_alu instid0(VALU_DEP_1) | instskip(SKIP_1) | instid1(VALU_DEP_1)
	v_cmp_gt_f32_e32 vcc_lo, 0xc2fc0000, v7
	v_cndmask_b32_e64 v7, 0, 0x42800000, vcc_lo
	v_fmac_f32_e32 v7, 0xbfb8aa3b, v6
	s_delay_alu instid0(VALU_DEP_1) | instskip(SKIP_4) | instid1(VALU_DEP_1)
	v_exp_f32_e32 v6, v7
	v_cndmask_b32_e64 v7, 1.0, 0x1f800000, vcc_lo
	s_and_not1_b32 vcc_lo, exec_lo, s14
	s_waitcnt_depctr 0xfff
	v_fma_f32 v6, v6, v7, 1.0
	v_rcp_f32_e32 v6, v6
	ds_store_b32 v5, v6
	s_cbranch_vccnz .LBB252_7
; %bb.9:                                ;   in Loop: Header=BB252_8 Depth=1
	v_add_co_u32 v2, vcc_lo, s6, v2
	v_add_co_ci_u32_e32 v3, vcc_lo, s7, v3, vcc_lo
	global_load_u16 v2, v[2:3], off
	s_waitcnt vmcnt(0)
	v_cvt_f32_f16_e32 v2, v2
	s_delay_alu instid0(VALU_DEP_1)
	v_add_f32_e32 v2, v6, v2
	ds_store_b32 v5, v2
	s_branch .LBB252_7
.LBB252_10:
	s_set_inst_prefetch_distance 0x2
	s_or_b32 exec_lo, exec_lo, s5
	s_cmp_lt_i32 s13, 1
	s_waitcnt lgkmcnt(0)
	s_barrier
	buffer_gl0_inv
	s_cbranch_scc1 .LBB252_19
; %bb.11:
	s_add_u32 s4, s0, 56
	s_addc_u32 s5, s1, 0
	v_dual_mov_b32 v3, 0 :: v_dual_mov_b32 v2, 0
	v_mov_b32_e32 v1, 0
	v_mov_b32_e32 v5, 0xff800000
	s_cmp_lg_u64 s[6:7], 0
	s_mov_b32 s14, 0
	s_cselect_b32 s3, -1, 0
	s_mov_b32 s18, 0x76543210
	s_branch .LBB252_13
.LBB252_12:                             ;   in Loop: Header=BB252_13 Depth=1
	v_cmp_eq_u32_e32 vcc_lo, s14, v0
	s_delay_alu instid0(VALU_DEP_2)
	s_lshl_b32 s17, s16, 2
	s_add_i32 s14, s14, 1
	s_add_i32 s17, s17, 0
	s_cmp_eq_u32 s14, s13
	v_cndmask_b32_e64 v1, v1, s16, vcc_lo
	v_mov_b32_e32 v6, s17
	v_cndmask_b32_e32 v2, v2, v8, vcc_lo
	ds_store_b32 v6, v5
	s_cbranch_scc1 .LBB252_20
.LBB252_13:                             ; =>This Loop Header: Depth=1
                                        ;     Child Loop BB252_15 Depth 2
	v_dual_mov_b32 v6, s14 :: v_dual_mov_b32 v7, 0xff800000
	s_and_saveexec_b32 s16, s2
	s_cbranch_execz .LBB252_17
; %bb.14:                               ;   in Loop: Header=BB252_13 Depth=1
	s_load_b32 s17, s[4:5], 0xc
	v_dual_mov_b32 v6, s14 :: v_dual_mov_b32 v7, 0xff800000
	v_mov_b32_e32 v8, v4
	v_mov_b32_e32 v9, v0
	s_mov_b32 s19, 0
	s_waitcnt lgkmcnt(0)
	s_and_b32 s17, s17, 0xffff
	s_delay_alu instid0(SALU_CYCLE_1)
	s_lshl_b32 s20, s17, 2
.LBB252_15:                             ;   Parent Loop BB252_13 Depth=1
                                        ; =>  This Inner Loop Header: Depth=2
	ds_load_b32 v10, v8
	v_add_nc_u32_e32 v8, s20, v8
	s_waitcnt lgkmcnt(0)
	v_cmp_gt_f32_e32 vcc_lo, v10, v7
	v_dual_cndmask_b32 v7, v7, v10 :: v_dual_cndmask_b32 v6, v6, v9
	v_add_nc_u32_e32 v9, s17, v9
	s_delay_alu instid0(VALU_DEP_1) | instskip(SKIP_1) | instid1(SALU_CYCLE_1)
	v_cmp_le_i32_e32 vcc_lo, s12, v9
	s_or_b32 s19, vcc_lo, s19
	s_and_not1_b32 exec_lo, exec_lo, s19
	s_cbranch_execnz .LBB252_15
; %bb.16:                               ;   in Loop: Header=BB252_13 Depth=1
	s_or_b32 exec_lo, exec_lo, s19
.LBB252_17:                             ;   in Loop: Header=BB252_13 Depth=1
	s_delay_alu instid0(SALU_CYCLE_1)
	s_or_b32 exec_lo, exec_lo, s16
	;;#ASMSTART
	v_max_f32 v8, v7, v7 quad_perm:[1,0,3,2] row_mask:0xf bank_mask:0xf bound_ctrl:1
	;;#ASMEND
	;;#ASMSTART
	v_max_f32 v9, v8, v8 quad_perm:[2,3,0,1] row_mask:0xf bank_mask:0xf bound_ctrl:1
	;;#ASMEND
	;;#ASMSTART
	v_max_f32 v8, v9, v9 row_half_mirror row_mask:0xf bank_mask:0xf bound_ctrl:1
	;;#ASMEND
	;;#ASMSTART
	v_max_f32 v9, v8, v8 row_mirror row_mask:0xf bank_mask:0xf bound_ctrl:1
	;;#ASMEND
	v_permlanex16_b32 v8, v9, s18, 0xfedcba98 op_sel:[1,1]
	s_delay_alu instid0(VALU_DEP_1) | instskip(NEXT) | instid1(VALU_DEP_1)
	v_dual_max_f32 v9, v9, v9 :: v_dual_max_f32 v8, v8, v8
	v_max_f32_e32 v8, v9, v8
	s_delay_alu instid0(VALU_DEP_1)
	v_cmp_eq_f32_e32 vcc_lo, v7, v8
	s_ctz_i32_b32 s16, vcc_lo
	s_cmp_lg_u32 vcc_lo, 0
	s_cselect_b32 s16, s16, 0
	s_and_b32 vcc_lo, exec_lo, s3
	v_readlane_b32 s16, v6, s16
	s_cbranch_vccz .LBB252_12
; %bb.18:                               ;   in Loop: Header=BB252_13 Depth=1
	s_delay_alu instid0(VALU_DEP_1) | instskip(NEXT) | instid1(SALU_CYCLE_1)
	s_ashr_i32 s17, s16, 31
	s_lshl_b64 s[20:21], s[16:17], 1
	s_delay_alu instid0(SALU_CYCLE_1) | instskip(SKIP_4) | instid1(VALU_DEP_1)
	s_add_u32 s20, s6, s20
	s_addc_u32 s21, s7, s21
	global_load_u16 v6, v3, s[20:21]
	s_waitcnt vmcnt(0)
	v_cvt_f32_f16_e32 v6, v6
	v_sub_f32_e32 v8, v8, v6
	s_branch .LBB252_12
.LBB252_19:
	v_dual_mov_b32 v2, 0 :: v_dual_mov_b32 v1, 0
.LBB252_20:
	s_mov_b32 s2, exec_lo
	v_cmpx_gt_i32_e64 s13, v0
	s_cbranch_execz .LBB252_23
; %bb.21:
	s_clause 0x2
	s_load_b32 s4, s[0:1], 0x34
	s_load_b64 s[2:3], s[0:1], 0x20
	s_load_b32 s0, s[0:1], 0x44
	s_ashr_i32 s1, s15, 31
	s_waitcnt lgkmcnt(0)
	v_mul_f32_e32 v2, s4, v2
	s_mul_i32 s3, s15, s3
	s_mul_hi_u32 s4, s15, s2
	s_mul_i32 s5, s1, s2
	s_add_i32 s3, s4, s3
	s_mul_i32 s1, s15, s2
	s_and_b32 s2, s0, 0xffff
	s_add_i32 s3, s3, s5
	s_mov_b32 s4, 0
	.p2align	6
.LBB252_22:                             ; =>This Inner Loop Header: Depth=1
	v_ashrrev_i32_e32 v4, 31, v0
	v_add_co_u32 v3, vcc_lo, s1, v0
	v_add_nc_u32_e32 v0, s2, v0
	s_delay_alu instid0(VALU_DEP_3) | instskip(NEXT) | instid1(VALU_DEP_2)
	v_add_co_ci_u32_e32 v4, vcc_lo, s3, v4, vcc_lo
	v_cmp_le_i32_e32 vcc_lo, s13, v0
	s_delay_alu instid0(VALU_DEP_2) | instskip(SKIP_1) | instid1(VALU_DEP_1)
	v_lshlrev_b64 v[3:4], 2, v[3:4]
	s_or_b32 s4, vcc_lo, s4
	v_add_co_u32 v5, s0, s8, v3
	s_delay_alu instid0(VALU_DEP_1) | instskip(SKIP_1) | instid1(VALU_DEP_1)
	v_add_co_ci_u32_e64 v6, s0, s9, v4, s0
	v_add_co_u32 v3, s0, s10, v3
	v_add_co_ci_u32_e64 v4, s0, s11, v4, s0
	global_store_b32 v[5:6], v2, off
	global_store_b32 v[3:4], v1, off
	s_and_not1_b32 exec_lo, exec_lo, s4
	s_cbranch_execnz .LBB252_22
.LBB252_23:
	s_nop 0
	s_sendmsg sendmsg(MSG_DEALLOC_VGPRS)
	s_endpgm
	.section	.rodata,"a",@progbits
	.p2align	6, 0x0
	.amdhsa_kernel _ZN5aiter20topk_softplus_kernelI12hip_bfloat166__halfDv1_fLb0ELi1EEEvPKT_PKT0_PfPimiiif
		.amdhsa_group_segment_fixed_size 0
		.amdhsa_private_segment_fixed_size 0
		.amdhsa_kernarg_size 312
		.amdhsa_user_sgpr_count 15
		.amdhsa_user_sgpr_dispatch_ptr 0
		.amdhsa_user_sgpr_queue_ptr 0
		.amdhsa_user_sgpr_kernarg_segment_ptr 1
		.amdhsa_user_sgpr_dispatch_id 0
		.amdhsa_user_sgpr_private_segment_size 0
		.amdhsa_wavefront_size32 1
		.amdhsa_uses_dynamic_stack 0
		.amdhsa_enable_private_segment 0
		.amdhsa_system_sgpr_workgroup_id_x 1
		.amdhsa_system_sgpr_workgroup_id_y 0
		.amdhsa_system_sgpr_workgroup_id_z 0
		.amdhsa_system_sgpr_workgroup_info 0
		.amdhsa_system_vgpr_workitem_id 0
		.amdhsa_next_free_vgpr 11
		.amdhsa_next_free_sgpr 22
		.amdhsa_reserve_vcc 1
		.amdhsa_float_round_mode_32 0
		.amdhsa_float_round_mode_16_64 0
		.amdhsa_float_denorm_mode_32 3
		.amdhsa_float_denorm_mode_16_64 3
		.amdhsa_dx10_clamp 1
		.amdhsa_ieee_mode 1
		.amdhsa_fp16_overflow 0
		.amdhsa_workgroup_processor_mode 1
		.amdhsa_memory_ordered 1
		.amdhsa_forward_progress 0
		.amdhsa_shared_vgpr_count 0
		.amdhsa_exception_fp_ieee_invalid_op 0
		.amdhsa_exception_fp_denorm_src 0
		.amdhsa_exception_fp_ieee_div_zero 0
		.amdhsa_exception_fp_ieee_overflow 0
		.amdhsa_exception_fp_ieee_underflow 0
		.amdhsa_exception_fp_ieee_inexact 0
		.amdhsa_exception_int_div_zero 0
	.end_amdhsa_kernel
	.section	.text._ZN5aiter20topk_softplus_kernelI12hip_bfloat166__halfDv1_fLb0ELi1EEEvPKT_PKT0_PfPimiiif,"axG",@progbits,_ZN5aiter20topk_softplus_kernelI12hip_bfloat166__halfDv1_fLb0ELi1EEEvPKT_PKT0_PfPimiiif,comdat
.Lfunc_end252:
	.size	_ZN5aiter20topk_softplus_kernelI12hip_bfloat166__halfDv1_fLb0ELi1EEEvPKT_PKT0_PfPimiiif, .Lfunc_end252-_ZN5aiter20topk_softplus_kernelI12hip_bfloat166__halfDv1_fLb0ELi1EEEvPKT_PKT0_PfPimiiif
                                        ; -- End function
	.section	.AMDGPU.csdata,"",@progbits
; Kernel info:
; codeLenInByte = 1324
; NumSgprs: 24
; NumVgprs: 11
; ScratchSize: 0
; MemoryBound: 0
; FloatMode: 240
; IeeeMode: 1
; LDSByteSize: 0 bytes/workgroup (compile time only)
; SGPRBlocks: 2
; VGPRBlocks: 1
; NumSGPRsForWavesPerEU: 24
; NumVGPRsForWavesPerEU: 11
; Occupancy: 16
; WaveLimiterHint : 0
; COMPUTE_PGM_RSRC2:SCRATCH_EN: 0
; COMPUTE_PGM_RSRC2:USER_SGPR: 15
; COMPUTE_PGM_RSRC2:TRAP_HANDLER: 0
; COMPUTE_PGM_RSRC2:TGID_X_EN: 1
; COMPUTE_PGM_RSRC2:TGID_Y_EN: 0
; COMPUTE_PGM_RSRC2:TGID_Z_EN: 0
; COMPUTE_PGM_RSRC2:TIDIG_COMP_CNT: 0
	.section	.text._ZN5aiter20topk_softplus_kernelI12hip_bfloat166__halfDv4_fLb1ELi2EEEvPKT_PKT0_PfPimiiif,"axG",@progbits,_ZN5aiter20topk_softplus_kernelI12hip_bfloat166__halfDv4_fLb1ELi2EEEvPKT_PKT0_PfPimiiif,comdat
	.protected	_ZN5aiter20topk_softplus_kernelI12hip_bfloat166__halfDv4_fLb1ELi2EEEvPKT_PKT0_PfPimiiif ; -- Begin function _ZN5aiter20topk_softplus_kernelI12hip_bfloat166__halfDv4_fLb1ELi2EEEvPKT_PKT0_PfPimiiif
	.globl	_ZN5aiter20topk_softplus_kernelI12hip_bfloat166__halfDv4_fLb1ELi2EEEvPKT_PKT0_PfPimiiif
	.p2align	8
	.type	_ZN5aiter20topk_softplus_kernelI12hip_bfloat166__halfDv4_fLb1ELi2EEEvPKT_PKT0_PfPimiiif,@function
_ZN5aiter20topk_softplus_kernelI12hip_bfloat166__halfDv4_fLb1ELi2EEEvPKT_PKT0_PfPimiiif: ; @_ZN5aiter20topk_softplus_kernelI12hip_bfloat166__halfDv4_fLb1ELi2EEEvPKT_PKT0_PfPimiiif
; %bb.0:
	s_clause 0x1
	s_load_b64 s[12:13], s[0:1], 0x28
	s_load_b256 s[4:11], s[0:1], 0x0
	v_lshl_add_u32 v3, v0, 4, 0
	s_waitcnt lgkmcnt(0)
	s_ashr_i32 s2, s12, 31
	s_mul_i32 s16, s15, s12
	s_lshr_b32 s2, s2, 30
	s_ashr_i32 s17, s16, 31
	s_add_i32 s2, s12, s2
	s_delay_alu instid0(SALU_CYCLE_1) | instskip(NEXT) | instid1(SALU_CYCLE_1)
	s_ashr_i32 s14, s2, 2
	v_cmp_gt_i32_e64 s2, s14, v0
	s_delay_alu instid0(VALU_DEP_1)
	s_and_saveexec_b32 s18, s2
	s_cbranch_execz .LBB253_3
; %bb.1:
	s_load_b32 s3, s[0:1], 0x44
	v_lshlrev_b32_e32 v1, 3, v0
	s_lshl_b64 s[20:21], s[16:17], 1
	v_lshl_add_u32 v4, v0, 4, 0
	v_mov_b32_e32 v5, v0
	s_waitcnt lgkmcnt(0)
	s_and_b32 s19, s3, 0xffff
	s_add_u32 s3, s4, s20
	s_addc_u32 s20, s5, s21
	v_add_co_u32 v1, s3, s3, v1
	s_delay_alu instid0(VALU_DEP_1)
	v_add_co_ci_u32_e64 v2, null, s20, 0, s3
	s_mov_b32 s20, 0
	s_lshl_b32 s21, s19, 3
	s_lshl_b32 s22, s19, 4
	.p2align	6
.LBB253_2:                              ; =>This Inner Loop Header: Depth=1
	global_load_b64 v[6:7], v[1:2], off
	v_add_nc_u32_e32 v5, s19, v5
	v_add_co_u32 v1, vcc_lo, v1, s21
	v_add_co_ci_u32_e32 v2, vcc_lo, 0, v2, vcc_lo
	s_delay_alu instid0(VALU_DEP_3) | instskip(NEXT) | instid1(VALU_DEP_1)
	v_cmp_le_i32_e64 s3, s14, v5
	s_or_b32 s20, s3, s20
	s_waitcnt vmcnt(0)
	v_lshrrev_b32_e32 v8, 16, v6
	v_and_b32_e32 v6, 0xffff, v6
	v_lshrrev_b32_e32 v9, 16, v7
	v_and_b32_e32 v10, 0xffff, v7
	s_delay_alu instid0(VALU_DEP_4) | instskip(NEXT) | instid1(VALU_DEP_4)
	v_cvt_f32_u32_e32 v7, v8
	v_cvt_f32_u32_e32 v6, v6
	s_delay_alu instid0(VALU_DEP_4) | instskip(NEXT) | instid1(VALU_DEP_4)
	v_cvt_f32_u32_e32 v9, v9
	v_cvt_f32_u32_e32 v8, v10
	ds_store_b128 v4, v[6:9]
	v_add_nc_u32_e32 v4, s22, v4
	s_and_not1_b32 exec_lo, exec_lo, s20
	s_cbranch_execnz .LBB253_2
.LBB253_3:
	s_or_b32 exec_lo, exec_lo, s18
	v_lshl_add_u32 v1, s14, 2, v0
	v_lshlrev_b32_e32 v4, 2, v0
	s_mov_b32 s3, exec_lo
	s_delay_alu instid0(VALU_DEP_2)
	v_cmpx_gt_i32_e64 s12, v1
	s_cbranch_execz .LBB253_6
; %bb.4:
	s_load_b32 s18, s[0:1], 0x44
	s_lshl_b64 s[16:17], s[16:17], 1
	v_lshlrev_b32_e32 v2, 2, v0
	s_add_u32 s4, s4, s16
	s_addc_u32 s5, s5, s17
	s_lshl_b32 s16, s14, 4
	s_mov_b32 s17, 0
	v_add3_u32 v5, 0, s16, v2
	s_waitcnt lgkmcnt(0)
	s_and_b32 s16, s18, 0xffff
	s_delay_alu instid0(SALU_CYCLE_1)
	s_lshl_b32 s18, s16, 2
	.p2align	6
.LBB253_5:                              ; =>This Inner Loop Header: Depth=1
	v_ashrrev_i32_e32 v2, 31, v1
	s_delay_alu instid0(VALU_DEP_1) | instskip(SKIP_1) | instid1(VALU_DEP_2)
	v_lshlrev_b64 v[6:7], 1, v[1:2]
	v_add_nc_u32_e32 v1, s16, v1
	v_add_co_u32 v6, vcc_lo, s4, v6
	s_delay_alu instid0(VALU_DEP_3) | instskip(NEXT) | instid1(VALU_DEP_3)
	v_add_co_ci_u32_e32 v7, vcc_lo, s5, v7, vcc_lo
	v_cmp_le_i32_e32 vcc_lo, s12, v1
	global_load_u16 v2, v[6:7], off
	s_or_b32 s17, vcc_lo, s17
	s_waitcnt vmcnt(0)
	v_lshlrev_b32_e32 v2, 16, v2
	ds_store_b32 v5, v2
	v_add_nc_u32_e32 v5, s18, v5
	s_and_not1_b32 exec_lo, exec_lo, s17
	s_cbranch_execnz .LBB253_5
.LBB253_6:
	s_or_b32 exec_lo, exec_lo, s3
	v_cmp_gt_i32_e32 vcc_lo, s12, v0
	v_mov_b32_e32 v2, 0xff800000
	s_waitcnt lgkmcnt(0)
	s_barrier
	buffer_gl0_inv
	s_and_saveexec_b32 s4, vcc_lo
	s_cbranch_execz .LBB253_10
; %bb.7:
	s_load_b32 s3, s[0:1], 0x44
	v_lshl_add_u32 v1, v0, 2, 0
	v_dual_mov_b32 v2, 0xff800000 :: v_dual_mov_b32 v5, v0
	s_mov_b32 s5, 0
	s_waitcnt lgkmcnt(0)
	s_and_b32 s16, s3, 0xffff
	s_delay_alu instid0(SALU_CYCLE_1)
	s_lshl_b32 s17, s16, 2
.LBB253_8:                              ; =>This Inner Loop Header: Depth=1
	ds_load_b32 v6, v1
	v_dual_max_f32 v2, v2, v2 :: v_dual_add_nc_u32 v5, s16, v5
	v_add_nc_u32_e32 v1, s17, v1
	s_delay_alu instid0(VALU_DEP_2) | instskip(NEXT) | instid1(VALU_DEP_1)
	v_cmp_le_i32_e64 s3, s12, v5
	s_or_b32 s5, s3, s5
	s_waitcnt lgkmcnt(0)
	v_max_f32_e32 v6, v6, v6
	s_delay_alu instid0(VALU_DEP_1)
	v_max_f32_e32 v2, v2, v6
	s_and_not1_b32 exec_lo, exec_lo, s5
	s_cbranch_execnz .LBB253_8
; %bb.9:
	s_or_b32 exec_lo, exec_lo, s5
.LBB253_10:
	s_delay_alu instid0(SALU_CYCLE_1)
	s_or_b32 exec_lo, exec_lo, s4
	v_mov_b32_e32 v1, 0
	;;#ASMSTART
	v_max_f32 v5, v2, v2 quad_perm:[1,0,3,2] row_mask:0xf bank_mask:0xf bound_ctrl:1
	;;#ASMEND
	;;#ASMSTART
	v_max_f32 v2, v5, v5 quad_perm:[2,3,0,1] row_mask:0xf bank_mask:0xf bound_ctrl:1
	;;#ASMEND
	;;#ASMSTART
	v_max_f32 v5, v2, v2 row_half_mirror row_mask:0xf bank_mask:0xf bound_ctrl:1
	;;#ASMEND
	;;#ASMSTART
	v_max_f32 v2, v5, v5 row_mirror row_mask:0xf bank_mask:0xf bound_ctrl:1
	;;#ASMEND
	s_and_saveexec_b32 s4, vcc_lo
	s_cbranch_execz .LBB253_14
; %bb.11:
	s_load_b32 s3, s[0:1], 0x44
	s_mov_b32 s5, 0x76543210
	v_lshl_add_u32 v5, v0, 2, 0
	v_permlanex16_b32 v1, v2, s5, 0xfedcba98 op_sel:[1,1]
	v_mov_b32_e32 v6, v0
	s_mov_b32 s5, 0
	s_delay_alu instid0(VALU_DEP_2) | instskip(NEXT) | instid1(VALU_DEP_1)
	v_dual_max_f32 v2, v2, v2 :: v_dual_max_f32 v1, v1, v1
	v_dual_max_f32 v2, v2, v1 :: v_dual_mov_b32 v1, 0
	s_waitcnt lgkmcnt(0)
	s_and_b32 s16, s3, 0xffff
	s_delay_alu instid0(SALU_CYCLE_1)
	s_lshl_b32 s17, s16, 2
	.p2align	6
.LBB253_12:                             ; =>This Inner Loop Header: Depth=1
	ds_load_b32 v7, v5
	s_waitcnt lgkmcnt(0)
	v_sub_f32_e32 v7, v7, v2
	s_delay_alu instid0(VALU_DEP_1) | instskip(NEXT) | instid1(VALU_DEP_1)
	v_mul_f32_e32 v8, 0x3fb8aa3b, v7
	v_cmp_gt_f32_e64 s3, 0xc2fc0000, v8
	s_delay_alu instid0(VALU_DEP_1) | instskip(NEXT) | instid1(VALU_DEP_1)
	v_cndmask_b32_e64 v8, 0, 0x42800000, s3
	v_fmac_f32_e32 v8, 0x3fb8aa3b, v7
	s_delay_alu instid0(VALU_DEP_1) | instskip(SKIP_3) | instid1(VALU_DEP_1)
	v_exp_f32_e32 v7, v8
	v_cndmask_b32_e64 v8, 1.0, 0x1f800000, s3
	s_waitcnt_depctr 0xfff
	v_dual_mul_f32 v9, v7, v8 :: v_dual_add_nc_u32 v6, s16, v6
	v_cmp_le_i32_e64 s3, s12, v6
	v_fmac_f32_e32 v1, v7, v8
	ds_store_b32 v5, v9
	v_add_nc_u32_e32 v5, s17, v5
	s_or_b32 s5, s3, s5
	s_delay_alu instid0(SALU_CYCLE_1)
	s_and_not1_b32 exec_lo, exec_lo, s5
	s_cbranch_execnz .LBB253_12
; %bb.13:
	s_or_b32 exec_lo, exec_lo, s5
.LBB253_14:
	s_delay_alu instid0(SALU_CYCLE_1) | instskip(SKIP_1) | instid1(VALU_DEP_1)
	s_or_b32 exec_lo, exec_lo, s4
	v_mov_b32_dpp v2, v1 quad_perm:[1,0,3,2] row_mask:0xf bank_mask:0xf
	v_add_f32_e32 v1, v1, v2
	s_delay_alu instid0(VALU_DEP_1) | instskip(NEXT) | instid1(VALU_DEP_1)
	v_mov_b32_dpp v2, v1 quad_perm:[2,3,0,1] row_mask:0xf bank_mask:0xf
	v_add_f32_e32 v1, v1, v2
	s_delay_alu instid0(VALU_DEP_1) | instskip(NEXT) | instid1(VALU_DEP_1)
	v_mov_b32_dpp v2, v1 row_xmask:7 row_mask:0xf bank_mask:0xf
	v_add_f32_e32 v1, v1, v2
	s_delay_alu instid0(VALU_DEP_1)
	v_mov_b32_dpp v2, v1 row_xmask:15 row_mask:0xf bank_mask:0xf
	s_and_saveexec_b32 s3, vcc_lo
	s_cbranch_execz .LBB253_19
; %bb.15:
	s_delay_alu instid0(VALU_DEP_1)
	v_add_f32_e32 v1, v1, v2
	s_load_b32 s5, s[0:1], 0x44
	s_mov_b32 s4, 0x76543210
	s_cmp_lg_u64 s[6:7], 0
	v_lshl_add_u32 v6, v0, 2, 0
	v_permlanex16_b32 v2, v1, s4, 0xfedcba98 op_sel:[1,1]
	s_cselect_b32 s4, -1, 0
	s_mov_b32 s16, 0
	s_delay_alu instid0(VALU_DEP_1) | instskip(NEXT) | instid1(VALU_DEP_1)
	v_add_f32_e32 v1, v1, v2
	v_rcp_f32_e32 v5, v1
	v_mov_b32_e32 v1, v0
	s_waitcnt lgkmcnt(0)
	s_and_b32 s5, s5, 0xffff
	s_delay_alu instid0(SALU_CYCLE_1)
	s_lshl_b32 s17, s5, 2
	s_set_inst_prefetch_distance 0x1
	s_branch .LBB253_17
	.p2align	6
.LBB253_16:                             ;   in Loop: Header=BB253_17 Depth=1
	v_add_nc_u32_e32 v1, s5, v1
	v_add_nc_u32_e32 v6, s17, v6
	s_delay_alu instid0(VALU_DEP_2) | instskip(SKIP_1) | instid1(SALU_CYCLE_1)
	v_cmp_le_i32_e32 vcc_lo, s12, v1
	s_or_b32 s16, vcc_lo, s16
	s_and_not1_b32 exec_lo, exec_lo, s16
	s_cbranch_execz .LBB253_19
.LBB253_17:                             ; =>This Inner Loop Header: Depth=1
	ds_load_b32 v2, v6
	s_and_not1_b32 vcc_lo, exec_lo, s4
	s_waitcnt lgkmcnt(0)
	v_mul_f32_e32 v7, v5, v2
	ds_store_b32 v6, v7
	s_cbranch_vccnz .LBB253_16
; %bb.18:                               ;   in Loop: Header=BB253_17 Depth=1
	v_ashrrev_i32_e32 v2, 31, v1
	s_delay_alu instid0(VALU_DEP_1) | instskip(NEXT) | instid1(VALU_DEP_1)
	v_lshlrev_b64 v[8:9], 1, v[1:2]
	v_add_co_u32 v8, vcc_lo, s6, v8
	s_delay_alu instid0(VALU_DEP_2) | instskip(SKIP_3) | instid1(VALU_DEP_1)
	v_add_co_ci_u32_e32 v9, vcc_lo, s7, v9, vcc_lo
	global_load_u16 v2, v[8:9], off
	s_waitcnt vmcnt(0)
	v_cvt_f32_f16_e32 v2, v2
	v_add_f32_e32 v2, v7, v2
	ds_store_b32 v6, v2
	s_branch .LBB253_16
.LBB253_19:
	s_set_inst_prefetch_distance 0x2
	s_or_b32 exec_lo, exec_lo, s3
	v_mov_b32_e32 v2, 0
	s_cmp_lt_i32 s13, 1
	s_waitcnt lgkmcnt(0)
	s_barrier
	buffer_gl0_inv
	s_cbranch_scc1 .LBB253_28
; %bb.20:
	s_add_u32 s4, s0, 56
	s_addc_u32 s5, s1, 0
	v_dual_mov_b32 v2, 0 :: v_dual_mov_b32 v7, 0xff800000
	v_dual_mov_b32 v6, 0 :: v_dual_mov_b32 v1, 0
	v_mov_b32_e32 v5, 0
	s_cmp_lg_u64 s[6:7], 0
	s_mov_b32 s18, 0
	s_cselect_b32 s12, -1, 0
	s_mov_b32 s19, 0x76543210
	s_branch .LBB253_22
.LBB253_21:                             ;   in Loop: Header=BB253_22 Depth=1
	v_cmp_eq_u32_e32 vcc_lo, s18, v0
	s_delay_alu instid0(VALU_DEP_2)
	s_lshl_b32 s3, s16, 2
	s_add_i32 s18, s18, 1
	s_add_i32 s3, s3, 0
	v_add_f32_e32 v5, v5, v10
	v_cndmask_b32_e64 v1, v1, s16, vcc_lo
	v_mov_b32_e32 v8, s3
	v_cndmask_b32_e32 v2, v2, v10, vcc_lo
	s_cmp_eq_u32 s18, s13
	ds_store_b32 v8, v7
	s_cbranch_scc1 .LBB253_29
.LBB253_22:                             ; =>This Loop Header: Depth=1
                                        ;     Child Loop BB253_24 Depth 2
	v_dual_mov_b32 v8, s18 :: v_dual_mov_b32 v9, 0xff800000
	s_and_saveexec_b32 s16, s2
	s_cbranch_execz .LBB253_26
; %bb.23:                               ;   in Loop: Header=BB253_22 Depth=1
	s_load_b32 s3, s[4:5], 0xc
	v_dual_mov_b32 v8, s18 :: v_dual_mov_b32 v9, 0xff800000
	v_dual_mov_b32 v10, v3 :: v_dual_mov_b32 v11, v4
	v_mov_b32_e32 v12, v0
	s_mov_b32 s21, 0
	s_waitcnt lgkmcnt(0)
	s_and_b32 s17, s3, 0xffff
	s_delay_alu instid0(SALU_CYCLE_1)
	s_lshl_b32 s20, s17, 2
	s_lshl_b32 s22, s17, 4
	.p2align	6
.LBB253_24:                             ;   Parent Loop BB253_22 Depth=1
                                        ; =>  This Inner Loop Header: Depth=2
	ds_load_b128 v[13:16], v10
	v_add_nc_u32_e32 v12, s17, v12
	s_delay_alu instid0(VALU_DEP_1) | instskip(NEXT) | instid1(VALU_DEP_1)
	v_cmp_le_i32_e64 s3, s14, v12
	s_or_b32 s21, s3, s21
	s_waitcnt lgkmcnt(0)
	v_cmp_gt_f32_e32 vcc_lo, v13, v9
	v_dual_cndmask_b32 v9, v9, v13 :: v_dual_cndmask_b32 v8, v8, v11
	s_delay_alu instid0(VALU_DEP_1) | instskip(SKIP_2) | instid1(VALU_DEP_1)
	v_cmp_gt_f32_e32 vcc_lo, v14, v9
	v_dual_cndmask_b32 v9, v9, v14 :: v_dual_add_nc_u32 v14, 2, v11
	v_add_nc_u32_e32 v13, 1, v11
	v_cndmask_b32_e32 v8, v8, v13, vcc_lo
	s_delay_alu instid0(VALU_DEP_3) | instskip(SKIP_1) | instid1(VALU_DEP_3)
	v_cmp_gt_f32_e32 vcc_lo, v15, v9
	v_add_nc_u32_e32 v13, 3, v11
	v_dual_cndmask_b32 v9, v9, v15 :: v_dual_cndmask_b32 v8, v8, v14
	s_delay_alu instid0(VALU_DEP_1) | instskip(SKIP_1) | instid1(VALU_DEP_3)
	v_cmp_gt_f32_e32 vcc_lo, v16, v9
	v_add_nc_u32_e32 v10, s22, v10
	v_dual_cndmask_b32 v8, v8, v13 :: v_dual_add_nc_u32 v11, s20, v11
	v_cndmask_b32_e32 v9, v9, v16, vcc_lo
	s_and_not1_b32 exec_lo, exec_lo, s21
	s_cbranch_execnz .LBB253_24
; %bb.25:                               ;   in Loop: Header=BB253_22 Depth=1
	s_or_b32 exec_lo, exec_lo, s21
.LBB253_26:                             ;   in Loop: Header=BB253_22 Depth=1
	s_delay_alu instid0(SALU_CYCLE_1)
	s_or_b32 exec_lo, exec_lo, s16
	;;#ASMSTART
	v_max_f32 v10, v9, v9 quad_perm:[1,0,3,2] row_mask:0xf bank_mask:0xf bound_ctrl:1
	;;#ASMEND
	;;#ASMSTART
	v_max_f32 v11, v10, v10 quad_perm:[2,3,0,1] row_mask:0xf bank_mask:0xf bound_ctrl:1
	;;#ASMEND
	;;#ASMSTART
	v_max_f32 v10, v11, v11 row_half_mirror row_mask:0xf bank_mask:0xf bound_ctrl:1
	;;#ASMEND
	;;#ASMSTART
	v_max_f32 v11, v10, v10 row_mirror row_mask:0xf bank_mask:0xf bound_ctrl:1
	;;#ASMEND
	v_permlanex16_b32 v10, v11, s19, 0xfedcba98 op_sel:[1,1]
	s_delay_alu instid0(VALU_DEP_1) | instskip(NEXT) | instid1(VALU_DEP_1)
	v_dual_max_f32 v11, v11, v11 :: v_dual_max_f32 v10, v10, v10
	v_max_f32_e32 v10, v11, v10
	s_delay_alu instid0(VALU_DEP_1)
	v_cmp_eq_f32_e32 vcc_lo, v9, v10
	s_ctz_i32_b32 s3, vcc_lo
	s_cmp_lg_u32 vcc_lo, 0
	s_cselect_b32 s3, s3, 0
	s_and_b32 vcc_lo, exec_lo, s12
	v_readlane_b32 s16, v8, s3
	s_cbranch_vccz .LBB253_21
; %bb.27:                               ;   in Loop: Header=BB253_22 Depth=1
	s_delay_alu instid0(VALU_DEP_1) | instskip(NEXT) | instid1(SALU_CYCLE_1)
	s_ashr_i32 s17, s16, 31
	s_lshl_b64 s[20:21], s[16:17], 1
	s_delay_alu instid0(SALU_CYCLE_1) | instskip(SKIP_4) | instid1(VALU_DEP_1)
	s_add_u32 s20, s6, s20
	s_addc_u32 s21, s7, s21
	global_load_u16 v8, v6, s[20:21]
	s_waitcnt vmcnt(0)
	v_cvt_f32_f16_e32 v8, v8
	v_sub_f32_e32 v10, v10, v8
	s_branch .LBB253_21
.LBB253_28:
	v_mov_b32_e32 v1, 0
	v_mov_b32_e32 v5, 0
.LBB253_29:
	s_mov_b32 s2, exec_lo
	v_cmpx_gt_i32_e64 s13, v0
	s_cbranch_execz .LBB253_32
; %bb.30:
	s_clause 0x1
	s_load_b32 s2, s[0:1], 0x34
	s_load_b32 s3, s[0:1], 0x44
	v_max_f32_e32 v3, v5, v5
	s_load_b64 s[0:1], s[0:1], 0x20
	s_ashr_i32 s4, s15, 31
	s_delay_alu instid0(VALU_DEP_1) | instskip(SKIP_1) | instid1(VALU_DEP_1)
	v_max_f32_e32 v3, 0x1e3ce508, v3
	s_waitcnt lgkmcnt(0)
	v_div_scale_f32 v4, null, v3, v3, s2
	v_div_scale_f32 v7, vcc_lo, s2, v3, s2
	s_mul_i32 s1, s15, s1
	s_delay_alu instid0(VALU_DEP_2) | instskip(SKIP_4) | instid1(VALU_DEP_1)
	v_rcp_f32_e32 v5, v4
	s_mul_i32 s4, s4, s0
	s_and_b32 s3, s3, 0xffff
	s_waitcnt_depctr 0xfff
	v_fma_f32 v6, -v4, v5, 1.0
	v_fmac_f32_e32 v5, v6, v5
	s_delay_alu instid0(VALU_DEP_1) | instskip(NEXT) | instid1(VALU_DEP_1)
	v_mul_f32_e32 v6, v7, v5
	v_fma_f32 v8, -v4, v6, v7
	s_delay_alu instid0(VALU_DEP_1) | instskip(NEXT) | instid1(VALU_DEP_1)
	v_fmac_f32_e32 v6, v8, v5
	v_fma_f32 v4, -v4, v6, v7
	s_delay_alu instid0(VALU_DEP_1) | instskip(NEXT) | instid1(VALU_DEP_1)
	v_div_fmas_f32 v4, v4, v5, v6
	v_div_fixup_f32 v3, v4, v3, s2
	s_mul_hi_u32 s2, s15, s0
	s_delay_alu instid0(SALU_CYCLE_1) | instskip(SKIP_1) | instid1(VALU_DEP_1)
	s_add_i32 s1, s2, s1
	s_mul_i32 s2, s15, s0
	v_mul_f32_e32 v2, v2, v3
	s_add_i32 s1, s1, s4
	s_mov_b32 s4, 0
	.p2align	6
.LBB253_31:                             ; =>This Inner Loop Header: Depth=1
	v_ashrrev_i32_e32 v4, 31, v0
	v_add_co_u32 v3, vcc_lo, s2, v0
	v_add_nc_u32_e32 v0, s3, v0
	s_delay_alu instid0(VALU_DEP_3) | instskip(NEXT) | instid1(VALU_DEP_2)
	v_add_co_ci_u32_e32 v4, vcc_lo, s1, v4, vcc_lo
	v_cmp_le_i32_e32 vcc_lo, s13, v0
	s_delay_alu instid0(VALU_DEP_2) | instskip(SKIP_1) | instid1(VALU_DEP_1)
	v_lshlrev_b64 v[3:4], 2, v[3:4]
	s_or_b32 s4, vcc_lo, s4
	v_add_co_u32 v5, s0, s8, v3
	s_delay_alu instid0(VALU_DEP_1) | instskip(SKIP_1) | instid1(VALU_DEP_1)
	v_add_co_ci_u32_e64 v6, s0, s9, v4, s0
	v_add_co_u32 v3, s0, s10, v3
	v_add_co_ci_u32_e64 v4, s0, s11, v4, s0
	global_store_b32 v[5:6], v2, off
	global_store_b32 v[3:4], v1, off
	s_and_not1_b32 exec_lo, exec_lo, s4
	s_cbranch_execnz .LBB253_31
.LBB253_32:
	s_nop 0
	s_sendmsg sendmsg(MSG_DEALLOC_VGPRS)
	s_endpgm
	.section	.rodata,"a",@progbits
	.p2align	6, 0x0
	.amdhsa_kernel _ZN5aiter20topk_softplus_kernelI12hip_bfloat166__halfDv4_fLb1ELi2EEEvPKT_PKT0_PfPimiiif
		.amdhsa_group_segment_fixed_size 0
		.amdhsa_private_segment_fixed_size 0
		.amdhsa_kernarg_size 312
		.amdhsa_user_sgpr_count 15
		.amdhsa_user_sgpr_dispatch_ptr 0
		.amdhsa_user_sgpr_queue_ptr 0
		.amdhsa_user_sgpr_kernarg_segment_ptr 1
		.amdhsa_user_sgpr_dispatch_id 0
		.amdhsa_user_sgpr_private_segment_size 0
		.amdhsa_wavefront_size32 1
		.amdhsa_uses_dynamic_stack 0
		.amdhsa_enable_private_segment 0
		.amdhsa_system_sgpr_workgroup_id_x 1
		.amdhsa_system_sgpr_workgroup_id_y 0
		.amdhsa_system_sgpr_workgroup_id_z 0
		.amdhsa_system_sgpr_workgroup_info 0
		.amdhsa_system_vgpr_workitem_id 0
		.amdhsa_next_free_vgpr 17
		.amdhsa_next_free_sgpr 23
		.amdhsa_reserve_vcc 1
		.amdhsa_float_round_mode_32 0
		.amdhsa_float_round_mode_16_64 0
		.amdhsa_float_denorm_mode_32 3
		.amdhsa_float_denorm_mode_16_64 3
		.amdhsa_dx10_clamp 1
		.amdhsa_ieee_mode 1
		.amdhsa_fp16_overflow 0
		.amdhsa_workgroup_processor_mode 1
		.amdhsa_memory_ordered 1
		.amdhsa_forward_progress 0
		.amdhsa_shared_vgpr_count 0
		.amdhsa_exception_fp_ieee_invalid_op 0
		.amdhsa_exception_fp_denorm_src 0
		.amdhsa_exception_fp_ieee_div_zero 0
		.amdhsa_exception_fp_ieee_overflow 0
		.amdhsa_exception_fp_ieee_underflow 0
		.amdhsa_exception_fp_ieee_inexact 0
		.amdhsa_exception_int_div_zero 0
	.end_amdhsa_kernel
	.section	.text._ZN5aiter20topk_softplus_kernelI12hip_bfloat166__halfDv4_fLb1ELi2EEEvPKT_PKT0_PfPimiiif,"axG",@progbits,_ZN5aiter20topk_softplus_kernelI12hip_bfloat166__halfDv4_fLb1ELi2EEEvPKT_PKT0_PfPimiiif,comdat
.Lfunc_end253:
	.size	_ZN5aiter20topk_softplus_kernelI12hip_bfloat166__halfDv4_fLb1ELi2EEEvPKT_PKT0_PfPimiiif, .Lfunc_end253-_ZN5aiter20topk_softplus_kernelI12hip_bfloat166__halfDv4_fLb1ELi2EEEvPKT_PKT0_PfPimiiif
                                        ; -- End function
	.section	.AMDGPU.csdata,"",@progbits
; Kernel info:
; codeLenInByte = 2104
; NumSgprs: 25
; NumVgprs: 17
; ScratchSize: 0
; MemoryBound: 0
; FloatMode: 240
; IeeeMode: 1
; LDSByteSize: 0 bytes/workgroup (compile time only)
; SGPRBlocks: 3
; VGPRBlocks: 2
; NumSGPRsForWavesPerEU: 25
; NumVGPRsForWavesPerEU: 17
; Occupancy: 16
; WaveLimiterHint : 0
; COMPUTE_PGM_RSRC2:SCRATCH_EN: 0
; COMPUTE_PGM_RSRC2:USER_SGPR: 15
; COMPUTE_PGM_RSRC2:TRAP_HANDLER: 0
; COMPUTE_PGM_RSRC2:TGID_X_EN: 1
; COMPUTE_PGM_RSRC2:TGID_Y_EN: 0
; COMPUTE_PGM_RSRC2:TGID_Z_EN: 0
; COMPUTE_PGM_RSRC2:TIDIG_COMP_CNT: 0
	.section	.text._ZN5aiter20topk_softplus_kernelI12hip_bfloat166__halfDv4_fLb0ELi2EEEvPKT_PKT0_PfPimiiif,"axG",@progbits,_ZN5aiter20topk_softplus_kernelI12hip_bfloat166__halfDv4_fLb0ELi2EEEvPKT_PKT0_PfPimiiif,comdat
	.protected	_ZN5aiter20topk_softplus_kernelI12hip_bfloat166__halfDv4_fLb0ELi2EEEvPKT_PKT0_PfPimiiif ; -- Begin function _ZN5aiter20topk_softplus_kernelI12hip_bfloat166__halfDv4_fLb0ELi2EEEvPKT_PKT0_PfPimiiif
	.globl	_ZN5aiter20topk_softplus_kernelI12hip_bfloat166__halfDv4_fLb0ELi2EEEvPKT_PKT0_PfPimiiif
	.p2align	8
	.type	_ZN5aiter20topk_softplus_kernelI12hip_bfloat166__halfDv4_fLb0ELi2EEEvPKT_PKT0_PfPimiiif,@function
_ZN5aiter20topk_softplus_kernelI12hip_bfloat166__halfDv4_fLb0ELi2EEEvPKT_PKT0_PfPimiiif: ; @_ZN5aiter20topk_softplus_kernelI12hip_bfloat166__halfDv4_fLb0ELi2EEEvPKT_PKT0_PfPimiiif
; %bb.0:
	s_clause 0x1
	s_load_b64 s[12:13], s[0:1], 0x28
	s_load_b256 s[4:11], s[0:1], 0x0
	v_lshl_add_u32 v3, v0, 4, 0
	s_waitcnt lgkmcnt(0)
	s_ashr_i32 s2, s12, 31
	s_mul_i32 s16, s15, s12
	s_lshr_b32 s2, s2, 30
	s_ashr_i32 s17, s16, 31
	s_add_i32 s2, s12, s2
	s_delay_alu instid0(SALU_CYCLE_1) | instskip(NEXT) | instid1(SALU_CYCLE_1)
	s_ashr_i32 s14, s2, 2
	v_cmp_gt_i32_e64 s2, s14, v0
	s_delay_alu instid0(VALU_DEP_1)
	s_and_saveexec_b32 s18, s2
	s_cbranch_execz .LBB254_3
; %bb.1:
	s_load_b32 s3, s[0:1], 0x44
	v_lshlrev_b32_e32 v1, 3, v0
	s_lshl_b64 s[20:21], s[16:17], 1
	v_lshl_add_u32 v4, v0, 4, 0
	v_mov_b32_e32 v5, v0
	s_waitcnt lgkmcnt(0)
	s_and_b32 s19, s3, 0xffff
	s_add_u32 s3, s4, s20
	s_addc_u32 s20, s5, s21
	v_add_co_u32 v1, s3, s3, v1
	s_delay_alu instid0(VALU_DEP_1)
	v_add_co_ci_u32_e64 v2, null, s20, 0, s3
	s_mov_b32 s20, 0
	s_lshl_b32 s21, s19, 3
	s_lshl_b32 s22, s19, 4
	.p2align	6
.LBB254_2:                              ; =>This Inner Loop Header: Depth=1
	global_load_b64 v[6:7], v[1:2], off
	v_add_nc_u32_e32 v5, s19, v5
	v_add_co_u32 v1, vcc_lo, v1, s21
	v_add_co_ci_u32_e32 v2, vcc_lo, 0, v2, vcc_lo
	s_delay_alu instid0(VALU_DEP_3) | instskip(NEXT) | instid1(VALU_DEP_1)
	v_cmp_le_i32_e64 s3, s14, v5
	s_or_b32 s20, s3, s20
	s_waitcnt vmcnt(0)
	v_lshrrev_b32_e32 v8, 16, v6
	v_and_b32_e32 v6, 0xffff, v6
	v_lshrrev_b32_e32 v9, 16, v7
	v_and_b32_e32 v10, 0xffff, v7
	s_delay_alu instid0(VALU_DEP_4) | instskip(NEXT) | instid1(VALU_DEP_4)
	v_cvt_f32_u32_e32 v7, v8
	v_cvt_f32_u32_e32 v6, v6
	s_delay_alu instid0(VALU_DEP_4) | instskip(NEXT) | instid1(VALU_DEP_4)
	v_cvt_f32_u32_e32 v9, v9
	v_cvt_f32_u32_e32 v8, v10
	ds_store_b128 v4, v[6:9]
	v_add_nc_u32_e32 v4, s22, v4
	s_and_not1_b32 exec_lo, exec_lo, s20
	s_cbranch_execnz .LBB254_2
.LBB254_3:
	s_or_b32 exec_lo, exec_lo, s18
	v_lshl_add_u32 v1, s14, 2, v0
	v_lshlrev_b32_e32 v4, 2, v0
	s_mov_b32 s3, exec_lo
	s_delay_alu instid0(VALU_DEP_2)
	v_cmpx_gt_i32_e64 s12, v1
	s_cbranch_execz .LBB254_6
; %bb.4:
	s_load_b32 s18, s[0:1], 0x44
	s_lshl_b64 s[16:17], s[16:17], 1
	v_lshlrev_b32_e32 v2, 2, v0
	s_add_u32 s4, s4, s16
	s_addc_u32 s5, s5, s17
	s_lshl_b32 s16, s14, 4
	s_mov_b32 s17, 0
	v_add3_u32 v5, 0, s16, v2
	s_waitcnt lgkmcnt(0)
	s_and_b32 s16, s18, 0xffff
	s_delay_alu instid0(SALU_CYCLE_1)
	s_lshl_b32 s18, s16, 2
	.p2align	6
.LBB254_5:                              ; =>This Inner Loop Header: Depth=1
	v_ashrrev_i32_e32 v2, 31, v1
	s_delay_alu instid0(VALU_DEP_1) | instskip(SKIP_1) | instid1(VALU_DEP_2)
	v_lshlrev_b64 v[6:7], 1, v[1:2]
	v_add_nc_u32_e32 v1, s16, v1
	v_add_co_u32 v6, vcc_lo, s4, v6
	s_delay_alu instid0(VALU_DEP_3) | instskip(NEXT) | instid1(VALU_DEP_3)
	v_add_co_ci_u32_e32 v7, vcc_lo, s5, v7, vcc_lo
	v_cmp_le_i32_e32 vcc_lo, s12, v1
	global_load_u16 v2, v[6:7], off
	s_or_b32 s17, vcc_lo, s17
	s_waitcnt vmcnt(0)
	v_lshlrev_b32_e32 v2, 16, v2
	ds_store_b32 v5, v2
	v_add_nc_u32_e32 v5, s18, v5
	s_and_not1_b32 exec_lo, exec_lo, s17
	s_cbranch_execnz .LBB254_5
.LBB254_6:
	s_or_b32 exec_lo, exec_lo, s3
	v_cmp_gt_i32_e32 vcc_lo, s12, v0
	v_mov_b32_e32 v2, 0xff800000
	s_waitcnt lgkmcnt(0)
	s_barrier
	buffer_gl0_inv
	s_and_saveexec_b32 s4, vcc_lo
	s_cbranch_execz .LBB254_10
; %bb.7:
	s_load_b32 s3, s[0:1], 0x44
	v_lshl_add_u32 v1, v0, 2, 0
	v_dual_mov_b32 v2, 0xff800000 :: v_dual_mov_b32 v5, v0
	s_mov_b32 s5, 0
	s_waitcnt lgkmcnt(0)
	s_and_b32 s16, s3, 0xffff
	s_delay_alu instid0(SALU_CYCLE_1)
	s_lshl_b32 s17, s16, 2
.LBB254_8:                              ; =>This Inner Loop Header: Depth=1
	ds_load_b32 v6, v1
	v_dual_max_f32 v2, v2, v2 :: v_dual_add_nc_u32 v5, s16, v5
	v_add_nc_u32_e32 v1, s17, v1
	s_delay_alu instid0(VALU_DEP_2) | instskip(NEXT) | instid1(VALU_DEP_1)
	v_cmp_le_i32_e64 s3, s12, v5
	s_or_b32 s5, s3, s5
	s_waitcnt lgkmcnt(0)
	v_max_f32_e32 v6, v6, v6
	s_delay_alu instid0(VALU_DEP_1)
	v_max_f32_e32 v2, v2, v6
	s_and_not1_b32 exec_lo, exec_lo, s5
	s_cbranch_execnz .LBB254_8
; %bb.9:
	s_or_b32 exec_lo, exec_lo, s5
.LBB254_10:
	s_delay_alu instid0(SALU_CYCLE_1)
	s_or_b32 exec_lo, exec_lo, s4
	v_mov_b32_e32 v1, 0
	;;#ASMSTART
	v_max_f32 v5, v2, v2 quad_perm:[1,0,3,2] row_mask:0xf bank_mask:0xf bound_ctrl:1
	;;#ASMEND
	;;#ASMSTART
	v_max_f32 v2, v5, v5 quad_perm:[2,3,0,1] row_mask:0xf bank_mask:0xf bound_ctrl:1
	;;#ASMEND
	;;#ASMSTART
	v_max_f32 v5, v2, v2 row_half_mirror row_mask:0xf bank_mask:0xf bound_ctrl:1
	;;#ASMEND
	;;#ASMSTART
	v_max_f32 v2, v5, v5 row_mirror row_mask:0xf bank_mask:0xf bound_ctrl:1
	;;#ASMEND
	s_and_saveexec_b32 s4, vcc_lo
	s_cbranch_execz .LBB254_14
; %bb.11:
	s_load_b32 s3, s[0:1], 0x44
	s_mov_b32 s5, 0x76543210
	v_lshl_add_u32 v5, v0, 2, 0
	v_permlanex16_b32 v1, v2, s5, 0xfedcba98 op_sel:[1,1]
	v_mov_b32_e32 v6, v0
	s_mov_b32 s5, 0
	s_delay_alu instid0(VALU_DEP_2) | instskip(NEXT) | instid1(VALU_DEP_1)
	v_dual_max_f32 v2, v2, v2 :: v_dual_max_f32 v1, v1, v1
	v_dual_max_f32 v2, v2, v1 :: v_dual_mov_b32 v1, 0
	s_waitcnt lgkmcnt(0)
	s_and_b32 s16, s3, 0xffff
	s_delay_alu instid0(SALU_CYCLE_1)
	s_lshl_b32 s17, s16, 2
	.p2align	6
.LBB254_12:                             ; =>This Inner Loop Header: Depth=1
	ds_load_b32 v7, v5
	s_waitcnt lgkmcnt(0)
	v_sub_f32_e32 v7, v7, v2
	s_delay_alu instid0(VALU_DEP_1) | instskip(NEXT) | instid1(VALU_DEP_1)
	v_mul_f32_e32 v8, 0x3fb8aa3b, v7
	v_cmp_gt_f32_e64 s3, 0xc2fc0000, v8
	s_delay_alu instid0(VALU_DEP_1) | instskip(NEXT) | instid1(VALU_DEP_1)
	v_cndmask_b32_e64 v8, 0, 0x42800000, s3
	v_fmac_f32_e32 v8, 0x3fb8aa3b, v7
	s_delay_alu instid0(VALU_DEP_1) | instskip(SKIP_3) | instid1(VALU_DEP_1)
	v_exp_f32_e32 v7, v8
	v_cndmask_b32_e64 v8, 1.0, 0x1f800000, s3
	s_waitcnt_depctr 0xfff
	v_dual_mul_f32 v9, v7, v8 :: v_dual_add_nc_u32 v6, s16, v6
	v_cmp_le_i32_e64 s3, s12, v6
	v_fmac_f32_e32 v1, v7, v8
	ds_store_b32 v5, v9
	v_add_nc_u32_e32 v5, s17, v5
	s_or_b32 s5, s3, s5
	s_delay_alu instid0(SALU_CYCLE_1)
	s_and_not1_b32 exec_lo, exec_lo, s5
	s_cbranch_execnz .LBB254_12
; %bb.13:
	s_or_b32 exec_lo, exec_lo, s5
.LBB254_14:
	s_delay_alu instid0(SALU_CYCLE_1) | instskip(SKIP_1) | instid1(VALU_DEP_1)
	s_or_b32 exec_lo, exec_lo, s4
	v_mov_b32_dpp v2, v1 quad_perm:[1,0,3,2] row_mask:0xf bank_mask:0xf
	v_add_f32_e32 v1, v1, v2
	s_delay_alu instid0(VALU_DEP_1) | instskip(NEXT) | instid1(VALU_DEP_1)
	v_mov_b32_dpp v2, v1 quad_perm:[2,3,0,1] row_mask:0xf bank_mask:0xf
	v_add_f32_e32 v1, v1, v2
	s_delay_alu instid0(VALU_DEP_1) | instskip(NEXT) | instid1(VALU_DEP_1)
	v_mov_b32_dpp v2, v1 row_xmask:7 row_mask:0xf bank_mask:0xf
	v_add_f32_e32 v1, v1, v2
	s_delay_alu instid0(VALU_DEP_1)
	v_mov_b32_dpp v2, v1 row_xmask:15 row_mask:0xf bank_mask:0xf
	s_and_saveexec_b32 s3, vcc_lo
	s_cbranch_execz .LBB254_19
; %bb.15:
	s_delay_alu instid0(VALU_DEP_1)
	v_add_f32_e32 v1, v1, v2
	s_load_b32 s5, s[0:1], 0x44
	s_mov_b32 s4, 0x76543210
	s_cmp_lg_u64 s[6:7], 0
	v_lshl_add_u32 v6, v0, 2, 0
	v_permlanex16_b32 v2, v1, s4, 0xfedcba98 op_sel:[1,1]
	s_cselect_b32 s4, -1, 0
	s_mov_b32 s16, 0
	s_delay_alu instid0(VALU_DEP_1) | instskip(NEXT) | instid1(VALU_DEP_1)
	v_add_f32_e32 v1, v1, v2
	v_rcp_f32_e32 v5, v1
	v_mov_b32_e32 v1, v0
	s_waitcnt lgkmcnt(0)
	s_and_b32 s5, s5, 0xffff
	s_delay_alu instid0(SALU_CYCLE_1)
	s_lshl_b32 s17, s5, 2
	s_set_inst_prefetch_distance 0x1
	s_branch .LBB254_17
	.p2align	6
.LBB254_16:                             ;   in Loop: Header=BB254_17 Depth=1
	v_add_nc_u32_e32 v1, s5, v1
	v_add_nc_u32_e32 v6, s17, v6
	s_delay_alu instid0(VALU_DEP_2) | instskip(SKIP_1) | instid1(SALU_CYCLE_1)
	v_cmp_le_i32_e32 vcc_lo, s12, v1
	s_or_b32 s16, vcc_lo, s16
	s_and_not1_b32 exec_lo, exec_lo, s16
	s_cbranch_execz .LBB254_19
.LBB254_17:                             ; =>This Inner Loop Header: Depth=1
	ds_load_b32 v2, v6
	s_and_not1_b32 vcc_lo, exec_lo, s4
	s_waitcnt lgkmcnt(0)
	v_mul_f32_e32 v7, v5, v2
	ds_store_b32 v6, v7
	s_cbranch_vccnz .LBB254_16
; %bb.18:                               ;   in Loop: Header=BB254_17 Depth=1
	v_ashrrev_i32_e32 v2, 31, v1
	s_delay_alu instid0(VALU_DEP_1) | instskip(NEXT) | instid1(VALU_DEP_1)
	v_lshlrev_b64 v[8:9], 1, v[1:2]
	v_add_co_u32 v8, vcc_lo, s6, v8
	s_delay_alu instid0(VALU_DEP_2) | instskip(SKIP_3) | instid1(VALU_DEP_1)
	v_add_co_ci_u32_e32 v9, vcc_lo, s7, v9, vcc_lo
	global_load_u16 v2, v[8:9], off
	s_waitcnt vmcnt(0)
	v_cvt_f32_f16_e32 v2, v2
	v_add_f32_e32 v2, v7, v2
	ds_store_b32 v6, v2
	s_branch .LBB254_16
.LBB254_19:
	s_set_inst_prefetch_distance 0x2
	s_or_b32 exec_lo, exec_lo, s3
	s_cmp_lt_i32 s13, 1
	s_waitcnt lgkmcnt(0)
	s_barrier
	buffer_gl0_inv
	s_cbranch_scc1 .LBB254_28
; %bb.20:
	s_add_u32 s4, s0, 56
	s_addc_u32 s5, s1, 0
	v_dual_mov_b32 v5, 0 :: v_dual_mov_b32 v6, 0xff800000
	v_dual_mov_b32 v1, 0 :: v_dual_mov_b32 v2, 0
	s_cmp_lg_u64 s[6:7], 0
	s_mov_b32 s18, 0
	s_cselect_b32 s12, -1, 0
	s_mov_b32 s19, 0x76543210
	s_branch .LBB254_22
.LBB254_21:                             ;   in Loop: Header=BB254_22 Depth=1
	v_cmp_eq_u32_e32 vcc_lo, s18, v0
	s_delay_alu instid0(VALU_DEP_2)
	s_lshl_b32 s3, s16, 2
	s_add_i32 s18, s18, 1
	s_add_i32 s3, s3, 0
	s_cmp_eq_u32 s18, s13
	v_cndmask_b32_e64 v1, v1, s16, vcc_lo
	v_dual_mov_b32 v7, s3 :: v_dual_cndmask_b32 v2, v2, v9
	ds_store_b32 v7, v6
	s_cbranch_scc1 .LBB254_29
.LBB254_22:                             ; =>This Loop Header: Depth=1
                                        ;     Child Loop BB254_24 Depth 2
	v_dual_mov_b32 v7, s18 :: v_dual_mov_b32 v8, 0xff800000
	s_and_saveexec_b32 s16, s2
	s_cbranch_execz .LBB254_26
; %bb.23:                               ;   in Loop: Header=BB254_22 Depth=1
	s_load_b32 s3, s[4:5], 0xc
	v_dual_mov_b32 v7, s18 :: v_dual_mov_b32 v8, 0xff800000
	v_dual_mov_b32 v9, v3 :: v_dual_mov_b32 v10, v4
	v_mov_b32_e32 v11, v0
	s_mov_b32 s21, 0
	s_waitcnt lgkmcnt(0)
	s_and_b32 s17, s3, 0xffff
	s_delay_alu instid0(SALU_CYCLE_1)
	s_lshl_b32 s20, s17, 2
	s_lshl_b32 s22, s17, 4
	.p2align	6
.LBB254_24:                             ;   Parent Loop BB254_22 Depth=1
                                        ; =>  This Inner Loop Header: Depth=2
	ds_load_b128 v[12:15], v9
	v_add_nc_u32_e32 v11, s17, v11
	s_delay_alu instid0(VALU_DEP_1) | instskip(NEXT) | instid1(VALU_DEP_1)
	v_cmp_le_i32_e64 s3, s14, v11
	s_or_b32 s21, s3, s21
	s_waitcnt lgkmcnt(0)
	v_cmp_gt_f32_e32 vcc_lo, v12, v8
	v_dual_cndmask_b32 v8, v8, v12 :: v_dual_cndmask_b32 v7, v7, v10
	s_delay_alu instid0(VALU_DEP_1) | instskip(SKIP_2) | instid1(VALU_DEP_1)
	v_cmp_gt_f32_e32 vcc_lo, v13, v8
	v_dual_cndmask_b32 v8, v8, v13 :: v_dual_add_nc_u32 v13, 2, v10
	v_add_nc_u32_e32 v12, 1, v10
	v_cndmask_b32_e32 v7, v7, v12, vcc_lo
	s_delay_alu instid0(VALU_DEP_3) | instskip(SKIP_1) | instid1(VALU_DEP_3)
	v_cmp_gt_f32_e32 vcc_lo, v14, v8
	v_add_nc_u32_e32 v12, 3, v10
	v_dual_cndmask_b32 v8, v8, v14 :: v_dual_cndmask_b32 v7, v7, v13
	s_delay_alu instid0(VALU_DEP_1) | instskip(SKIP_1) | instid1(VALU_DEP_3)
	v_cmp_gt_f32_e32 vcc_lo, v15, v8
	v_add_nc_u32_e32 v9, s22, v9
	v_dual_cndmask_b32 v7, v7, v12 :: v_dual_add_nc_u32 v10, s20, v10
	v_cndmask_b32_e32 v8, v8, v15, vcc_lo
	s_and_not1_b32 exec_lo, exec_lo, s21
	s_cbranch_execnz .LBB254_24
; %bb.25:                               ;   in Loop: Header=BB254_22 Depth=1
	s_or_b32 exec_lo, exec_lo, s21
.LBB254_26:                             ;   in Loop: Header=BB254_22 Depth=1
	s_delay_alu instid0(SALU_CYCLE_1)
	s_or_b32 exec_lo, exec_lo, s16
	;;#ASMSTART
	v_max_f32 v9, v8, v8 quad_perm:[1,0,3,2] row_mask:0xf bank_mask:0xf bound_ctrl:1
	;;#ASMEND
	;;#ASMSTART
	v_max_f32 v10, v9, v9 quad_perm:[2,3,0,1] row_mask:0xf bank_mask:0xf bound_ctrl:1
	;;#ASMEND
	;;#ASMSTART
	v_max_f32 v9, v10, v10 row_half_mirror row_mask:0xf bank_mask:0xf bound_ctrl:1
	;;#ASMEND
	;;#ASMSTART
	v_max_f32 v10, v9, v9 row_mirror row_mask:0xf bank_mask:0xf bound_ctrl:1
	;;#ASMEND
	v_permlanex16_b32 v9, v10, s19, 0xfedcba98 op_sel:[1,1]
	s_delay_alu instid0(VALU_DEP_1) | instskip(NEXT) | instid1(VALU_DEP_1)
	v_dual_max_f32 v10, v10, v10 :: v_dual_max_f32 v9, v9, v9
	v_max_f32_e32 v9, v10, v9
	s_delay_alu instid0(VALU_DEP_1)
	v_cmp_eq_f32_e32 vcc_lo, v8, v9
	s_ctz_i32_b32 s3, vcc_lo
	s_cmp_lg_u32 vcc_lo, 0
	s_cselect_b32 s3, s3, 0
	s_and_b32 vcc_lo, exec_lo, s12
	v_readlane_b32 s16, v7, s3
	s_cbranch_vccz .LBB254_21
; %bb.27:                               ;   in Loop: Header=BB254_22 Depth=1
	s_delay_alu instid0(VALU_DEP_1) | instskip(NEXT) | instid1(SALU_CYCLE_1)
	s_ashr_i32 s17, s16, 31
	s_lshl_b64 s[20:21], s[16:17], 1
	s_delay_alu instid0(SALU_CYCLE_1) | instskip(SKIP_4) | instid1(VALU_DEP_1)
	s_add_u32 s20, s6, s20
	s_addc_u32 s21, s7, s21
	global_load_u16 v7, v5, s[20:21]
	s_waitcnt vmcnt(0)
	v_cvt_f32_f16_e32 v7, v7
	v_sub_f32_e32 v9, v9, v7
	s_branch .LBB254_21
.LBB254_28:
	v_dual_mov_b32 v2, 0 :: v_dual_mov_b32 v1, 0
.LBB254_29:
	s_mov_b32 s2, exec_lo
	v_cmpx_gt_i32_e64 s13, v0
	s_cbranch_execz .LBB254_32
; %bb.30:
	s_clause 0x2
	s_load_b32 s4, s[0:1], 0x34
	s_load_b64 s[2:3], s[0:1], 0x20
	s_load_b32 s0, s[0:1], 0x44
	s_ashr_i32 s1, s15, 31
	s_waitcnt lgkmcnt(0)
	v_mul_f32_e32 v2, s4, v2
	s_mul_i32 s3, s15, s3
	s_mul_hi_u32 s4, s15, s2
	s_mul_i32 s5, s1, s2
	s_add_i32 s3, s4, s3
	s_mul_i32 s1, s15, s2
	s_and_b32 s2, s0, 0xffff
	s_add_i32 s3, s3, s5
	s_mov_b32 s4, 0
	.p2align	6
.LBB254_31:                             ; =>This Inner Loop Header: Depth=1
	v_ashrrev_i32_e32 v4, 31, v0
	v_add_co_u32 v3, vcc_lo, s1, v0
	v_add_nc_u32_e32 v0, s2, v0
	s_delay_alu instid0(VALU_DEP_3) | instskip(NEXT) | instid1(VALU_DEP_2)
	v_add_co_ci_u32_e32 v4, vcc_lo, s3, v4, vcc_lo
	v_cmp_le_i32_e32 vcc_lo, s13, v0
	s_delay_alu instid0(VALU_DEP_2) | instskip(SKIP_1) | instid1(VALU_DEP_1)
	v_lshlrev_b64 v[3:4], 2, v[3:4]
	s_or_b32 s4, vcc_lo, s4
	v_add_co_u32 v5, s0, s8, v3
	s_delay_alu instid0(VALU_DEP_1) | instskip(SKIP_1) | instid1(VALU_DEP_1)
	v_add_co_ci_u32_e64 v6, s0, s9, v4, s0
	v_add_co_u32 v3, s0, s10, v3
	v_add_co_ci_u32_e64 v4, s0, s11, v4, s0
	global_store_b32 v[5:6], v2, off
	global_store_b32 v[3:4], v1, off
	s_and_not1_b32 exec_lo, exec_lo, s4
	s_cbranch_execnz .LBB254_31
.LBB254_32:
	s_nop 0
	s_sendmsg sendmsg(MSG_DEALLOC_VGPRS)
	s_endpgm
	.section	.rodata,"a",@progbits
	.p2align	6, 0x0
	.amdhsa_kernel _ZN5aiter20topk_softplus_kernelI12hip_bfloat166__halfDv4_fLb0ELi2EEEvPKT_PKT0_PfPimiiif
		.amdhsa_group_segment_fixed_size 0
		.amdhsa_private_segment_fixed_size 0
		.amdhsa_kernarg_size 312
		.amdhsa_user_sgpr_count 15
		.amdhsa_user_sgpr_dispatch_ptr 0
		.amdhsa_user_sgpr_queue_ptr 0
		.amdhsa_user_sgpr_kernarg_segment_ptr 1
		.amdhsa_user_sgpr_dispatch_id 0
		.amdhsa_user_sgpr_private_segment_size 0
		.amdhsa_wavefront_size32 1
		.amdhsa_uses_dynamic_stack 0
		.amdhsa_enable_private_segment 0
		.amdhsa_system_sgpr_workgroup_id_x 1
		.amdhsa_system_sgpr_workgroup_id_y 0
		.amdhsa_system_sgpr_workgroup_id_z 0
		.amdhsa_system_sgpr_workgroup_info 0
		.amdhsa_system_vgpr_workitem_id 0
		.amdhsa_next_free_vgpr 16
		.amdhsa_next_free_sgpr 23
		.amdhsa_reserve_vcc 1
		.amdhsa_float_round_mode_32 0
		.amdhsa_float_round_mode_16_64 0
		.amdhsa_float_denorm_mode_32 3
		.amdhsa_float_denorm_mode_16_64 3
		.amdhsa_dx10_clamp 1
		.amdhsa_ieee_mode 1
		.amdhsa_fp16_overflow 0
		.amdhsa_workgroup_processor_mode 1
		.amdhsa_memory_ordered 1
		.amdhsa_forward_progress 0
		.amdhsa_shared_vgpr_count 0
		.amdhsa_exception_fp_ieee_invalid_op 0
		.amdhsa_exception_fp_denorm_src 0
		.amdhsa_exception_fp_ieee_div_zero 0
		.amdhsa_exception_fp_ieee_overflow 0
		.amdhsa_exception_fp_ieee_underflow 0
		.amdhsa_exception_fp_ieee_inexact 0
		.amdhsa_exception_int_div_zero 0
	.end_amdhsa_kernel
	.section	.text._ZN5aiter20topk_softplus_kernelI12hip_bfloat166__halfDv4_fLb0ELi2EEEvPKT_PKT0_PfPimiiif,"axG",@progbits,_ZN5aiter20topk_softplus_kernelI12hip_bfloat166__halfDv4_fLb0ELi2EEEvPKT_PKT0_PfPimiiif,comdat
.Lfunc_end254:
	.size	_ZN5aiter20topk_softplus_kernelI12hip_bfloat166__halfDv4_fLb0ELi2EEEvPKT_PKT0_PfPimiiif, .Lfunc_end254-_ZN5aiter20topk_softplus_kernelI12hip_bfloat166__halfDv4_fLb0ELi2EEEvPKT_PKT0_PfPimiiif
                                        ; -- End function
	.section	.AMDGPU.csdata,"",@progbits
; Kernel info:
; codeLenInByte = 1980
; NumSgprs: 25
; NumVgprs: 16
; ScratchSize: 0
; MemoryBound: 0
; FloatMode: 240
; IeeeMode: 1
; LDSByteSize: 0 bytes/workgroup (compile time only)
; SGPRBlocks: 3
; VGPRBlocks: 1
; NumSGPRsForWavesPerEU: 25
; NumVGPRsForWavesPerEU: 16
; Occupancy: 16
; WaveLimiterHint : 0
; COMPUTE_PGM_RSRC2:SCRATCH_EN: 0
; COMPUTE_PGM_RSRC2:USER_SGPR: 15
; COMPUTE_PGM_RSRC2:TRAP_HANDLER: 0
; COMPUTE_PGM_RSRC2:TGID_X_EN: 1
; COMPUTE_PGM_RSRC2:TGID_Y_EN: 0
; COMPUTE_PGM_RSRC2:TGID_Z_EN: 0
; COMPUTE_PGM_RSRC2:TIDIG_COMP_CNT: 0
	.section	.text._ZN5aiter20topk_softplus_kernelI12hip_bfloat166__halfDv2_fLb1ELi2EEEvPKT_PKT0_PfPimiiif,"axG",@progbits,_ZN5aiter20topk_softplus_kernelI12hip_bfloat166__halfDv2_fLb1ELi2EEEvPKT_PKT0_PfPimiiif,comdat
	.protected	_ZN5aiter20topk_softplus_kernelI12hip_bfloat166__halfDv2_fLb1ELi2EEEvPKT_PKT0_PfPimiiif ; -- Begin function _ZN5aiter20topk_softplus_kernelI12hip_bfloat166__halfDv2_fLb1ELi2EEEvPKT_PKT0_PfPimiiif
	.globl	_ZN5aiter20topk_softplus_kernelI12hip_bfloat166__halfDv2_fLb1ELi2EEEvPKT_PKT0_PfPimiiif
	.p2align	8
	.type	_ZN5aiter20topk_softplus_kernelI12hip_bfloat166__halfDv2_fLb1ELi2EEEvPKT_PKT0_PfPimiiif,@function
_ZN5aiter20topk_softplus_kernelI12hip_bfloat166__halfDv2_fLb1ELi2EEEvPKT_PKT0_PfPimiiif: ; @_ZN5aiter20topk_softplus_kernelI12hip_bfloat166__halfDv2_fLb1ELi2EEEvPKT_PKT0_PfPimiiif
; %bb.0:
	s_clause 0x1
	s_load_b64 s[12:13], s[0:1], 0x28
	s_load_b256 s[4:11], s[0:1], 0x0
	v_lshl_add_u32 v3, v0, 3, 0
	s_waitcnt lgkmcnt(0)
	s_lshr_b32 s2, s12, 31
	s_mul_i32 s16, s15, s12
	s_add_i32 s2, s12, s2
	s_ashr_i32 s17, s16, 31
	s_ashr_i32 s14, s2, 1
	s_delay_alu instid0(SALU_CYCLE_1) | instskip(NEXT) | instid1(VALU_DEP_1)
	v_cmp_gt_i32_e64 s2, s14, v0
	s_and_saveexec_b32 s18, s2
	s_cbranch_execz .LBB255_3
; %bb.1:
	s_load_b32 s3, s[0:1], 0x44
	v_lshlrev_b32_e32 v1, 2, v0
	s_lshl_b64 s[20:21], s[16:17], 1
	v_lshl_add_u32 v4, v0, 3, 0
	v_mov_b32_e32 v5, v0
	s_waitcnt lgkmcnt(0)
	s_and_b32 s19, s3, 0xffff
	s_add_u32 s3, s4, s20
	s_addc_u32 s20, s5, s21
	v_add_co_u32 v1, s3, s3, v1
	s_delay_alu instid0(VALU_DEP_1)
	v_add_co_ci_u32_e64 v2, null, s20, 0, s3
	s_mov_b32 s20, 0
	s_lshl_b32 s21, s19, 2
	s_lshl_b32 s22, s19, 3
	.p2align	6
.LBB255_2:                              ; =>This Inner Loop Header: Depth=1
	global_load_b32 v6, v[1:2], off
	v_add_nc_u32_e32 v5, s19, v5
	v_add_co_u32 v1, vcc_lo, v1, s21
	v_add_co_ci_u32_e32 v2, vcc_lo, 0, v2, vcc_lo
	s_delay_alu instid0(VALU_DEP_3) | instskip(NEXT) | instid1(VALU_DEP_1)
	v_cmp_le_i32_e64 s3, s14, v5
	s_or_b32 s20, s3, s20
	s_waitcnt vmcnt(0)
	v_lshrrev_b32_e32 v7, 16, v6
	v_and_b32_e32 v6, 0xffff, v6
	s_delay_alu instid0(VALU_DEP_2) | instskip(NEXT) | instid1(VALU_DEP_2)
	v_cvt_f32_u32_e32 v7, v7
	v_cvt_f32_u32_e32 v6, v6
	ds_store_b64 v4, v[6:7]
	v_add_nc_u32_e32 v4, s22, v4
	s_and_not1_b32 exec_lo, exec_lo, s20
	s_cbranch_execnz .LBB255_2
.LBB255_3:
	s_or_b32 exec_lo, exec_lo, s18
	v_lshl_add_u32 v1, s14, 1, v0
	s_mov_b32 s3, exec_lo
	s_delay_alu instid0(VALU_DEP_1)
	v_cmpx_gt_i32_e64 s12, v1
	s_cbranch_execz .LBB255_6
; %bb.4:
	s_load_b32 s18, s[0:1], 0x44
	s_lshl_b64 s[16:17], s[16:17], 1
	v_lshlrev_b32_e32 v2, 2, v0
	s_add_u32 s4, s4, s16
	s_addc_u32 s5, s5, s17
	s_lshl_b32 s16, s14, 3
	s_mov_b32 s17, 0
	v_add3_u32 v4, 0, s16, v2
	s_waitcnt lgkmcnt(0)
	s_and_b32 s16, s18, 0xffff
	s_delay_alu instid0(SALU_CYCLE_1)
	s_lshl_b32 s18, s16, 2
	.p2align	6
.LBB255_5:                              ; =>This Inner Loop Header: Depth=1
	v_ashrrev_i32_e32 v2, 31, v1
	s_delay_alu instid0(VALU_DEP_1) | instskip(SKIP_1) | instid1(VALU_DEP_2)
	v_lshlrev_b64 v[5:6], 1, v[1:2]
	v_add_nc_u32_e32 v1, s16, v1
	v_add_co_u32 v5, vcc_lo, s4, v5
	s_delay_alu instid0(VALU_DEP_3) | instskip(NEXT) | instid1(VALU_DEP_3)
	v_add_co_ci_u32_e32 v6, vcc_lo, s5, v6, vcc_lo
	v_cmp_le_i32_e32 vcc_lo, s12, v1
	global_load_u16 v2, v[5:6], off
	s_or_b32 s17, vcc_lo, s17
	s_waitcnt vmcnt(0)
	v_lshlrev_b32_e32 v2, 16, v2
	ds_store_b32 v4, v2
	v_add_nc_u32_e32 v4, s18, v4
	s_and_not1_b32 exec_lo, exec_lo, s17
	s_cbranch_execnz .LBB255_5
.LBB255_6:
	s_or_b32 exec_lo, exec_lo, s3
	v_cmp_gt_i32_e32 vcc_lo, s12, v0
	v_mov_b32_e32 v2, 0xff800000
	s_waitcnt lgkmcnt(0)
	s_barrier
	buffer_gl0_inv
	s_and_saveexec_b32 s4, vcc_lo
	s_cbranch_execz .LBB255_10
; %bb.7:
	s_load_b32 s3, s[0:1], 0x44
	v_lshl_add_u32 v1, v0, 2, 0
	v_mov_b32_e32 v2, 0xff800000
	v_mov_b32_e32 v4, v0
	s_mov_b32 s5, 0
	s_waitcnt lgkmcnt(0)
	s_and_b32 s16, s3, 0xffff
	s_delay_alu instid0(SALU_CYCLE_1)
	s_lshl_b32 s17, s16, 2
.LBB255_8:                              ; =>This Inner Loop Header: Depth=1
	ds_load_b32 v5, v1
	v_add_nc_u32_e32 v4, s16, v4
	v_dual_max_f32 v2, v2, v2 :: v_dual_add_nc_u32 v1, s17, v1
	s_waitcnt lgkmcnt(0)
	v_max_f32_e32 v5, v5, v5
	s_delay_alu instid0(VALU_DEP_3) | instskip(NEXT) | instid1(VALU_DEP_2)
	v_cmp_le_i32_e64 s3, s12, v4
	v_max_f32_e32 v2, v2, v5
	s_delay_alu instid0(VALU_DEP_2) | instskip(NEXT) | instid1(SALU_CYCLE_1)
	s_or_b32 s5, s3, s5
	s_and_not1_b32 exec_lo, exec_lo, s5
	s_cbranch_execnz .LBB255_8
; %bb.9:
	s_or_b32 exec_lo, exec_lo, s5
.LBB255_10:
	s_delay_alu instid0(SALU_CYCLE_1)
	s_or_b32 exec_lo, exec_lo, s4
	v_mov_b32_e32 v1, 0
	;;#ASMSTART
	v_max_f32 v4, v2, v2 quad_perm:[1,0,3,2] row_mask:0xf bank_mask:0xf bound_ctrl:1
	;;#ASMEND
	;;#ASMSTART
	v_max_f32 v2, v4, v4 quad_perm:[2,3,0,1] row_mask:0xf bank_mask:0xf bound_ctrl:1
	;;#ASMEND
	;;#ASMSTART
	v_max_f32 v4, v2, v2 row_half_mirror row_mask:0xf bank_mask:0xf bound_ctrl:1
	;;#ASMEND
	;;#ASMSTART
	v_max_f32 v2, v4, v4 row_mirror row_mask:0xf bank_mask:0xf bound_ctrl:1
	;;#ASMEND
	s_and_saveexec_b32 s4, vcc_lo
	s_cbranch_execz .LBB255_14
; %bb.11:
	s_load_b32 s3, s[0:1], 0x44
	s_mov_b32 s5, 0x76543210
	v_lshl_add_u32 v4, v0, 2, 0
	v_permlanex16_b32 v1, v2, s5, 0xfedcba98 op_sel:[1,1]
	v_mov_b32_e32 v5, v0
	s_mov_b32 s5, 0
	s_delay_alu instid0(VALU_DEP_2) | instskip(NEXT) | instid1(VALU_DEP_1)
	v_dual_max_f32 v2, v2, v2 :: v_dual_max_f32 v1, v1, v1
	v_dual_max_f32 v2, v2, v1 :: v_dual_mov_b32 v1, 0
	s_waitcnt lgkmcnt(0)
	s_and_b32 s16, s3, 0xffff
	s_delay_alu instid0(SALU_CYCLE_1)
	s_lshl_b32 s17, s16, 2
	.p2align	6
.LBB255_12:                             ; =>This Inner Loop Header: Depth=1
	ds_load_b32 v6, v4
	s_waitcnt lgkmcnt(0)
	v_dual_sub_f32 v6, v6, v2 :: v_dual_add_nc_u32 v5, s16, v5
	s_delay_alu instid0(VALU_DEP_1) | instskip(NEXT) | instid1(VALU_DEP_1)
	v_mul_f32_e32 v7, 0x3fb8aa3b, v6
	v_cmp_gt_f32_e64 s3, 0xc2fc0000, v7
	s_delay_alu instid0(VALU_DEP_1) | instskip(NEXT) | instid1(VALU_DEP_1)
	v_cndmask_b32_e64 v7, 0, 0x42800000, s3
	v_fmac_f32_e32 v7, 0x3fb8aa3b, v6
	s_delay_alu instid0(VALU_DEP_1) | instskip(SKIP_2) | instid1(VALU_DEP_1)
	v_exp_f32_e32 v6, v7
	v_cndmask_b32_e64 v7, 1.0, 0x1f800000, s3
	v_cmp_le_i32_e64 s3, s12, v5
	s_or_b32 s5, s3, s5
	s_waitcnt_depctr 0xfff
	v_mul_f32_e32 v8, v6, v7
	v_fmac_f32_e32 v1, v6, v7
	ds_store_b32 v4, v8
	v_add_nc_u32_e32 v4, s17, v4
	s_and_not1_b32 exec_lo, exec_lo, s5
	s_cbranch_execnz .LBB255_12
; %bb.13:
	s_or_b32 exec_lo, exec_lo, s5
.LBB255_14:
	s_delay_alu instid0(SALU_CYCLE_1) | instskip(SKIP_1) | instid1(VALU_DEP_1)
	s_or_b32 exec_lo, exec_lo, s4
	v_mov_b32_dpp v2, v1 quad_perm:[1,0,3,2] row_mask:0xf bank_mask:0xf
	v_add_f32_e32 v1, v1, v2
	s_delay_alu instid0(VALU_DEP_1) | instskip(NEXT) | instid1(VALU_DEP_1)
	v_mov_b32_dpp v2, v1 quad_perm:[2,3,0,1] row_mask:0xf bank_mask:0xf
	v_add_f32_e32 v1, v1, v2
	s_delay_alu instid0(VALU_DEP_1) | instskip(NEXT) | instid1(VALU_DEP_1)
	v_mov_b32_dpp v2, v1 row_xmask:7 row_mask:0xf bank_mask:0xf
	v_add_f32_e32 v1, v1, v2
	s_delay_alu instid0(VALU_DEP_1)
	v_mov_b32_dpp v2, v1 row_xmask:15 row_mask:0xf bank_mask:0xf
	s_and_saveexec_b32 s3, vcc_lo
	s_cbranch_execz .LBB255_19
; %bb.15:
	s_delay_alu instid0(VALU_DEP_1)
	v_add_f32_e32 v1, v1, v2
	s_load_b32 s5, s[0:1], 0x44
	s_mov_b32 s4, 0x76543210
	s_cmp_lg_u64 s[6:7], 0
	v_lshl_add_u32 v5, v0, 2, 0
	v_permlanex16_b32 v2, v1, s4, 0xfedcba98 op_sel:[1,1]
	s_cselect_b32 s4, -1, 0
	s_mov_b32 s16, 0
	s_delay_alu instid0(VALU_DEP_1) | instskip(NEXT) | instid1(VALU_DEP_1)
	v_add_f32_e32 v1, v1, v2
	v_rcp_f32_e32 v4, v1
	v_mov_b32_e32 v1, v0
	s_waitcnt lgkmcnt(0)
	s_and_b32 s5, s5, 0xffff
	s_delay_alu instid0(SALU_CYCLE_1)
	s_lshl_b32 s17, s5, 2
	s_set_inst_prefetch_distance 0x1
	s_branch .LBB255_17
	.p2align	6
.LBB255_16:                             ;   in Loop: Header=BB255_17 Depth=1
	v_add_nc_u32_e32 v1, s5, v1
	v_add_nc_u32_e32 v5, s17, v5
	s_delay_alu instid0(VALU_DEP_2) | instskip(SKIP_1) | instid1(SALU_CYCLE_1)
	v_cmp_le_i32_e32 vcc_lo, s12, v1
	s_or_b32 s16, vcc_lo, s16
	s_and_not1_b32 exec_lo, exec_lo, s16
	s_cbranch_execz .LBB255_19
.LBB255_17:                             ; =>This Inner Loop Header: Depth=1
	ds_load_b32 v2, v5
	s_and_not1_b32 vcc_lo, exec_lo, s4
	s_waitcnt lgkmcnt(0)
	v_mul_f32_e32 v6, v4, v2
	ds_store_b32 v5, v6
	s_cbranch_vccnz .LBB255_16
; %bb.18:                               ;   in Loop: Header=BB255_17 Depth=1
	v_ashrrev_i32_e32 v2, 31, v1
	s_delay_alu instid0(VALU_DEP_1) | instskip(NEXT) | instid1(VALU_DEP_1)
	v_lshlrev_b64 v[7:8], 1, v[1:2]
	v_add_co_u32 v7, vcc_lo, s6, v7
	s_delay_alu instid0(VALU_DEP_2) | instskip(SKIP_3) | instid1(VALU_DEP_1)
	v_add_co_ci_u32_e32 v8, vcc_lo, s7, v8, vcc_lo
	global_load_u16 v2, v[7:8], off
	s_waitcnt vmcnt(0)
	v_cvt_f32_f16_e32 v2, v2
	v_add_f32_e32 v2, v6, v2
	ds_store_b32 v5, v2
	s_branch .LBB255_16
.LBB255_19:
	s_set_inst_prefetch_distance 0x2
	s_or_b32 exec_lo, exec_lo, s3
	v_mov_b32_e32 v2, 0
	s_cmp_lt_i32 s13, 1
	s_waitcnt lgkmcnt(0)
	s_barrier
	buffer_gl0_inv
	s_cbranch_scc1 .LBB255_28
; %bb.20:
	s_add_u32 s4, s0, 56
	s_addc_u32 s5, s1, 0
	v_dual_mov_b32 v2, 0 :: v_dual_lshlrev_b32 v5, 1, v0
	v_dual_mov_b32 v6, 0 :: v_dual_mov_b32 v7, 0xff800000
	v_dual_mov_b32 v1, 0 :: v_dual_mov_b32 v4, 0
	s_cmp_lg_u64 s[6:7], 0
	s_mov_b32 s18, 0
	s_cselect_b32 s12, -1, 0
	s_mov_b32 s19, 0x76543210
	s_branch .LBB255_22
.LBB255_21:                             ;   in Loop: Header=BB255_22 Depth=1
	v_cmp_eq_u32_e32 vcc_lo, s18, v0
	s_delay_alu instid0(VALU_DEP_2) | instskip(NEXT) | instid1(VALU_DEP_2)
	s_lshl_b32 s3, s16, 2
	v_add_f32_e32 v4, v4, v10
	s_add_i32 s3, s3, 0
	s_add_i32 s18, s18, 1
	v_cndmask_b32_e64 v1, v1, s16, vcc_lo
	v_mov_b32_e32 v8, s3
	v_cndmask_b32_e32 v2, v2, v10, vcc_lo
	s_cmp_eq_u32 s18, s13
	ds_store_b32 v8, v7
	s_cbranch_scc1 .LBB255_29
.LBB255_22:                             ; =>This Loop Header: Depth=1
                                        ;     Child Loop BB255_24 Depth 2
	v_dual_mov_b32 v8, s18 :: v_dual_mov_b32 v9, 0xff800000
	s_and_saveexec_b32 s16, s2
	s_cbranch_execz .LBB255_26
; %bb.23:                               ;   in Loop: Header=BB255_22 Depth=1
	s_load_b32 s3, s[4:5], 0xc
	v_dual_mov_b32 v8, s18 :: v_dual_mov_b32 v9, 0xff800000
	v_dual_mov_b32 v10, v3 :: v_dual_mov_b32 v11, v5
	v_mov_b32_e32 v12, v0
	s_mov_b32 s21, 0
	s_waitcnt lgkmcnt(0)
	s_and_b32 s17, s3, 0xffff
	s_delay_alu instid0(SALU_CYCLE_1)
	s_lshl_b32 s20, s17, 1
	s_lshl_b32 s22, s17, 3
	.p2align	6
.LBB255_24:                             ;   Parent Loop BB255_22 Depth=1
                                        ; =>  This Inner Loop Header: Depth=2
	ds_load_b64 v[13:14], v10
	v_add_nc_u32_e32 v10, s22, v10
	v_add_nc_u32_e32 v12, s17, v12
	s_delay_alu instid0(VALU_DEP_1) | instskip(NEXT) | instid1(VALU_DEP_1)
	v_cmp_le_i32_e64 s3, s14, v12
	s_or_b32 s21, s3, s21
	s_waitcnt lgkmcnt(0)
	v_cmp_gt_f32_e32 vcc_lo, v13, v9
	v_cndmask_b32_e32 v9, v9, v13, vcc_lo
	v_add_nc_u32_e32 v13, 1, v11
	v_cndmask_b32_e32 v8, v8, v11, vcc_lo
	s_delay_alu instid0(VALU_DEP_3) | instskip(SKIP_1) | instid1(VALU_DEP_3)
	v_cmp_gt_f32_e32 vcc_lo, v14, v9
	v_cndmask_b32_e32 v9, v9, v14, vcc_lo
	v_dual_cndmask_b32 v8, v8, v13 :: v_dual_add_nc_u32 v11, s20, v11
	s_and_not1_b32 exec_lo, exec_lo, s21
	s_cbranch_execnz .LBB255_24
; %bb.25:                               ;   in Loop: Header=BB255_22 Depth=1
	s_or_b32 exec_lo, exec_lo, s21
.LBB255_26:                             ;   in Loop: Header=BB255_22 Depth=1
	s_delay_alu instid0(SALU_CYCLE_1)
	s_or_b32 exec_lo, exec_lo, s16
	;;#ASMSTART
	v_max_f32 v10, v9, v9 quad_perm:[1,0,3,2] row_mask:0xf bank_mask:0xf bound_ctrl:1
	;;#ASMEND
	;;#ASMSTART
	v_max_f32 v11, v10, v10 quad_perm:[2,3,0,1] row_mask:0xf bank_mask:0xf bound_ctrl:1
	;;#ASMEND
	;;#ASMSTART
	v_max_f32 v10, v11, v11 row_half_mirror row_mask:0xf bank_mask:0xf bound_ctrl:1
	;;#ASMEND
	;;#ASMSTART
	v_max_f32 v11, v10, v10 row_mirror row_mask:0xf bank_mask:0xf bound_ctrl:1
	;;#ASMEND
	v_permlanex16_b32 v10, v11, s19, 0xfedcba98 op_sel:[1,1]
	s_delay_alu instid0(VALU_DEP_1) | instskip(NEXT) | instid1(VALU_DEP_1)
	v_dual_max_f32 v11, v11, v11 :: v_dual_max_f32 v10, v10, v10
	v_max_f32_e32 v10, v11, v10
	s_delay_alu instid0(VALU_DEP_1)
	v_cmp_eq_f32_e32 vcc_lo, v9, v10
	s_ctz_i32_b32 s3, vcc_lo
	s_cmp_lg_u32 vcc_lo, 0
	s_cselect_b32 s3, s3, 0
	s_and_b32 vcc_lo, exec_lo, s12
	v_readlane_b32 s16, v8, s3
	s_cbranch_vccz .LBB255_21
; %bb.27:                               ;   in Loop: Header=BB255_22 Depth=1
	s_delay_alu instid0(VALU_DEP_1) | instskip(NEXT) | instid1(SALU_CYCLE_1)
	s_ashr_i32 s17, s16, 31
	s_lshl_b64 s[20:21], s[16:17], 1
	s_delay_alu instid0(SALU_CYCLE_1) | instskip(SKIP_4) | instid1(VALU_DEP_1)
	s_add_u32 s20, s6, s20
	s_addc_u32 s21, s7, s21
	global_load_u16 v8, v6, s[20:21]
	s_waitcnt vmcnt(0)
	v_cvt_f32_f16_e32 v8, v8
	v_sub_f32_e32 v10, v10, v8
	s_branch .LBB255_21
.LBB255_28:
	v_dual_mov_b32 v1, 0 :: v_dual_mov_b32 v4, 0
.LBB255_29:
	s_mov_b32 s2, exec_lo
	v_cmpx_gt_i32_e64 s13, v0
	s_cbranch_execz .LBB255_32
; %bb.30:
	s_clause 0x1
	s_load_b32 s2, s[0:1], 0x34
	s_load_b32 s3, s[0:1], 0x44
	v_max_f32_e32 v3, v4, v4
	s_load_b64 s[0:1], s[0:1], 0x20
	s_ashr_i32 s4, s15, 31
	s_delay_alu instid0(VALU_DEP_1) | instskip(SKIP_1) | instid1(VALU_DEP_1)
	v_max_f32_e32 v3, 0x1e3ce508, v3
	s_waitcnt lgkmcnt(0)
	v_div_scale_f32 v4, null, v3, v3, s2
	v_div_scale_f32 v7, vcc_lo, s2, v3, s2
	s_mul_i32 s1, s15, s1
	s_delay_alu instid0(VALU_DEP_2) | instskip(SKIP_4) | instid1(VALU_DEP_1)
	v_rcp_f32_e32 v5, v4
	s_mul_i32 s4, s4, s0
	s_and_b32 s3, s3, 0xffff
	s_waitcnt_depctr 0xfff
	v_fma_f32 v6, -v4, v5, 1.0
	v_fmac_f32_e32 v5, v6, v5
	s_delay_alu instid0(VALU_DEP_1) | instskip(NEXT) | instid1(VALU_DEP_1)
	v_mul_f32_e32 v6, v7, v5
	v_fma_f32 v8, -v4, v6, v7
	s_delay_alu instid0(VALU_DEP_1) | instskip(NEXT) | instid1(VALU_DEP_1)
	v_fmac_f32_e32 v6, v8, v5
	v_fma_f32 v4, -v4, v6, v7
	s_delay_alu instid0(VALU_DEP_1) | instskip(NEXT) | instid1(VALU_DEP_1)
	v_div_fmas_f32 v4, v4, v5, v6
	v_div_fixup_f32 v3, v4, v3, s2
	s_mul_hi_u32 s2, s15, s0
	s_delay_alu instid0(SALU_CYCLE_1) | instskip(SKIP_1) | instid1(VALU_DEP_1)
	s_add_i32 s1, s2, s1
	s_mul_i32 s2, s15, s0
	v_mul_f32_e32 v2, v2, v3
	s_add_i32 s1, s1, s4
	s_mov_b32 s4, 0
	.p2align	6
.LBB255_31:                             ; =>This Inner Loop Header: Depth=1
	v_ashrrev_i32_e32 v4, 31, v0
	v_add_co_u32 v3, vcc_lo, s2, v0
	v_add_nc_u32_e32 v0, s3, v0
	s_delay_alu instid0(VALU_DEP_3) | instskip(NEXT) | instid1(VALU_DEP_2)
	v_add_co_ci_u32_e32 v4, vcc_lo, s1, v4, vcc_lo
	v_cmp_le_i32_e32 vcc_lo, s13, v0
	s_delay_alu instid0(VALU_DEP_2) | instskip(SKIP_1) | instid1(VALU_DEP_1)
	v_lshlrev_b64 v[3:4], 2, v[3:4]
	s_or_b32 s4, vcc_lo, s4
	v_add_co_u32 v5, s0, s8, v3
	s_delay_alu instid0(VALU_DEP_1) | instskip(SKIP_1) | instid1(VALU_DEP_1)
	v_add_co_ci_u32_e64 v6, s0, s9, v4, s0
	v_add_co_u32 v3, s0, s10, v3
	v_add_co_ci_u32_e64 v4, s0, s11, v4, s0
	global_store_b32 v[5:6], v2, off
	global_store_b32 v[3:4], v1, off
	s_and_not1_b32 exec_lo, exec_lo, s4
	s_cbranch_execnz .LBB255_31
.LBB255_32:
	s_nop 0
	s_sendmsg sendmsg(MSG_DEALLOC_VGPRS)
	s_endpgm
	.section	.rodata,"a",@progbits
	.p2align	6, 0x0
	.amdhsa_kernel _ZN5aiter20topk_softplus_kernelI12hip_bfloat166__halfDv2_fLb1ELi2EEEvPKT_PKT0_PfPimiiif
		.amdhsa_group_segment_fixed_size 0
		.amdhsa_private_segment_fixed_size 0
		.amdhsa_kernarg_size 312
		.amdhsa_user_sgpr_count 15
		.amdhsa_user_sgpr_dispatch_ptr 0
		.amdhsa_user_sgpr_queue_ptr 0
		.amdhsa_user_sgpr_kernarg_segment_ptr 1
		.amdhsa_user_sgpr_dispatch_id 0
		.amdhsa_user_sgpr_private_segment_size 0
		.amdhsa_wavefront_size32 1
		.amdhsa_uses_dynamic_stack 0
		.amdhsa_enable_private_segment 0
		.amdhsa_system_sgpr_workgroup_id_x 1
		.amdhsa_system_sgpr_workgroup_id_y 0
		.amdhsa_system_sgpr_workgroup_id_z 0
		.amdhsa_system_sgpr_workgroup_info 0
		.amdhsa_system_vgpr_workitem_id 0
		.amdhsa_next_free_vgpr 15
		.amdhsa_next_free_sgpr 23
		.amdhsa_reserve_vcc 1
		.amdhsa_float_round_mode_32 0
		.amdhsa_float_round_mode_16_64 0
		.amdhsa_float_denorm_mode_32 3
		.amdhsa_float_denorm_mode_16_64 3
		.amdhsa_dx10_clamp 1
		.amdhsa_ieee_mode 1
		.amdhsa_fp16_overflow 0
		.amdhsa_workgroup_processor_mode 1
		.amdhsa_memory_ordered 1
		.amdhsa_forward_progress 0
		.amdhsa_shared_vgpr_count 0
		.amdhsa_exception_fp_ieee_invalid_op 0
		.amdhsa_exception_fp_denorm_src 0
		.amdhsa_exception_fp_ieee_div_zero 0
		.amdhsa_exception_fp_ieee_overflow 0
		.amdhsa_exception_fp_ieee_underflow 0
		.amdhsa_exception_fp_ieee_inexact 0
		.amdhsa_exception_int_div_zero 0
	.end_amdhsa_kernel
	.section	.text._ZN5aiter20topk_softplus_kernelI12hip_bfloat166__halfDv2_fLb1ELi2EEEvPKT_PKT0_PfPimiiif,"axG",@progbits,_ZN5aiter20topk_softplus_kernelI12hip_bfloat166__halfDv2_fLb1ELi2EEEvPKT_PKT0_PfPimiiif,comdat
.Lfunc_end255:
	.size	_ZN5aiter20topk_softplus_kernelI12hip_bfloat166__halfDv2_fLb1ELi2EEEvPKT_PKT0_PfPimiiif, .Lfunc_end255-_ZN5aiter20topk_softplus_kernelI12hip_bfloat166__halfDv2_fLb1ELi2EEEvPKT_PKT0_PfPimiiif
                                        ; -- End function
	.section	.AMDGPU.csdata,"",@progbits
; Kernel info:
; codeLenInByte = 2028
; NumSgprs: 25
; NumVgprs: 15
; ScratchSize: 0
; MemoryBound: 0
; FloatMode: 240
; IeeeMode: 1
; LDSByteSize: 0 bytes/workgroup (compile time only)
; SGPRBlocks: 3
; VGPRBlocks: 1
; NumSGPRsForWavesPerEU: 25
; NumVGPRsForWavesPerEU: 15
; Occupancy: 16
; WaveLimiterHint : 0
; COMPUTE_PGM_RSRC2:SCRATCH_EN: 0
; COMPUTE_PGM_RSRC2:USER_SGPR: 15
; COMPUTE_PGM_RSRC2:TRAP_HANDLER: 0
; COMPUTE_PGM_RSRC2:TGID_X_EN: 1
; COMPUTE_PGM_RSRC2:TGID_Y_EN: 0
; COMPUTE_PGM_RSRC2:TGID_Z_EN: 0
; COMPUTE_PGM_RSRC2:TIDIG_COMP_CNT: 0
	.section	.text._ZN5aiter20topk_softplus_kernelI12hip_bfloat166__halfDv2_fLb0ELi2EEEvPKT_PKT0_PfPimiiif,"axG",@progbits,_ZN5aiter20topk_softplus_kernelI12hip_bfloat166__halfDv2_fLb0ELi2EEEvPKT_PKT0_PfPimiiif,comdat
	.protected	_ZN5aiter20topk_softplus_kernelI12hip_bfloat166__halfDv2_fLb0ELi2EEEvPKT_PKT0_PfPimiiif ; -- Begin function _ZN5aiter20topk_softplus_kernelI12hip_bfloat166__halfDv2_fLb0ELi2EEEvPKT_PKT0_PfPimiiif
	.globl	_ZN5aiter20topk_softplus_kernelI12hip_bfloat166__halfDv2_fLb0ELi2EEEvPKT_PKT0_PfPimiiif
	.p2align	8
	.type	_ZN5aiter20topk_softplus_kernelI12hip_bfloat166__halfDv2_fLb0ELi2EEEvPKT_PKT0_PfPimiiif,@function
_ZN5aiter20topk_softplus_kernelI12hip_bfloat166__halfDv2_fLb0ELi2EEEvPKT_PKT0_PfPimiiif: ; @_ZN5aiter20topk_softplus_kernelI12hip_bfloat166__halfDv2_fLb0ELi2EEEvPKT_PKT0_PfPimiiif
; %bb.0:
	s_clause 0x1
	s_load_b64 s[12:13], s[0:1], 0x28
	s_load_b256 s[4:11], s[0:1], 0x0
	v_lshl_add_u32 v3, v0, 3, 0
	s_waitcnt lgkmcnt(0)
	s_lshr_b32 s2, s12, 31
	s_mul_i32 s16, s15, s12
	s_add_i32 s2, s12, s2
	s_ashr_i32 s17, s16, 31
	s_ashr_i32 s14, s2, 1
	s_delay_alu instid0(SALU_CYCLE_1) | instskip(NEXT) | instid1(VALU_DEP_1)
	v_cmp_gt_i32_e64 s2, s14, v0
	s_and_saveexec_b32 s18, s2
	s_cbranch_execz .LBB256_3
; %bb.1:
	s_load_b32 s3, s[0:1], 0x44
	v_lshlrev_b32_e32 v1, 2, v0
	s_lshl_b64 s[20:21], s[16:17], 1
	v_lshl_add_u32 v4, v0, 3, 0
	v_mov_b32_e32 v5, v0
	s_waitcnt lgkmcnt(0)
	s_and_b32 s19, s3, 0xffff
	s_add_u32 s3, s4, s20
	s_addc_u32 s20, s5, s21
	v_add_co_u32 v1, s3, s3, v1
	s_delay_alu instid0(VALU_DEP_1)
	v_add_co_ci_u32_e64 v2, null, s20, 0, s3
	s_mov_b32 s20, 0
	s_lshl_b32 s21, s19, 2
	s_lshl_b32 s22, s19, 3
	.p2align	6
.LBB256_2:                              ; =>This Inner Loop Header: Depth=1
	global_load_b32 v6, v[1:2], off
	v_add_nc_u32_e32 v5, s19, v5
	v_add_co_u32 v1, vcc_lo, v1, s21
	v_add_co_ci_u32_e32 v2, vcc_lo, 0, v2, vcc_lo
	s_delay_alu instid0(VALU_DEP_3) | instskip(NEXT) | instid1(VALU_DEP_1)
	v_cmp_le_i32_e64 s3, s14, v5
	s_or_b32 s20, s3, s20
	s_waitcnt vmcnt(0)
	v_lshrrev_b32_e32 v7, 16, v6
	v_and_b32_e32 v6, 0xffff, v6
	s_delay_alu instid0(VALU_DEP_2) | instskip(NEXT) | instid1(VALU_DEP_2)
	v_cvt_f32_u32_e32 v7, v7
	v_cvt_f32_u32_e32 v6, v6
	ds_store_b64 v4, v[6:7]
	v_add_nc_u32_e32 v4, s22, v4
	s_and_not1_b32 exec_lo, exec_lo, s20
	s_cbranch_execnz .LBB256_2
.LBB256_3:
	s_or_b32 exec_lo, exec_lo, s18
	v_lshl_add_u32 v1, s14, 1, v0
	s_mov_b32 s3, exec_lo
	s_delay_alu instid0(VALU_DEP_1)
	v_cmpx_gt_i32_e64 s12, v1
	s_cbranch_execz .LBB256_6
; %bb.4:
	s_load_b32 s18, s[0:1], 0x44
	s_lshl_b64 s[16:17], s[16:17], 1
	v_lshlrev_b32_e32 v2, 2, v0
	s_add_u32 s4, s4, s16
	s_addc_u32 s5, s5, s17
	s_lshl_b32 s16, s14, 3
	s_mov_b32 s17, 0
	v_add3_u32 v4, 0, s16, v2
	s_waitcnt lgkmcnt(0)
	s_and_b32 s16, s18, 0xffff
	s_delay_alu instid0(SALU_CYCLE_1)
	s_lshl_b32 s18, s16, 2
	.p2align	6
.LBB256_5:                              ; =>This Inner Loop Header: Depth=1
	v_ashrrev_i32_e32 v2, 31, v1
	s_delay_alu instid0(VALU_DEP_1) | instskip(SKIP_1) | instid1(VALU_DEP_2)
	v_lshlrev_b64 v[5:6], 1, v[1:2]
	v_add_nc_u32_e32 v1, s16, v1
	v_add_co_u32 v5, vcc_lo, s4, v5
	s_delay_alu instid0(VALU_DEP_3) | instskip(NEXT) | instid1(VALU_DEP_3)
	v_add_co_ci_u32_e32 v6, vcc_lo, s5, v6, vcc_lo
	v_cmp_le_i32_e32 vcc_lo, s12, v1
	global_load_u16 v2, v[5:6], off
	s_or_b32 s17, vcc_lo, s17
	s_waitcnt vmcnt(0)
	v_lshlrev_b32_e32 v2, 16, v2
	ds_store_b32 v4, v2
	v_add_nc_u32_e32 v4, s18, v4
	s_and_not1_b32 exec_lo, exec_lo, s17
	s_cbranch_execnz .LBB256_5
.LBB256_6:
	s_or_b32 exec_lo, exec_lo, s3
	v_cmp_gt_i32_e32 vcc_lo, s12, v0
	v_mov_b32_e32 v2, 0xff800000
	s_waitcnt lgkmcnt(0)
	s_barrier
	buffer_gl0_inv
	s_and_saveexec_b32 s4, vcc_lo
	s_cbranch_execz .LBB256_10
; %bb.7:
	s_load_b32 s3, s[0:1], 0x44
	v_lshl_add_u32 v1, v0, 2, 0
	v_mov_b32_e32 v2, 0xff800000
	v_mov_b32_e32 v4, v0
	s_mov_b32 s5, 0
	s_waitcnt lgkmcnt(0)
	s_and_b32 s16, s3, 0xffff
	s_delay_alu instid0(SALU_CYCLE_1)
	s_lshl_b32 s17, s16, 2
.LBB256_8:                              ; =>This Inner Loop Header: Depth=1
	ds_load_b32 v5, v1
	v_add_nc_u32_e32 v4, s16, v4
	v_dual_max_f32 v2, v2, v2 :: v_dual_add_nc_u32 v1, s17, v1
	s_waitcnt lgkmcnt(0)
	v_max_f32_e32 v5, v5, v5
	s_delay_alu instid0(VALU_DEP_3) | instskip(NEXT) | instid1(VALU_DEP_2)
	v_cmp_le_i32_e64 s3, s12, v4
	v_max_f32_e32 v2, v2, v5
	s_delay_alu instid0(VALU_DEP_2) | instskip(NEXT) | instid1(SALU_CYCLE_1)
	s_or_b32 s5, s3, s5
	s_and_not1_b32 exec_lo, exec_lo, s5
	s_cbranch_execnz .LBB256_8
; %bb.9:
	s_or_b32 exec_lo, exec_lo, s5
.LBB256_10:
	s_delay_alu instid0(SALU_CYCLE_1)
	s_or_b32 exec_lo, exec_lo, s4
	v_mov_b32_e32 v1, 0
	;;#ASMSTART
	v_max_f32 v4, v2, v2 quad_perm:[1,0,3,2] row_mask:0xf bank_mask:0xf bound_ctrl:1
	;;#ASMEND
	;;#ASMSTART
	v_max_f32 v2, v4, v4 quad_perm:[2,3,0,1] row_mask:0xf bank_mask:0xf bound_ctrl:1
	;;#ASMEND
	;;#ASMSTART
	v_max_f32 v4, v2, v2 row_half_mirror row_mask:0xf bank_mask:0xf bound_ctrl:1
	;;#ASMEND
	;;#ASMSTART
	v_max_f32 v2, v4, v4 row_mirror row_mask:0xf bank_mask:0xf bound_ctrl:1
	;;#ASMEND
	s_and_saveexec_b32 s4, vcc_lo
	s_cbranch_execz .LBB256_14
; %bb.11:
	s_load_b32 s3, s[0:1], 0x44
	s_mov_b32 s5, 0x76543210
	v_lshl_add_u32 v4, v0, 2, 0
	v_permlanex16_b32 v1, v2, s5, 0xfedcba98 op_sel:[1,1]
	v_mov_b32_e32 v5, v0
	s_mov_b32 s5, 0
	s_delay_alu instid0(VALU_DEP_2) | instskip(NEXT) | instid1(VALU_DEP_1)
	v_dual_max_f32 v2, v2, v2 :: v_dual_max_f32 v1, v1, v1
	v_dual_max_f32 v2, v2, v1 :: v_dual_mov_b32 v1, 0
	s_waitcnt lgkmcnt(0)
	s_and_b32 s16, s3, 0xffff
	s_delay_alu instid0(SALU_CYCLE_1)
	s_lshl_b32 s17, s16, 2
	.p2align	6
.LBB256_12:                             ; =>This Inner Loop Header: Depth=1
	ds_load_b32 v6, v4
	s_waitcnt lgkmcnt(0)
	v_dual_sub_f32 v6, v6, v2 :: v_dual_add_nc_u32 v5, s16, v5
	s_delay_alu instid0(VALU_DEP_1) | instskip(NEXT) | instid1(VALU_DEP_1)
	v_mul_f32_e32 v7, 0x3fb8aa3b, v6
	v_cmp_gt_f32_e64 s3, 0xc2fc0000, v7
	s_delay_alu instid0(VALU_DEP_1) | instskip(NEXT) | instid1(VALU_DEP_1)
	v_cndmask_b32_e64 v7, 0, 0x42800000, s3
	v_fmac_f32_e32 v7, 0x3fb8aa3b, v6
	s_delay_alu instid0(VALU_DEP_1) | instskip(SKIP_2) | instid1(VALU_DEP_1)
	v_exp_f32_e32 v6, v7
	v_cndmask_b32_e64 v7, 1.0, 0x1f800000, s3
	v_cmp_le_i32_e64 s3, s12, v5
	s_or_b32 s5, s3, s5
	s_waitcnt_depctr 0xfff
	v_mul_f32_e32 v8, v6, v7
	v_fmac_f32_e32 v1, v6, v7
	ds_store_b32 v4, v8
	v_add_nc_u32_e32 v4, s17, v4
	s_and_not1_b32 exec_lo, exec_lo, s5
	s_cbranch_execnz .LBB256_12
; %bb.13:
	s_or_b32 exec_lo, exec_lo, s5
.LBB256_14:
	s_delay_alu instid0(SALU_CYCLE_1) | instskip(SKIP_1) | instid1(VALU_DEP_1)
	s_or_b32 exec_lo, exec_lo, s4
	v_mov_b32_dpp v2, v1 quad_perm:[1,0,3,2] row_mask:0xf bank_mask:0xf
	v_add_f32_e32 v1, v1, v2
	s_delay_alu instid0(VALU_DEP_1) | instskip(NEXT) | instid1(VALU_DEP_1)
	v_mov_b32_dpp v2, v1 quad_perm:[2,3,0,1] row_mask:0xf bank_mask:0xf
	v_add_f32_e32 v1, v1, v2
	s_delay_alu instid0(VALU_DEP_1) | instskip(NEXT) | instid1(VALU_DEP_1)
	v_mov_b32_dpp v2, v1 row_xmask:7 row_mask:0xf bank_mask:0xf
	v_add_f32_e32 v1, v1, v2
	s_delay_alu instid0(VALU_DEP_1)
	v_mov_b32_dpp v2, v1 row_xmask:15 row_mask:0xf bank_mask:0xf
	s_and_saveexec_b32 s3, vcc_lo
	s_cbranch_execz .LBB256_19
; %bb.15:
	s_delay_alu instid0(VALU_DEP_1)
	v_add_f32_e32 v1, v1, v2
	s_load_b32 s5, s[0:1], 0x44
	s_mov_b32 s4, 0x76543210
	s_cmp_lg_u64 s[6:7], 0
	v_lshl_add_u32 v5, v0, 2, 0
	v_permlanex16_b32 v2, v1, s4, 0xfedcba98 op_sel:[1,1]
	s_cselect_b32 s4, -1, 0
	s_mov_b32 s16, 0
	s_delay_alu instid0(VALU_DEP_1) | instskip(NEXT) | instid1(VALU_DEP_1)
	v_add_f32_e32 v1, v1, v2
	v_rcp_f32_e32 v4, v1
	v_mov_b32_e32 v1, v0
	s_waitcnt lgkmcnt(0)
	s_and_b32 s5, s5, 0xffff
	s_delay_alu instid0(SALU_CYCLE_1)
	s_lshl_b32 s17, s5, 2
	s_set_inst_prefetch_distance 0x1
	s_branch .LBB256_17
	.p2align	6
.LBB256_16:                             ;   in Loop: Header=BB256_17 Depth=1
	v_add_nc_u32_e32 v1, s5, v1
	v_add_nc_u32_e32 v5, s17, v5
	s_delay_alu instid0(VALU_DEP_2) | instskip(SKIP_1) | instid1(SALU_CYCLE_1)
	v_cmp_le_i32_e32 vcc_lo, s12, v1
	s_or_b32 s16, vcc_lo, s16
	s_and_not1_b32 exec_lo, exec_lo, s16
	s_cbranch_execz .LBB256_19
.LBB256_17:                             ; =>This Inner Loop Header: Depth=1
	ds_load_b32 v2, v5
	s_and_not1_b32 vcc_lo, exec_lo, s4
	s_waitcnt lgkmcnt(0)
	v_mul_f32_e32 v6, v4, v2
	ds_store_b32 v5, v6
	s_cbranch_vccnz .LBB256_16
; %bb.18:                               ;   in Loop: Header=BB256_17 Depth=1
	v_ashrrev_i32_e32 v2, 31, v1
	s_delay_alu instid0(VALU_DEP_1) | instskip(NEXT) | instid1(VALU_DEP_1)
	v_lshlrev_b64 v[7:8], 1, v[1:2]
	v_add_co_u32 v7, vcc_lo, s6, v7
	s_delay_alu instid0(VALU_DEP_2) | instskip(SKIP_3) | instid1(VALU_DEP_1)
	v_add_co_ci_u32_e32 v8, vcc_lo, s7, v8, vcc_lo
	global_load_u16 v2, v[7:8], off
	s_waitcnt vmcnt(0)
	v_cvt_f32_f16_e32 v2, v2
	v_add_f32_e32 v2, v6, v2
	ds_store_b32 v5, v2
	s_branch .LBB256_16
.LBB256_19:
	s_set_inst_prefetch_distance 0x2
	s_or_b32 exec_lo, exec_lo, s3
	s_cmp_lt_i32 s13, 1
	s_waitcnt lgkmcnt(0)
	s_barrier
	buffer_gl0_inv
	s_cbranch_scc1 .LBB256_28
; %bb.20:
	s_add_u32 s4, s0, 56
	s_addc_u32 s5, s1, 0
	v_dual_mov_b32 v5, 0 :: v_dual_lshlrev_b32 v4, 1, v0
	v_dual_mov_b32 v1, 0 :: v_dual_mov_b32 v6, 0xff800000
	v_mov_b32_e32 v2, 0
	s_cmp_lg_u64 s[6:7], 0
	s_mov_b32 s18, 0
	s_cselect_b32 s12, -1, 0
	s_mov_b32 s19, 0x76543210
	s_branch .LBB256_22
.LBB256_21:                             ;   in Loop: Header=BB256_22 Depth=1
	v_cmp_eq_u32_e32 vcc_lo, s18, v0
	s_delay_alu instid0(VALU_DEP_2)
	s_lshl_b32 s3, s16, 2
	s_add_i32 s18, s18, 1
	s_add_i32 s3, s3, 0
	s_cmp_eq_u32 s18, s13
	v_cndmask_b32_e64 v1, v1, s16, vcc_lo
	v_dual_mov_b32 v7, s3 :: v_dual_cndmask_b32 v2, v2, v9
	ds_store_b32 v7, v6
	s_cbranch_scc1 .LBB256_29
.LBB256_22:                             ; =>This Loop Header: Depth=1
                                        ;     Child Loop BB256_24 Depth 2
	v_dual_mov_b32 v7, s18 :: v_dual_mov_b32 v8, 0xff800000
	s_and_saveexec_b32 s16, s2
	s_cbranch_execz .LBB256_26
; %bb.23:                               ;   in Loop: Header=BB256_22 Depth=1
	s_load_b32 s3, s[4:5], 0xc
	v_dual_mov_b32 v7, s18 :: v_dual_mov_b32 v8, 0xff800000
	v_dual_mov_b32 v9, v3 :: v_dual_mov_b32 v10, v4
	v_mov_b32_e32 v11, v0
	s_mov_b32 s21, 0
	s_waitcnt lgkmcnt(0)
	s_and_b32 s17, s3, 0xffff
	s_delay_alu instid0(SALU_CYCLE_1)
	s_lshl_b32 s20, s17, 1
	s_lshl_b32 s22, s17, 3
	.p2align	6
.LBB256_24:                             ;   Parent Loop BB256_22 Depth=1
                                        ; =>  This Inner Loop Header: Depth=2
	ds_load_b64 v[12:13], v9
	v_add_nc_u32_e32 v9, s22, v9
	v_add_nc_u32_e32 v11, s17, v11
	s_delay_alu instid0(VALU_DEP_1) | instskip(NEXT) | instid1(VALU_DEP_1)
	v_cmp_le_i32_e64 s3, s14, v11
	s_or_b32 s21, s3, s21
	s_waitcnt lgkmcnt(0)
	v_cmp_gt_f32_e32 vcc_lo, v12, v8
	v_cndmask_b32_e32 v8, v8, v12, vcc_lo
	v_add_nc_u32_e32 v12, 1, v10
	v_cndmask_b32_e32 v7, v7, v10, vcc_lo
	s_delay_alu instid0(VALU_DEP_3) | instskip(SKIP_1) | instid1(VALU_DEP_3)
	v_cmp_gt_f32_e32 vcc_lo, v13, v8
	v_cndmask_b32_e32 v8, v8, v13, vcc_lo
	v_dual_cndmask_b32 v7, v7, v12 :: v_dual_add_nc_u32 v10, s20, v10
	s_and_not1_b32 exec_lo, exec_lo, s21
	s_cbranch_execnz .LBB256_24
; %bb.25:                               ;   in Loop: Header=BB256_22 Depth=1
	s_or_b32 exec_lo, exec_lo, s21
.LBB256_26:                             ;   in Loop: Header=BB256_22 Depth=1
	s_delay_alu instid0(SALU_CYCLE_1)
	s_or_b32 exec_lo, exec_lo, s16
	;;#ASMSTART
	v_max_f32 v9, v8, v8 quad_perm:[1,0,3,2] row_mask:0xf bank_mask:0xf bound_ctrl:1
	;;#ASMEND
	;;#ASMSTART
	v_max_f32 v10, v9, v9 quad_perm:[2,3,0,1] row_mask:0xf bank_mask:0xf bound_ctrl:1
	;;#ASMEND
	;;#ASMSTART
	v_max_f32 v9, v10, v10 row_half_mirror row_mask:0xf bank_mask:0xf bound_ctrl:1
	;;#ASMEND
	;;#ASMSTART
	v_max_f32 v10, v9, v9 row_mirror row_mask:0xf bank_mask:0xf bound_ctrl:1
	;;#ASMEND
	v_permlanex16_b32 v9, v10, s19, 0xfedcba98 op_sel:[1,1]
	s_delay_alu instid0(VALU_DEP_1) | instskip(NEXT) | instid1(VALU_DEP_1)
	v_dual_max_f32 v10, v10, v10 :: v_dual_max_f32 v9, v9, v9
	v_max_f32_e32 v9, v10, v9
	s_delay_alu instid0(VALU_DEP_1)
	v_cmp_eq_f32_e32 vcc_lo, v8, v9
	s_ctz_i32_b32 s3, vcc_lo
	s_cmp_lg_u32 vcc_lo, 0
	s_cselect_b32 s3, s3, 0
	s_and_b32 vcc_lo, exec_lo, s12
	v_readlane_b32 s16, v7, s3
	s_cbranch_vccz .LBB256_21
; %bb.27:                               ;   in Loop: Header=BB256_22 Depth=1
	s_delay_alu instid0(VALU_DEP_1) | instskip(NEXT) | instid1(SALU_CYCLE_1)
	s_ashr_i32 s17, s16, 31
	s_lshl_b64 s[20:21], s[16:17], 1
	s_delay_alu instid0(SALU_CYCLE_1) | instskip(SKIP_4) | instid1(VALU_DEP_1)
	s_add_u32 s20, s6, s20
	s_addc_u32 s21, s7, s21
	global_load_u16 v7, v5, s[20:21]
	s_waitcnt vmcnt(0)
	v_cvt_f32_f16_e32 v7, v7
	v_sub_f32_e32 v9, v9, v7
	s_branch .LBB256_21
.LBB256_28:
	v_dual_mov_b32 v2, 0 :: v_dual_mov_b32 v1, 0
.LBB256_29:
	s_mov_b32 s2, exec_lo
	v_cmpx_gt_i32_e64 s13, v0
	s_cbranch_execz .LBB256_32
; %bb.30:
	s_clause 0x2
	s_load_b32 s4, s[0:1], 0x34
	s_load_b64 s[2:3], s[0:1], 0x20
	s_load_b32 s0, s[0:1], 0x44
	s_ashr_i32 s1, s15, 31
	s_waitcnt lgkmcnt(0)
	v_mul_f32_e32 v2, s4, v2
	s_mul_i32 s3, s15, s3
	s_mul_hi_u32 s4, s15, s2
	s_mul_i32 s5, s1, s2
	s_add_i32 s3, s4, s3
	s_mul_i32 s1, s15, s2
	s_and_b32 s2, s0, 0xffff
	s_add_i32 s3, s3, s5
	s_mov_b32 s4, 0
	.p2align	6
.LBB256_31:                             ; =>This Inner Loop Header: Depth=1
	v_ashrrev_i32_e32 v4, 31, v0
	v_add_co_u32 v3, vcc_lo, s1, v0
	v_add_nc_u32_e32 v0, s2, v0
	s_delay_alu instid0(VALU_DEP_3) | instskip(NEXT) | instid1(VALU_DEP_2)
	v_add_co_ci_u32_e32 v4, vcc_lo, s3, v4, vcc_lo
	v_cmp_le_i32_e32 vcc_lo, s13, v0
	s_delay_alu instid0(VALU_DEP_2) | instskip(SKIP_1) | instid1(VALU_DEP_1)
	v_lshlrev_b64 v[3:4], 2, v[3:4]
	s_or_b32 s4, vcc_lo, s4
	v_add_co_u32 v5, s0, s8, v3
	s_delay_alu instid0(VALU_DEP_1) | instskip(SKIP_1) | instid1(VALU_DEP_1)
	v_add_co_ci_u32_e64 v6, s0, s9, v4, s0
	v_add_co_u32 v3, s0, s10, v3
	v_add_co_ci_u32_e64 v4, s0, s11, v4, s0
	global_store_b32 v[5:6], v2, off
	global_store_b32 v[3:4], v1, off
	s_and_not1_b32 exec_lo, exec_lo, s4
	s_cbranch_execnz .LBB256_31
.LBB256_32:
	s_nop 0
	s_sendmsg sendmsg(MSG_DEALLOC_VGPRS)
	s_endpgm
	.section	.rodata,"a",@progbits
	.p2align	6, 0x0
	.amdhsa_kernel _ZN5aiter20topk_softplus_kernelI12hip_bfloat166__halfDv2_fLb0ELi2EEEvPKT_PKT0_PfPimiiif
		.amdhsa_group_segment_fixed_size 0
		.amdhsa_private_segment_fixed_size 0
		.amdhsa_kernarg_size 312
		.amdhsa_user_sgpr_count 15
		.amdhsa_user_sgpr_dispatch_ptr 0
		.amdhsa_user_sgpr_queue_ptr 0
		.amdhsa_user_sgpr_kernarg_segment_ptr 1
		.amdhsa_user_sgpr_dispatch_id 0
		.amdhsa_user_sgpr_private_segment_size 0
		.amdhsa_wavefront_size32 1
		.amdhsa_uses_dynamic_stack 0
		.amdhsa_enable_private_segment 0
		.amdhsa_system_sgpr_workgroup_id_x 1
		.amdhsa_system_sgpr_workgroup_id_y 0
		.amdhsa_system_sgpr_workgroup_id_z 0
		.amdhsa_system_sgpr_workgroup_info 0
		.amdhsa_system_vgpr_workitem_id 0
		.amdhsa_next_free_vgpr 14
		.amdhsa_next_free_sgpr 23
		.amdhsa_reserve_vcc 1
		.amdhsa_float_round_mode_32 0
		.amdhsa_float_round_mode_16_64 0
		.amdhsa_float_denorm_mode_32 3
		.amdhsa_float_denorm_mode_16_64 3
		.amdhsa_dx10_clamp 1
		.amdhsa_ieee_mode 1
		.amdhsa_fp16_overflow 0
		.amdhsa_workgroup_processor_mode 1
		.amdhsa_memory_ordered 1
		.amdhsa_forward_progress 0
		.amdhsa_shared_vgpr_count 0
		.amdhsa_exception_fp_ieee_invalid_op 0
		.amdhsa_exception_fp_denorm_src 0
		.amdhsa_exception_fp_ieee_div_zero 0
		.amdhsa_exception_fp_ieee_overflow 0
		.amdhsa_exception_fp_ieee_underflow 0
		.amdhsa_exception_fp_ieee_inexact 0
		.amdhsa_exception_int_div_zero 0
	.end_amdhsa_kernel
	.section	.text._ZN5aiter20topk_softplus_kernelI12hip_bfloat166__halfDv2_fLb0ELi2EEEvPKT_PKT0_PfPimiiif,"axG",@progbits,_ZN5aiter20topk_softplus_kernelI12hip_bfloat166__halfDv2_fLb0ELi2EEEvPKT_PKT0_PfPimiiif,comdat
.Lfunc_end256:
	.size	_ZN5aiter20topk_softplus_kernelI12hip_bfloat166__halfDv2_fLb0ELi2EEEvPKT_PKT0_PfPimiiif, .Lfunc_end256-_ZN5aiter20topk_softplus_kernelI12hip_bfloat166__halfDv2_fLb0ELi2EEEvPKT_PKT0_PfPimiiif
                                        ; -- End function
	.section	.AMDGPU.csdata,"",@progbits
; Kernel info:
; codeLenInByte = 1904
; NumSgprs: 25
; NumVgprs: 14
; ScratchSize: 0
; MemoryBound: 0
; FloatMode: 240
; IeeeMode: 1
; LDSByteSize: 0 bytes/workgroup (compile time only)
; SGPRBlocks: 3
; VGPRBlocks: 1
; NumSGPRsForWavesPerEU: 25
; NumVGPRsForWavesPerEU: 14
; Occupancy: 16
; WaveLimiterHint : 0
; COMPUTE_PGM_RSRC2:SCRATCH_EN: 0
; COMPUTE_PGM_RSRC2:USER_SGPR: 15
; COMPUTE_PGM_RSRC2:TRAP_HANDLER: 0
; COMPUTE_PGM_RSRC2:TGID_X_EN: 1
; COMPUTE_PGM_RSRC2:TGID_Y_EN: 0
; COMPUTE_PGM_RSRC2:TGID_Z_EN: 0
; COMPUTE_PGM_RSRC2:TIDIG_COMP_CNT: 0
	.section	.text._ZN5aiter20topk_softplus_kernelI12hip_bfloat166__halfDv1_fLb1ELi2EEEvPKT_PKT0_PfPimiiif,"axG",@progbits,_ZN5aiter20topk_softplus_kernelI12hip_bfloat166__halfDv1_fLb1ELi2EEEvPKT_PKT0_PfPimiiif,comdat
	.protected	_ZN5aiter20topk_softplus_kernelI12hip_bfloat166__halfDv1_fLb1ELi2EEEvPKT_PKT0_PfPimiiif ; -- Begin function _ZN5aiter20topk_softplus_kernelI12hip_bfloat166__halfDv1_fLb1ELi2EEEvPKT_PKT0_PfPimiiif
	.globl	_ZN5aiter20topk_softplus_kernelI12hip_bfloat166__halfDv1_fLb1ELi2EEEvPKT_PKT0_PfPimiiif
	.p2align	8
	.type	_ZN5aiter20topk_softplus_kernelI12hip_bfloat166__halfDv1_fLb1ELi2EEEvPKT_PKT0_PfPimiiif,@function
_ZN5aiter20topk_softplus_kernelI12hip_bfloat166__halfDv1_fLb1ELi2EEEvPKT_PKT0_PfPimiiif: ; @_ZN5aiter20topk_softplus_kernelI12hip_bfloat166__halfDv1_fLb1ELi2EEEvPKT_PKT0_PfPimiiif
; %bb.0:
	s_clause 0x1
	s_load_b64 s[12:13], s[0:1], 0x28
	s_load_b256 s[4:11], s[0:1], 0x0
	v_lshl_add_u32 v3, v0, 2, 0
	s_waitcnt lgkmcnt(0)
	s_mul_i32 s16, s15, s12
	v_cmp_gt_i32_e64 s2, s12, v0
	s_ashr_i32 s17, s16, 31
	s_delay_alu instid0(SALU_CYCLE_1) | instskip(NEXT) | instid1(SALU_CYCLE_1)
	s_lshl_b64 s[16:17], s[16:17], 1
	s_add_u32 s3, s4, s16
	s_addc_u32 s4, s5, s17
	s_and_saveexec_b32 s5, s2
	s_cbranch_execz .LBB257_3
; %bb.1:
	s_load_b32 s14, s[0:1], 0x44
	v_lshl_add_u32 v4, v0, 2, 0
	v_mov_b32_e32 v1, v0
	s_mov_b32 s16, 0
	s_waitcnt lgkmcnt(0)
	s_and_b32 s14, s14, 0xffff
	s_delay_alu instid0(SALU_CYCLE_1)
	s_lshl_b32 s17, s14, 2
	.p2align	6
.LBB257_2:                              ; =>This Inner Loop Header: Depth=1
	v_ashrrev_i32_e32 v2, 31, v1
	s_delay_alu instid0(VALU_DEP_1) | instskip(SKIP_1) | instid1(VALU_DEP_2)
	v_lshlrev_b64 v[5:6], 1, v[1:2]
	v_add_nc_u32_e32 v1, s14, v1
	v_add_co_u32 v5, vcc_lo, s3, v5
	s_delay_alu instid0(VALU_DEP_3) | instskip(NEXT) | instid1(VALU_DEP_3)
	v_add_co_ci_u32_e32 v6, vcc_lo, s4, v6, vcc_lo
	v_cmp_le_i32_e32 vcc_lo, s12, v1
	global_load_u16 v2, v[5:6], off
	s_or_b32 s16, vcc_lo, s16
	s_waitcnt vmcnt(0)
	v_cvt_f32_u32_e32 v2, v2
	ds_store_b32 v4, v2
	v_add_nc_u32_e32 v4, s17, v4
	s_and_not1_b32 exec_lo, exec_lo, s16
	s_cbranch_execnz .LBB257_2
.LBB257_3:
	s_or_b32 exec_lo, exec_lo, s5
	v_add_nc_u32_e32 v1, s12, v0
	s_mov_b32 s5, exec_lo
	s_delay_alu instid0(VALU_DEP_1)
	v_cmpx_gt_i32_e64 s12, v1
	s_cbranch_execz .LBB257_6
; %bb.4:
	s_load_b32 s14, s[0:1], 0x44
	v_lshl_add_u32 v4, v1, 2, 0
	s_mov_b32 s16, 0
	s_waitcnt lgkmcnt(0)
	s_and_b32 s14, s14, 0xffff
	s_delay_alu instid0(SALU_CYCLE_1)
	s_lshl_b32 s17, s14, 2
	.p2align	6
.LBB257_5:                              ; =>This Inner Loop Header: Depth=1
	v_ashrrev_i32_e32 v2, 31, v1
	s_delay_alu instid0(VALU_DEP_1) | instskip(SKIP_1) | instid1(VALU_DEP_2)
	v_lshlrev_b64 v[5:6], 1, v[1:2]
	v_add_nc_u32_e32 v1, s14, v1
	v_add_co_u32 v5, vcc_lo, s3, v5
	s_delay_alu instid0(VALU_DEP_3) | instskip(NEXT) | instid1(VALU_DEP_3)
	v_add_co_ci_u32_e32 v6, vcc_lo, s4, v6, vcc_lo
	v_cmp_le_i32_e32 vcc_lo, s12, v1
	global_load_u16 v2, v[5:6], off
	s_or_b32 s16, vcc_lo, s16
	s_waitcnt vmcnt(0)
	v_lshlrev_b32_e32 v2, 16, v2
	ds_store_b32 v4, v2
	v_add_nc_u32_e32 v4, s17, v4
	s_and_not1_b32 exec_lo, exec_lo, s16
	s_cbranch_execnz .LBB257_5
.LBB257_6:
	s_or_b32 exec_lo, exec_lo, s5
	v_mov_b32_e32 v2, 0xff800000
	s_waitcnt lgkmcnt(0)
	s_barrier
	buffer_gl0_inv
	s_and_saveexec_b32 s3, s2
	s_cbranch_execz .LBB257_10
; %bb.7:
	s_load_b32 s4, s[0:1], 0x44
	v_lshl_add_u32 v1, v0, 2, 0
	v_mov_b32_e32 v2, 0xff800000
	v_mov_b32_e32 v4, v0
	s_waitcnt lgkmcnt(0)
	s_and_b32 s5, s4, 0xffff
	s_mov_b32 s4, 0
	s_lshl_b32 s14, s5, 2
.LBB257_8:                              ; =>This Inner Loop Header: Depth=1
	ds_load_b32 v5, v1
	v_add_nc_u32_e32 v4, s5, v4
	v_dual_max_f32 v2, v2, v2 :: v_dual_add_nc_u32 v1, s14, v1
	s_waitcnt lgkmcnt(0)
	v_max_f32_e32 v5, v5, v5
	s_delay_alu instid0(VALU_DEP_3) | instskip(NEXT) | instid1(VALU_DEP_2)
	v_cmp_le_i32_e32 vcc_lo, s12, v4
	v_max_f32_e32 v2, v2, v5
	s_or_b32 s4, vcc_lo, s4
	s_delay_alu instid0(SALU_CYCLE_1)
	s_and_not1_b32 exec_lo, exec_lo, s4
	s_cbranch_execnz .LBB257_8
; %bb.9:
	s_or_b32 exec_lo, exec_lo, s4
.LBB257_10:
	s_delay_alu instid0(SALU_CYCLE_1)
	s_or_b32 exec_lo, exec_lo, s3
	v_mov_b32_e32 v1, 0
	;;#ASMSTART
	v_max_f32 v4, v2, v2 quad_perm:[1,0,3,2] row_mask:0xf bank_mask:0xf bound_ctrl:1
	;;#ASMEND
	;;#ASMSTART
	v_max_f32 v2, v4, v4 quad_perm:[2,3,0,1] row_mask:0xf bank_mask:0xf bound_ctrl:1
	;;#ASMEND
	;;#ASMSTART
	v_max_f32 v4, v2, v2 row_half_mirror row_mask:0xf bank_mask:0xf bound_ctrl:1
	;;#ASMEND
	;;#ASMSTART
	v_max_f32 v2, v4, v4 row_mirror row_mask:0xf bank_mask:0xf bound_ctrl:1
	;;#ASMEND
	s_and_saveexec_b32 s3, s2
	s_cbranch_execz .LBB257_14
; %bb.11:
	s_load_b32 s4, s[0:1], 0x44
	s_mov_b32 s5, 0x76543210
	v_lshl_add_u32 v4, v0, 2, 0
	v_permlanex16_b32 v1, v2, s5, 0xfedcba98 op_sel:[1,1]
	v_dual_mov_b32 v5, v0 :: v_dual_max_f32 v2, v2, v2
	s_delay_alu instid0(VALU_DEP_2) | instskip(NEXT) | instid1(VALU_DEP_1)
	v_max_f32_e32 v1, v1, v1
	v_dual_max_f32 v2, v2, v1 :: v_dual_mov_b32 v1, 0
	s_waitcnt lgkmcnt(0)
	s_and_b32 s5, s4, 0xffff
	s_mov_b32 s4, 0
	s_lshl_b32 s14, s5, 2
	.p2align	6
.LBB257_12:                             ; =>This Inner Loop Header: Depth=1
	ds_load_b32 v6, v4
	s_waitcnt lgkmcnt(0)
	v_dual_sub_f32 v6, v6, v2 :: v_dual_add_nc_u32 v5, s5, v5
	s_delay_alu instid0(VALU_DEP_1) | instskip(NEXT) | instid1(VALU_DEP_1)
	v_mul_f32_e32 v7, 0x3fb8aa3b, v6
	v_cmp_gt_f32_e32 vcc_lo, 0xc2fc0000, v7
	v_cndmask_b32_e64 v7, 0, 0x42800000, vcc_lo
	s_delay_alu instid0(VALU_DEP_1) | instskip(NEXT) | instid1(VALU_DEP_1)
	v_fmac_f32_e32 v7, 0x3fb8aa3b, v6
	v_exp_f32_e32 v6, v7
	v_cndmask_b32_e64 v7, 1.0, 0x1f800000, vcc_lo
	v_cmp_le_i32_e32 vcc_lo, s12, v5
	s_or_b32 s4, vcc_lo, s4
	s_waitcnt_depctr 0xfff
	v_mul_f32_e32 v8, v6, v7
	v_fmac_f32_e32 v1, v6, v7
	ds_store_b32 v4, v8
	v_add_nc_u32_e32 v4, s14, v4
	s_and_not1_b32 exec_lo, exec_lo, s4
	s_cbranch_execnz .LBB257_12
; %bb.13:
	s_or_b32 exec_lo, exec_lo, s4
.LBB257_14:
	s_delay_alu instid0(SALU_CYCLE_1) | instskip(SKIP_1) | instid1(VALU_DEP_1)
	s_or_b32 exec_lo, exec_lo, s3
	v_mov_b32_dpp v2, v1 quad_perm:[1,0,3,2] row_mask:0xf bank_mask:0xf
	v_add_f32_e32 v1, v1, v2
	s_delay_alu instid0(VALU_DEP_1) | instskip(NEXT) | instid1(VALU_DEP_1)
	v_mov_b32_dpp v2, v1 quad_perm:[2,3,0,1] row_mask:0xf bank_mask:0xf
	v_add_f32_e32 v1, v1, v2
	s_delay_alu instid0(VALU_DEP_1) | instskip(NEXT) | instid1(VALU_DEP_1)
	v_mov_b32_dpp v2, v1 row_xmask:7 row_mask:0xf bank_mask:0xf
	v_add_f32_e32 v1, v1, v2
	s_delay_alu instid0(VALU_DEP_1)
	v_mov_b32_dpp v2, v1 row_xmask:15 row_mask:0xf bank_mask:0xf
	s_and_saveexec_b32 s3, s2
	s_cbranch_execz .LBB257_19
; %bb.15:
	s_delay_alu instid0(VALU_DEP_1)
	v_add_f32_e32 v1, v1, v2
	s_load_b32 s5, s[0:1], 0x44
	s_mov_b32 s4, 0x76543210
	s_cmp_lg_u64 s[6:7], 0
	v_lshl_add_u32 v5, v0, 2, 0
	v_permlanex16_b32 v2, v1, s4, 0xfedcba98 op_sel:[1,1]
	s_cselect_b32 s4, -1, 0
	s_mov_b32 s14, 0
	s_delay_alu instid0(VALU_DEP_1) | instskip(NEXT) | instid1(VALU_DEP_1)
	v_add_f32_e32 v1, v1, v2
	v_rcp_f32_e32 v4, v1
	v_mov_b32_e32 v1, v0
	s_waitcnt lgkmcnt(0)
	s_and_b32 s5, s5, 0xffff
	s_delay_alu instid0(SALU_CYCLE_1)
	s_lshl_b32 s16, s5, 2
	s_set_inst_prefetch_distance 0x1
	s_branch .LBB257_17
	.p2align	6
.LBB257_16:                             ;   in Loop: Header=BB257_17 Depth=1
	v_add_nc_u32_e32 v1, s5, v1
	v_add_nc_u32_e32 v5, s16, v5
	s_delay_alu instid0(VALU_DEP_2) | instskip(SKIP_1) | instid1(SALU_CYCLE_1)
	v_cmp_le_i32_e32 vcc_lo, s12, v1
	s_or_b32 s14, vcc_lo, s14
	s_and_not1_b32 exec_lo, exec_lo, s14
	s_cbranch_execz .LBB257_19
.LBB257_17:                             ; =>This Inner Loop Header: Depth=1
	ds_load_b32 v2, v5
	s_and_not1_b32 vcc_lo, exec_lo, s4
	s_waitcnt lgkmcnt(0)
	v_mul_f32_e32 v6, v4, v2
	ds_store_b32 v5, v6
	s_cbranch_vccnz .LBB257_16
; %bb.18:                               ;   in Loop: Header=BB257_17 Depth=1
	v_ashrrev_i32_e32 v2, 31, v1
	s_delay_alu instid0(VALU_DEP_1) | instskip(NEXT) | instid1(VALU_DEP_1)
	v_lshlrev_b64 v[7:8], 1, v[1:2]
	v_add_co_u32 v7, vcc_lo, s6, v7
	s_delay_alu instid0(VALU_DEP_2) | instskip(SKIP_3) | instid1(VALU_DEP_1)
	v_add_co_ci_u32_e32 v8, vcc_lo, s7, v8, vcc_lo
	global_load_u16 v2, v[7:8], off
	s_waitcnt vmcnt(0)
	v_cvt_f32_f16_e32 v2, v2
	v_add_f32_e32 v2, v6, v2
	ds_store_b32 v5, v2
	s_branch .LBB257_16
.LBB257_19:
	s_set_inst_prefetch_distance 0x2
	s_or_b32 exec_lo, exec_lo, s3
	v_mov_b32_e32 v2, 0
	s_cmp_lt_i32 s13, 1
	s_waitcnt lgkmcnt(0)
	s_barrier
	buffer_gl0_inv
	s_cbranch_scc1 .LBB257_28
; %bb.20:
	s_add_u32 s4, s0, 56
	s_addc_u32 s5, s1, 0
	v_dual_mov_b32 v2, 0 :: v_dual_mov_b32 v5, 0
	v_dual_mov_b32 v6, 0xff800000 :: v_dual_mov_b32 v1, 0
	v_mov_b32_e32 v4, 0
	s_cmp_lg_u64 s[6:7], 0
	s_mov_b32 s14, 0
	s_cselect_b32 s3, -1, 0
	s_mov_b32 s18, 0x76543210
	s_branch .LBB257_22
.LBB257_21:                             ;   in Loop: Header=BB257_22 Depth=1
	v_cmp_eq_u32_e32 vcc_lo, s14, v0
	s_delay_alu instid0(VALU_DEP_2) | instskip(NEXT) | instid1(VALU_DEP_2)
	s_lshl_b32 s17, s16, 2
	v_add_f32_e32 v4, v4, v9
	s_add_i32 s17, s17, 0
	s_add_i32 s14, s14, 1
	v_cndmask_b32_e64 v1, v1, s16, vcc_lo
	v_dual_mov_b32 v7, s17 :: v_dual_cndmask_b32 v2, v2, v9
	s_cmp_eq_u32 s14, s13
	ds_store_b32 v7, v6
	s_cbranch_scc1 .LBB257_29
.LBB257_22:                             ; =>This Loop Header: Depth=1
                                        ;     Child Loop BB257_24 Depth 2
	v_dual_mov_b32 v7, s14 :: v_dual_mov_b32 v8, 0xff800000
	s_and_saveexec_b32 s16, s2
	s_cbranch_execz .LBB257_26
; %bb.23:                               ;   in Loop: Header=BB257_22 Depth=1
	s_load_b32 s17, s[4:5], 0xc
	v_dual_mov_b32 v7, s14 :: v_dual_mov_b32 v8, 0xff800000
	v_dual_mov_b32 v9, v3 :: v_dual_mov_b32 v10, v0
	s_mov_b32 s19, 0
	s_waitcnt lgkmcnt(0)
	s_and_b32 s17, s17, 0xffff
	s_delay_alu instid0(SALU_CYCLE_1)
	s_lshl_b32 s20, s17, 2
.LBB257_24:                             ;   Parent Loop BB257_22 Depth=1
                                        ; =>  This Inner Loop Header: Depth=2
	ds_load_b32 v11, v9
	v_add_nc_u32_e32 v9, s20, v9
	s_waitcnt lgkmcnt(0)
	v_cmp_gt_f32_e32 vcc_lo, v11, v8
	v_dual_cndmask_b32 v8, v8, v11 :: v_dual_cndmask_b32 v7, v7, v10
	v_add_nc_u32_e32 v10, s17, v10
	s_delay_alu instid0(VALU_DEP_1) | instskip(SKIP_1) | instid1(SALU_CYCLE_1)
	v_cmp_le_i32_e32 vcc_lo, s12, v10
	s_or_b32 s19, vcc_lo, s19
	s_and_not1_b32 exec_lo, exec_lo, s19
	s_cbranch_execnz .LBB257_24
; %bb.25:                               ;   in Loop: Header=BB257_22 Depth=1
	s_or_b32 exec_lo, exec_lo, s19
.LBB257_26:                             ;   in Loop: Header=BB257_22 Depth=1
	s_delay_alu instid0(SALU_CYCLE_1)
	s_or_b32 exec_lo, exec_lo, s16
	;;#ASMSTART
	v_max_f32 v9, v8, v8 quad_perm:[1,0,3,2] row_mask:0xf bank_mask:0xf bound_ctrl:1
	;;#ASMEND
	;;#ASMSTART
	v_max_f32 v10, v9, v9 quad_perm:[2,3,0,1] row_mask:0xf bank_mask:0xf bound_ctrl:1
	;;#ASMEND
	;;#ASMSTART
	v_max_f32 v9, v10, v10 row_half_mirror row_mask:0xf bank_mask:0xf bound_ctrl:1
	;;#ASMEND
	;;#ASMSTART
	v_max_f32 v10, v9, v9 row_mirror row_mask:0xf bank_mask:0xf bound_ctrl:1
	;;#ASMEND
	v_permlanex16_b32 v9, v10, s18, 0xfedcba98 op_sel:[1,1]
	s_delay_alu instid0(VALU_DEP_1) | instskip(NEXT) | instid1(VALU_DEP_1)
	v_dual_max_f32 v10, v10, v10 :: v_dual_max_f32 v9, v9, v9
	v_max_f32_e32 v9, v10, v9
	s_delay_alu instid0(VALU_DEP_1)
	v_cmp_eq_f32_e32 vcc_lo, v8, v9
	s_ctz_i32_b32 s16, vcc_lo
	s_cmp_lg_u32 vcc_lo, 0
	s_cselect_b32 s16, s16, 0
	s_and_b32 vcc_lo, exec_lo, s3
	v_readlane_b32 s16, v7, s16
	s_cbranch_vccz .LBB257_21
; %bb.27:                               ;   in Loop: Header=BB257_22 Depth=1
	s_delay_alu instid0(VALU_DEP_1) | instskip(NEXT) | instid1(SALU_CYCLE_1)
	s_ashr_i32 s17, s16, 31
	s_lshl_b64 s[20:21], s[16:17], 1
	s_delay_alu instid0(SALU_CYCLE_1) | instskip(SKIP_4) | instid1(VALU_DEP_1)
	s_add_u32 s20, s6, s20
	s_addc_u32 s21, s7, s21
	global_load_u16 v7, v5, s[20:21]
	s_waitcnt vmcnt(0)
	v_cvt_f32_f16_e32 v7, v7
	v_sub_f32_e32 v9, v9, v7
	s_branch .LBB257_21
.LBB257_28:
	v_dual_mov_b32 v1, 0 :: v_dual_mov_b32 v4, 0
.LBB257_29:
	s_mov_b32 s2, exec_lo
	v_cmpx_gt_i32_e64 s13, v0
	s_cbranch_execz .LBB257_32
; %bb.30:
	s_clause 0x1
	s_load_b32 s2, s[0:1], 0x34
	s_load_b32 s3, s[0:1], 0x44
	v_max_f32_e32 v3, v4, v4
	s_load_b64 s[0:1], s[0:1], 0x20
	s_ashr_i32 s4, s15, 31
	s_delay_alu instid0(VALU_DEP_1) | instskip(SKIP_1) | instid1(VALU_DEP_1)
	v_max_f32_e32 v3, 0x1e3ce508, v3
	s_waitcnt lgkmcnt(0)
	v_div_scale_f32 v4, null, v3, v3, s2
	v_div_scale_f32 v7, vcc_lo, s2, v3, s2
	s_mul_i32 s1, s15, s1
	s_delay_alu instid0(VALU_DEP_2) | instskip(SKIP_4) | instid1(VALU_DEP_1)
	v_rcp_f32_e32 v5, v4
	s_mul_i32 s4, s4, s0
	s_and_b32 s3, s3, 0xffff
	s_waitcnt_depctr 0xfff
	v_fma_f32 v6, -v4, v5, 1.0
	v_fmac_f32_e32 v5, v6, v5
	s_delay_alu instid0(VALU_DEP_1) | instskip(NEXT) | instid1(VALU_DEP_1)
	v_mul_f32_e32 v6, v7, v5
	v_fma_f32 v8, -v4, v6, v7
	s_delay_alu instid0(VALU_DEP_1) | instskip(NEXT) | instid1(VALU_DEP_1)
	v_fmac_f32_e32 v6, v8, v5
	v_fma_f32 v4, -v4, v6, v7
	s_delay_alu instid0(VALU_DEP_1) | instskip(NEXT) | instid1(VALU_DEP_1)
	v_div_fmas_f32 v4, v4, v5, v6
	v_div_fixup_f32 v3, v4, v3, s2
	s_mul_hi_u32 s2, s15, s0
	s_delay_alu instid0(SALU_CYCLE_1) | instskip(SKIP_1) | instid1(VALU_DEP_1)
	s_add_i32 s1, s2, s1
	s_mul_i32 s2, s15, s0
	v_mul_f32_e32 v2, v2, v3
	s_add_i32 s1, s1, s4
	s_mov_b32 s4, 0
	.p2align	6
.LBB257_31:                             ; =>This Inner Loop Header: Depth=1
	v_ashrrev_i32_e32 v4, 31, v0
	v_add_co_u32 v3, vcc_lo, s2, v0
	v_add_nc_u32_e32 v0, s3, v0
	s_delay_alu instid0(VALU_DEP_3) | instskip(NEXT) | instid1(VALU_DEP_2)
	v_add_co_ci_u32_e32 v4, vcc_lo, s1, v4, vcc_lo
	v_cmp_le_i32_e32 vcc_lo, s13, v0
	s_delay_alu instid0(VALU_DEP_2) | instskip(SKIP_1) | instid1(VALU_DEP_1)
	v_lshlrev_b64 v[3:4], 2, v[3:4]
	s_or_b32 s4, vcc_lo, s4
	v_add_co_u32 v5, s0, s8, v3
	s_delay_alu instid0(VALU_DEP_1) | instskip(SKIP_1) | instid1(VALU_DEP_1)
	v_add_co_ci_u32_e64 v6, s0, s9, v4, s0
	v_add_co_u32 v3, s0, s10, v3
	v_add_co_ci_u32_e64 v4, s0, s11, v4, s0
	global_store_b32 v[5:6], v2, off
	global_store_b32 v[3:4], v1, off
	s_and_not1_b32 exec_lo, exec_lo, s4
	s_cbranch_execnz .LBB257_31
.LBB257_32:
	s_nop 0
	s_sendmsg sendmsg(MSG_DEALLOC_VGPRS)
	s_endpgm
	.section	.rodata,"a",@progbits
	.p2align	6, 0x0
	.amdhsa_kernel _ZN5aiter20topk_softplus_kernelI12hip_bfloat166__halfDv1_fLb1ELi2EEEvPKT_PKT0_PfPimiiif
		.amdhsa_group_segment_fixed_size 0
		.amdhsa_private_segment_fixed_size 0
		.amdhsa_kernarg_size 312
		.amdhsa_user_sgpr_count 15
		.amdhsa_user_sgpr_dispatch_ptr 0
		.amdhsa_user_sgpr_queue_ptr 0
		.amdhsa_user_sgpr_kernarg_segment_ptr 1
		.amdhsa_user_sgpr_dispatch_id 0
		.amdhsa_user_sgpr_private_segment_size 0
		.amdhsa_wavefront_size32 1
		.amdhsa_uses_dynamic_stack 0
		.amdhsa_enable_private_segment 0
		.amdhsa_system_sgpr_workgroup_id_x 1
		.amdhsa_system_sgpr_workgroup_id_y 0
		.amdhsa_system_sgpr_workgroup_id_z 0
		.amdhsa_system_sgpr_workgroup_info 0
		.amdhsa_system_vgpr_workitem_id 0
		.amdhsa_next_free_vgpr 12
		.amdhsa_next_free_sgpr 22
		.amdhsa_reserve_vcc 1
		.amdhsa_float_round_mode_32 0
		.amdhsa_float_round_mode_16_64 0
		.amdhsa_float_denorm_mode_32 3
		.amdhsa_float_denorm_mode_16_64 3
		.amdhsa_dx10_clamp 1
		.amdhsa_ieee_mode 1
		.amdhsa_fp16_overflow 0
		.amdhsa_workgroup_processor_mode 1
		.amdhsa_memory_ordered 1
		.amdhsa_forward_progress 0
		.amdhsa_shared_vgpr_count 0
		.amdhsa_exception_fp_ieee_invalid_op 0
		.amdhsa_exception_fp_denorm_src 0
		.amdhsa_exception_fp_ieee_div_zero 0
		.amdhsa_exception_fp_ieee_overflow 0
		.amdhsa_exception_fp_ieee_underflow 0
		.amdhsa_exception_fp_ieee_inexact 0
		.amdhsa_exception_int_div_zero 0
	.end_amdhsa_kernel
	.section	.text._ZN5aiter20topk_softplus_kernelI12hip_bfloat166__halfDv1_fLb1ELi2EEEvPKT_PKT0_PfPimiiif,"axG",@progbits,_ZN5aiter20topk_softplus_kernelI12hip_bfloat166__halfDv1_fLb1ELi2EEEvPKT_PKT0_PfPimiiif,comdat
.Lfunc_end257:
	.size	_ZN5aiter20topk_softplus_kernelI12hip_bfloat166__halfDv1_fLb1ELi2EEEvPKT_PKT0_PfPimiiif, .Lfunc_end257-_ZN5aiter20topk_softplus_kernelI12hip_bfloat166__halfDv1_fLb1ELi2EEEvPKT_PKT0_PfPimiiif
                                        ; -- End function
	.section	.AMDGPU.csdata,"",@progbits
; Kernel info:
; codeLenInByte = 1892
; NumSgprs: 24
; NumVgprs: 12
; ScratchSize: 0
; MemoryBound: 0
; FloatMode: 240
; IeeeMode: 1
; LDSByteSize: 0 bytes/workgroup (compile time only)
; SGPRBlocks: 2
; VGPRBlocks: 1
; NumSGPRsForWavesPerEU: 24
; NumVGPRsForWavesPerEU: 12
; Occupancy: 16
; WaveLimiterHint : 0
; COMPUTE_PGM_RSRC2:SCRATCH_EN: 0
; COMPUTE_PGM_RSRC2:USER_SGPR: 15
; COMPUTE_PGM_RSRC2:TRAP_HANDLER: 0
; COMPUTE_PGM_RSRC2:TGID_X_EN: 1
; COMPUTE_PGM_RSRC2:TGID_Y_EN: 0
; COMPUTE_PGM_RSRC2:TGID_Z_EN: 0
; COMPUTE_PGM_RSRC2:TIDIG_COMP_CNT: 0
	.section	.text._ZN5aiter20topk_softplus_kernelI12hip_bfloat166__halfDv1_fLb0ELi2EEEvPKT_PKT0_PfPimiiif,"axG",@progbits,_ZN5aiter20topk_softplus_kernelI12hip_bfloat166__halfDv1_fLb0ELi2EEEvPKT_PKT0_PfPimiiif,comdat
	.protected	_ZN5aiter20topk_softplus_kernelI12hip_bfloat166__halfDv1_fLb0ELi2EEEvPKT_PKT0_PfPimiiif ; -- Begin function _ZN5aiter20topk_softplus_kernelI12hip_bfloat166__halfDv1_fLb0ELi2EEEvPKT_PKT0_PfPimiiif
	.globl	_ZN5aiter20topk_softplus_kernelI12hip_bfloat166__halfDv1_fLb0ELi2EEEvPKT_PKT0_PfPimiiif
	.p2align	8
	.type	_ZN5aiter20topk_softplus_kernelI12hip_bfloat166__halfDv1_fLb0ELi2EEEvPKT_PKT0_PfPimiiif,@function
_ZN5aiter20topk_softplus_kernelI12hip_bfloat166__halfDv1_fLb0ELi2EEEvPKT_PKT0_PfPimiiif: ; @_ZN5aiter20topk_softplus_kernelI12hip_bfloat166__halfDv1_fLb0ELi2EEEvPKT_PKT0_PfPimiiif
; %bb.0:
	s_clause 0x1
	s_load_b64 s[12:13], s[0:1], 0x28
	s_load_b256 s[4:11], s[0:1], 0x0
	v_lshl_add_u32 v3, v0, 2, 0
	s_waitcnt lgkmcnt(0)
	s_mul_i32 s16, s15, s12
	v_cmp_gt_i32_e64 s2, s12, v0
	s_ashr_i32 s17, s16, 31
	s_delay_alu instid0(SALU_CYCLE_1) | instskip(NEXT) | instid1(SALU_CYCLE_1)
	s_lshl_b64 s[16:17], s[16:17], 1
	s_add_u32 s3, s4, s16
	s_addc_u32 s4, s5, s17
	s_and_saveexec_b32 s5, s2
	s_cbranch_execz .LBB258_3
; %bb.1:
	s_load_b32 s14, s[0:1], 0x44
	v_lshl_add_u32 v4, v0, 2, 0
	v_mov_b32_e32 v1, v0
	s_mov_b32 s16, 0
	s_waitcnt lgkmcnt(0)
	s_and_b32 s14, s14, 0xffff
	s_delay_alu instid0(SALU_CYCLE_1)
	s_lshl_b32 s17, s14, 2
	.p2align	6
.LBB258_2:                              ; =>This Inner Loop Header: Depth=1
	v_ashrrev_i32_e32 v2, 31, v1
	s_delay_alu instid0(VALU_DEP_1) | instskip(SKIP_1) | instid1(VALU_DEP_2)
	v_lshlrev_b64 v[5:6], 1, v[1:2]
	v_add_nc_u32_e32 v1, s14, v1
	v_add_co_u32 v5, vcc_lo, s3, v5
	s_delay_alu instid0(VALU_DEP_3) | instskip(NEXT) | instid1(VALU_DEP_3)
	v_add_co_ci_u32_e32 v6, vcc_lo, s4, v6, vcc_lo
	v_cmp_le_i32_e32 vcc_lo, s12, v1
	global_load_u16 v2, v[5:6], off
	s_or_b32 s16, vcc_lo, s16
	s_waitcnt vmcnt(0)
	v_cvt_f32_u32_e32 v2, v2
	ds_store_b32 v4, v2
	v_add_nc_u32_e32 v4, s17, v4
	s_and_not1_b32 exec_lo, exec_lo, s16
	s_cbranch_execnz .LBB258_2
.LBB258_3:
	s_or_b32 exec_lo, exec_lo, s5
	v_add_nc_u32_e32 v1, s12, v0
	s_mov_b32 s5, exec_lo
	s_delay_alu instid0(VALU_DEP_1)
	v_cmpx_gt_i32_e64 s12, v1
	s_cbranch_execz .LBB258_6
; %bb.4:
	s_load_b32 s14, s[0:1], 0x44
	v_lshl_add_u32 v4, v1, 2, 0
	s_mov_b32 s16, 0
	s_waitcnt lgkmcnt(0)
	s_and_b32 s14, s14, 0xffff
	s_delay_alu instid0(SALU_CYCLE_1)
	s_lshl_b32 s17, s14, 2
	.p2align	6
.LBB258_5:                              ; =>This Inner Loop Header: Depth=1
	v_ashrrev_i32_e32 v2, 31, v1
	s_delay_alu instid0(VALU_DEP_1) | instskip(SKIP_1) | instid1(VALU_DEP_2)
	v_lshlrev_b64 v[5:6], 1, v[1:2]
	v_add_nc_u32_e32 v1, s14, v1
	v_add_co_u32 v5, vcc_lo, s3, v5
	s_delay_alu instid0(VALU_DEP_3) | instskip(NEXT) | instid1(VALU_DEP_3)
	v_add_co_ci_u32_e32 v6, vcc_lo, s4, v6, vcc_lo
	v_cmp_le_i32_e32 vcc_lo, s12, v1
	global_load_u16 v2, v[5:6], off
	s_or_b32 s16, vcc_lo, s16
	s_waitcnt vmcnt(0)
	v_lshlrev_b32_e32 v2, 16, v2
	ds_store_b32 v4, v2
	v_add_nc_u32_e32 v4, s17, v4
	s_and_not1_b32 exec_lo, exec_lo, s16
	s_cbranch_execnz .LBB258_5
.LBB258_6:
	s_or_b32 exec_lo, exec_lo, s5
	v_mov_b32_e32 v2, 0xff800000
	s_waitcnt lgkmcnt(0)
	s_barrier
	buffer_gl0_inv
	s_and_saveexec_b32 s3, s2
	s_cbranch_execz .LBB258_10
; %bb.7:
	s_load_b32 s4, s[0:1], 0x44
	v_lshl_add_u32 v1, v0, 2, 0
	v_mov_b32_e32 v2, 0xff800000
	v_mov_b32_e32 v4, v0
	s_waitcnt lgkmcnt(0)
	s_and_b32 s5, s4, 0xffff
	s_mov_b32 s4, 0
	s_lshl_b32 s14, s5, 2
.LBB258_8:                              ; =>This Inner Loop Header: Depth=1
	ds_load_b32 v5, v1
	v_add_nc_u32_e32 v4, s5, v4
	v_dual_max_f32 v2, v2, v2 :: v_dual_add_nc_u32 v1, s14, v1
	s_waitcnt lgkmcnt(0)
	v_max_f32_e32 v5, v5, v5
	s_delay_alu instid0(VALU_DEP_3) | instskip(NEXT) | instid1(VALU_DEP_2)
	v_cmp_le_i32_e32 vcc_lo, s12, v4
	v_max_f32_e32 v2, v2, v5
	s_or_b32 s4, vcc_lo, s4
	s_delay_alu instid0(SALU_CYCLE_1)
	s_and_not1_b32 exec_lo, exec_lo, s4
	s_cbranch_execnz .LBB258_8
; %bb.9:
	s_or_b32 exec_lo, exec_lo, s4
.LBB258_10:
	s_delay_alu instid0(SALU_CYCLE_1)
	s_or_b32 exec_lo, exec_lo, s3
	v_mov_b32_e32 v1, 0
	;;#ASMSTART
	v_max_f32 v4, v2, v2 quad_perm:[1,0,3,2] row_mask:0xf bank_mask:0xf bound_ctrl:1
	;;#ASMEND
	;;#ASMSTART
	v_max_f32 v2, v4, v4 quad_perm:[2,3,0,1] row_mask:0xf bank_mask:0xf bound_ctrl:1
	;;#ASMEND
	;;#ASMSTART
	v_max_f32 v4, v2, v2 row_half_mirror row_mask:0xf bank_mask:0xf bound_ctrl:1
	;;#ASMEND
	;;#ASMSTART
	v_max_f32 v2, v4, v4 row_mirror row_mask:0xf bank_mask:0xf bound_ctrl:1
	;;#ASMEND
	s_and_saveexec_b32 s3, s2
	s_cbranch_execz .LBB258_14
; %bb.11:
	s_load_b32 s4, s[0:1], 0x44
	s_mov_b32 s5, 0x76543210
	v_lshl_add_u32 v4, v0, 2, 0
	v_permlanex16_b32 v1, v2, s5, 0xfedcba98 op_sel:[1,1]
	v_dual_mov_b32 v5, v0 :: v_dual_max_f32 v2, v2, v2
	s_delay_alu instid0(VALU_DEP_2) | instskip(NEXT) | instid1(VALU_DEP_1)
	v_max_f32_e32 v1, v1, v1
	v_dual_max_f32 v2, v2, v1 :: v_dual_mov_b32 v1, 0
	s_waitcnt lgkmcnt(0)
	s_and_b32 s5, s4, 0xffff
	s_mov_b32 s4, 0
	s_lshl_b32 s14, s5, 2
	.p2align	6
.LBB258_12:                             ; =>This Inner Loop Header: Depth=1
	ds_load_b32 v6, v4
	s_waitcnt lgkmcnt(0)
	v_dual_sub_f32 v6, v6, v2 :: v_dual_add_nc_u32 v5, s5, v5
	s_delay_alu instid0(VALU_DEP_1) | instskip(NEXT) | instid1(VALU_DEP_1)
	v_mul_f32_e32 v7, 0x3fb8aa3b, v6
	v_cmp_gt_f32_e32 vcc_lo, 0xc2fc0000, v7
	v_cndmask_b32_e64 v7, 0, 0x42800000, vcc_lo
	s_delay_alu instid0(VALU_DEP_1) | instskip(NEXT) | instid1(VALU_DEP_1)
	v_fmac_f32_e32 v7, 0x3fb8aa3b, v6
	v_exp_f32_e32 v6, v7
	v_cndmask_b32_e64 v7, 1.0, 0x1f800000, vcc_lo
	v_cmp_le_i32_e32 vcc_lo, s12, v5
	s_or_b32 s4, vcc_lo, s4
	s_waitcnt_depctr 0xfff
	v_mul_f32_e32 v8, v6, v7
	v_fmac_f32_e32 v1, v6, v7
	ds_store_b32 v4, v8
	v_add_nc_u32_e32 v4, s14, v4
	s_and_not1_b32 exec_lo, exec_lo, s4
	s_cbranch_execnz .LBB258_12
; %bb.13:
	s_or_b32 exec_lo, exec_lo, s4
.LBB258_14:
	s_delay_alu instid0(SALU_CYCLE_1) | instskip(SKIP_1) | instid1(VALU_DEP_1)
	s_or_b32 exec_lo, exec_lo, s3
	v_mov_b32_dpp v2, v1 quad_perm:[1,0,3,2] row_mask:0xf bank_mask:0xf
	v_add_f32_e32 v1, v1, v2
	s_delay_alu instid0(VALU_DEP_1) | instskip(NEXT) | instid1(VALU_DEP_1)
	v_mov_b32_dpp v2, v1 quad_perm:[2,3,0,1] row_mask:0xf bank_mask:0xf
	v_add_f32_e32 v1, v1, v2
	s_delay_alu instid0(VALU_DEP_1) | instskip(NEXT) | instid1(VALU_DEP_1)
	v_mov_b32_dpp v2, v1 row_xmask:7 row_mask:0xf bank_mask:0xf
	v_add_f32_e32 v1, v1, v2
	s_delay_alu instid0(VALU_DEP_1)
	v_mov_b32_dpp v2, v1 row_xmask:15 row_mask:0xf bank_mask:0xf
	s_and_saveexec_b32 s3, s2
	s_cbranch_execz .LBB258_19
; %bb.15:
	s_delay_alu instid0(VALU_DEP_1)
	v_add_f32_e32 v1, v1, v2
	s_load_b32 s5, s[0:1], 0x44
	s_mov_b32 s4, 0x76543210
	s_cmp_lg_u64 s[6:7], 0
	v_lshl_add_u32 v5, v0, 2, 0
	v_permlanex16_b32 v2, v1, s4, 0xfedcba98 op_sel:[1,1]
	s_cselect_b32 s4, -1, 0
	s_mov_b32 s14, 0
	s_delay_alu instid0(VALU_DEP_1) | instskip(NEXT) | instid1(VALU_DEP_1)
	v_add_f32_e32 v1, v1, v2
	v_rcp_f32_e32 v4, v1
	v_mov_b32_e32 v1, v0
	s_waitcnt lgkmcnt(0)
	s_and_b32 s5, s5, 0xffff
	s_delay_alu instid0(SALU_CYCLE_1)
	s_lshl_b32 s16, s5, 2
	s_set_inst_prefetch_distance 0x1
	s_branch .LBB258_17
	.p2align	6
.LBB258_16:                             ;   in Loop: Header=BB258_17 Depth=1
	v_add_nc_u32_e32 v1, s5, v1
	v_add_nc_u32_e32 v5, s16, v5
	s_delay_alu instid0(VALU_DEP_2) | instskip(SKIP_1) | instid1(SALU_CYCLE_1)
	v_cmp_le_i32_e32 vcc_lo, s12, v1
	s_or_b32 s14, vcc_lo, s14
	s_and_not1_b32 exec_lo, exec_lo, s14
	s_cbranch_execz .LBB258_19
.LBB258_17:                             ; =>This Inner Loop Header: Depth=1
	ds_load_b32 v2, v5
	s_and_not1_b32 vcc_lo, exec_lo, s4
	s_waitcnt lgkmcnt(0)
	v_mul_f32_e32 v6, v4, v2
	ds_store_b32 v5, v6
	s_cbranch_vccnz .LBB258_16
; %bb.18:                               ;   in Loop: Header=BB258_17 Depth=1
	v_ashrrev_i32_e32 v2, 31, v1
	s_delay_alu instid0(VALU_DEP_1) | instskip(NEXT) | instid1(VALU_DEP_1)
	v_lshlrev_b64 v[7:8], 1, v[1:2]
	v_add_co_u32 v7, vcc_lo, s6, v7
	s_delay_alu instid0(VALU_DEP_2) | instskip(SKIP_3) | instid1(VALU_DEP_1)
	v_add_co_ci_u32_e32 v8, vcc_lo, s7, v8, vcc_lo
	global_load_u16 v2, v[7:8], off
	s_waitcnt vmcnt(0)
	v_cvt_f32_f16_e32 v2, v2
	v_add_f32_e32 v2, v6, v2
	ds_store_b32 v5, v2
	s_branch .LBB258_16
.LBB258_19:
	s_set_inst_prefetch_distance 0x2
	s_or_b32 exec_lo, exec_lo, s3
	s_cmp_lt_i32 s13, 1
	s_waitcnt lgkmcnt(0)
	s_barrier
	buffer_gl0_inv
	s_cbranch_scc1 .LBB258_28
; %bb.20:
	s_add_u32 s4, s0, 56
	s_addc_u32 s5, s1, 0
	v_dual_mov_b32 v4, 0 :: v_dual_mov_b32 v1, 0
	v_dual_mov_b32 v5, 0xff800000 :: v_dual_mov_b32 v2, 0
	s_cmp_lg_u64 s[6:7], 0
	s_mov_b32 s14, 0
	s_cselect_b32 s3, -1, 0
	s_mov_b32 s18, 0x76543210
	s_branch .LBB258_22
.LBB258_21:                             ;   in Loop: Header=BB258_22 Depth=1
	v_cmp_eq_u32_e32 vcc_lo, s14, v0
	s_delay_alu instid0(VALU_DEP_2)
	s_lshl_b32 s17, s16, 2
	s_add_i32 s14, s14, 1
	s_add_i32 s17, s17, 0
	s_cmp_eq_u32 s14, s13
	v_cndmask_b32_e64 v1, v1, s16, vcc_lo
	v_mov_b32_e32 v6, s17
	v_cndmask_b32_e32 v2, v2, v8, vcc_lo
	ds_store_b32 v6, v5
	s_cbranch_scc1 .LBB258_29
.LBB258_22:                             ; =>This Loop Header: Depth=1
                                        ;     Child Loop BB258_24 Depth 2
	v_dual_mov_b32 v6, s14 :: v_dual_mov_b32 v7, 0xff800000
	s_and_saveexec_b32 s16, s2
	s_cbranch_execz .LBB258_26
; %bb.23:                               ;   in Loop: Header=BB258_22 Depth=1
	s_load_b32 s17, s[4:5], 0xc
	v_dual_mov_b32 v6, s14 :: v_dual_mov_b32 v7, 0xff800000
	v_dual_mov_b32 v8, v3 :: v_dual_mov_b32 v9, v0
	s_mov_b32 s19, 0
	s_waitcnt lgkmcnt(0)
	s_and_b32 s17, s17, 0xffff
	s_delay_alu instid0(SALU_CYCLE_1)
	s_lshl_b32 s20, s17, 2
.LBB258_24:                             ;   Parent Loop BB258_22 Depth=1
                                        ; =>  This Inner Loop Header: Depth=2
	ds_load_b32 v10, v8
	v_add_nc_u32_e32 v8, s20, v8
	s_waitcnt lgkmcnt(0)
	v_cmp_gt_f32_e32 vcc_lo, v10, v7
	v_dual_cndmask_b32 v7, v7, v10 :: v_dual_cndmask_b32 v6, v6, v9
	v_add_nc_u32_e32 v9, s17, v9
	s_delay_alu instid0(VALU_DEP_1) | instskip(SKIP_1) | instid1(SALU_CYCLE_1)
	v_cmp_le_i32_e32 vcc_lo, s12, v9
	s_or_b32 s19, vcc_lo, s19
	s_and_not1_b32 exec_lo, exec_lo, s19
	s_cbranch_execnz .LBB258_24
; %bb.25:                               ;   in Loop: Header=BB258_22 Depth=1
	s_or_b32 exec_lo, exec_lo, s19
.LBB258_26:                             ;   in Loop: Header=BB258_22 Depth=1
	s_delay_alu instid0(SALU_CYCLE_1)
	s_or_b32 exec_lo, exec_lo, s16
	;;#ASMSTART
	v_max_f32 v8, v7, v7 quad_perm:[1,0,3,2] row_mask:0xf bank_mask:0xf bound_ctrl:1
	;;#ASMEND
	;;#ASMSTART
	v_max_f32 v9, v8, v8 quad_perm:[2,3,0,1] row_mask:0xf bank_mask:0xf bound_ctrl:1
	;;#ASMEND
	;;#ASMSTART
	v_max_f32 v8, v9, v9 row_half_mirror row_mask:0xf bank_mask:0xf bound_ctrl:1
	;;#ASMEND
	;;#ASMSTART
	v_max_f32 v9, v8, v8 row_mirror row_mask:0xf bank_mask:0xf bound_ctrl:1
	;;#ASMEND
	v_permlanex16_b32 v8, v9, s18, 0xfedcba98 op_sel:[1,1]
	s_delay_alu instid0(VALU_DEP_1) | instskip(NEXT) | instid1(VALU_DEP_1)
	v_dual_max_f32 v9, v9, v9 :: v_dual_max_f32 v8, v8, v8
	v_max_f32_e32 v8, v9, v8
	s_delay_alu instid0(VALU_DEP_1)
	v_cmp_eq_f32_e32 vcc_lo, v7, v8
	s_ctz_i32_b32 s16, vcc_lo
	s_cmp_lg_u32 vcc_lo, 0
	s_cselect_b32 s16, s16, 0
	s_and_b32 vcc_lo, exec_lo, s3
	v_readlane_b32 s16, v6, s16
	s_cbranch_vccz .LBB258_21
; %bb.27:                               ;   in Loop: Header=BB258_22 Depth=1
	s_delay_alu instid0(VALU_DEP_1) | instskip(NEXT) | instid1(SALU_CYCLE_1)
	s_ashr_i32 s17, s16, 31
	s_lshl_b64 s[20:21], s[16:17], 1
	s_delay_alu instid0(SALU_CYCLE_1) | instskip(SKIP_4) | instid1(VALU_DEP_1)
	s_add_u32 s20, s6, s20
	s_addc_u32 s21, s7, s21
	global_load_u16 v6, v4, s[20:21]
	s_waitcnt vmcnt(0)
	v_cvt_f32_f16_e32 v6, v6
	v_sub_f32_e32 v8, v8, v6
	s_branch .LBB258_21
.LBB258_28:
	v_dual_mov_b32 v2, 0 :: v_dual_mov_b32 v1, 0
.LBB258_29:
	s_mov_b32 s2, exec_lo
	v_cmpx_gt_i32_e64 s13, v0
	s_cbranch_execz .LBB258_32
; %bb.30:
	s_clause 0x2
	s_load_b32 s4, s[0:1], 0x34
	s_load_b64 s[2:3], s[0:1], 0x20
	s_load_b32 s0, s[0:1], 0x44
	s_ashr_i32 s1, s15, 31
	s_waitcnt lgkmcnt(0)
	v_mul_f32_e32 v2, s4, v2
	s_mul_i32 s3, s15, s3
	s_mul_hi_u32 s4, s15, s2
	s_mul_i32 s5, s1, s2
	s_add_i32 s3, s4, s3
	s_mul_i32 s1, s15, s2
	s_and_b32 s2, s0, 0xffff
	s_add_i32 s3, s3, s5
	s_mov_b32 s4, 0
	.p2align	6
.LBB258_31:                             ; =>This Inner Loop Header: Depth=1
	v_ashrrev_i32_e32 v4, 31, v0
	v_add_co_u32 v3, vcc_lo, s1, v0
	v_add_nc_u32_e32 v0, s2, v0
	s_delay_alu instid0(VALU_DEP_3) | instskip(NEXT) | instid1(VALU_DEP_2)
	v_add_co_ci_u32_e32 v4, vcc_lo, s3, v4, vcc_lo
	v_cmp_le_i32_e32 vcc_lo, s13, v0
	s_delay_alu instid0(VALU_DEP_2) | instskip(SKIP_1) | instid1(VALU_DEP_1)
	v_lshlrev_b64 v[3:4], 2, v[3:4]
	s_or_b32 s4, vcc_lo, s4
	v_add_co_u32 v5, s0, s8, v3
	s_delay_alu instid0(VALU_DEP_1) | instskip(SKIP_1) | instid1(VALU_DEP_1)
	v_add_co_ci_u32_e64 v6, s0, s9, v4, s0
	v_add_co_u32 v3, s0, s10, v3
	v_add_co_ci_u32_e64 v4, s0, s11, v4, s0
	global_store_b32 v[5:6], v2, off
	global_store_b32 v[3:4], v1, off
	s_and_not1_b32 exec_lo, exec_lo, s4
	s_cbranch_execnz .LBB258_31
.LBB258_32:
	s_nop 0
	s_sendmsg sendmsg(MSG_DEALLOC_VGPRS)
	s_endpgm
	.section	.rodata,"a",@progbits
	.p2align	6, 0x0
	.amdhsa_kernel _ZN5aiter20topk_softplus_kernelI12hip_bfloat166__halfDv1_fLb0ELi2EEEvPKT_PKT0_PfPimiiif
		.amdhsa_group_segment_fixed_size 0
		.amdhsa_private_segment_fixed_size 0
		.amdhsa_kernarg_size 312
		.amdhsa_user_sgpr_count 15
		.amdhsa_user_sgpr_dispatch_ptr 0
		.amdhsa_user_sgpr_queue_ptr 0
		.amdhsa_user_sgpr_kernarg_segment_ptr 1
		.amdhsa_user_sgpr_dispatch_id 0
		.amdhsa_user_sgpr_private_segment_size 0
		.amdhsa_wavefront_size32 1
		.amdhsa_uses_dynamic_stack 0
		.amdhsa_enable_private_segment 0
		.amdhsa_system_sgpr_workgroup_id_x 1
		.amdhsa_system_sgpr_workgroup_id_y 0
		.amdhsa_system_sgpr_workgroup_id_z 0
		.amdhsa_system_sgpr_workgroup_info 0
		.amdhsa_system_vgpr_workitem_id 0
		.amdhsa_next_free_vgpr 11
		.amdhsa_next_free_sgpr 22
		.amdhsa_reserve_vcc 1
		.amdhsa_float_round_mode_32 0
		.amdhsa_float_round_mode_16_64 0
		.amdhsa_float_denorm_mode_32 3
		.amdhsa_float_denorm_mode_16_64 3
		.amdhsa_dx10_clamp 1
		.amdhsa_ieee_mode 1
		.amdhsa_fp16_overflow 0
		.amdhsa_workgroup_processor_mode 1
		.amdhsa_memory_ordered 1
		.amdhsa_forward_progress 0
		.amdhsa_shared_vgpr_count 0
		.amdhsa_exception_fp_ieee_invalid_op 0
		.amdhsa_exception_fp_denorm_src 0
		.amdhsa_exception_fp_ieee_div_zero 0
		.amdhsa_exception_fp_ieee_overflow 0
		.amdhsa_exception_fp_ieee_underflow 0
		.amdhsa_exception_fp_ieee_inexact 0
		.amdhsa_exception_int_div_zero 0
	.end_amdhsa_kernel
	.section	.text._ZN5aiter20topk_softplus_kernelI12hip_bfloat166__halfDv1_fLb0ELi2EEEvPKT_PKT0_PfPimiiif,"axG",@progbits,_ZN5aiter20topk_softplus_kernelI12hip_bfloat166__halfDv1_fLb0ELi2EEEvPKT_PKT0_PfPimiiif,comdat
.Lfunc_end258:
	.size	_ZN5aiter20topk_softplus_kernelI12hip_bfloat166__halfDv1_fLb0ELi2EEEvPKT_PKT0_PfPimiiif, .Lfunc_end258-_ZN5aiter20topk_softplus_kernelI12hip_bfloat166__halfDv1_fLb0ELi2EEEvPKT_PKT0_PfPimiiif
                                        ; -- End function
	.section	.AMDGPU.csdata,"",@progbits
; Kernel info:
; codeLenInByte = 1768
; NumSgprs: 24
; NumVgprs: 11
; ScratchSize: 0
; MemoryBound: 0
; FloatMode: 240
; IeeeMode: 1
; LDSByteSize: 0 bytes/workgroup (compile time only)
; SGPRBlocks: 2
; VGPRBlocks: 1
; NumSGPRsForWavesPerEU: 24
; NumVGPRsForWavesPerEU: 11
; Occupancy: 16
; WaveLimiterHint : 0
; COMPUTE_PGM_RSRC2:SCRATCH_EN: 0
; COMPUTE_PGM_RSRC2:USER_SGPR: 15
; COMPUTE_PGM_RSRC2:TRAP_HANDLER: 0
; COMPUTE_PGM_RSRC2:TGID_X_EN: 1
; COMPUTE_PGM_RSRC2:TGID_Y_EN: 0
; COMPUTE_PGM_RSRC2:TGID_Z_EN: 0
; COMPUTE_PGM_RSRC2:TIDIG_COMP_CNT: 0
	.section	.text._ZN5aiter24topk_softplus_kernel_optI12hip_bfloat166__halfLi64ELb1ELi0EEEvPKT_PKT0_PfPimiif,"axG",@progbits,_ZN5aiter24topk_softplus_kernel_optI12hip_bfloat166__halfLi64ELb1ELi0EEEvPKT_PKT0_PfPimiif,comdat
	.protected	_ZN5aiter24topk_softplus_kernel_optI12hip_bfloat166__halfLi64ELb1ELi0EEEvPKT_PKT0_PfPimiif ; -- Begin function _ZN5aiter24topk_softplus_kernel_optI12hip_bfloat166__halfLi64ELb1ELi0EEEvPKT_PKT0_PfPimiif
	.globl	_ZN5aiter24topk_softplus_kernel_optI12hip_bfloat166__halfLi64ELb1ELi0EEEvPKT_PKT0_PfPimiif
	.p2align	8
	.type	_ZN5aiter24topk_softplus_kernel_optI12hip_bfloat166__halfLi64ELb1ELi0EEEvPKT_PKT0_PfPimiif,@function
_ZN5aiter24topk_softplus_kernel_optI12hip_bfloat166__halfLi64ELb1ELi0EEEvPKT_PKT0_PfPimiif: ; @_ZN5aiter24topk_softplus_kernel_optI12hip_bfloat166__halfLi64ELb1ELi0EEEvPKT_PKT0_PfPimiif
; %bb.0:
	s_load_b128 s[4:7], s[0:1], 0x0
	s_lshl_b32 s2, s15, 6
	v_lshlrev_b32_e32 v3, 1, v0
	s_ashr_i32 s3, s2, 31
	s_delay_alu instid0(SALU_CYCLE_1)
	s_lshl_b64 s[2:3], s[2:3], 1
	s_waitcnt lgkmcnt(0)
	s_add_u32 s4, s4, s2
	s_addc_u32 s5, s5, s3
	s_cmp_lg_u64 s[6:7], 0
	global_load_u16 v1, v3, s[4:5]
	s_cselect_b32 s3, -1, 0
	s_waitcnt vmcnt(0)
	v_lshlrev_b32_e32 v1, 16, v1
	s_delay_alu instid0(VALU_DEP_1) | instskip(NEXT) | instid1(VALU_DEP_1)
	v_mul_f32_e32 v2, 0x3fb8aa3b, v1
	v_cmp_gt_f32_e32 vcc_lo, 0xc2fc0000, v2
	v_cndmask_b32_e64 v2, 0, 0x42800000, vcc_lo
	v_cndmask_b32_e64 v4, 1.0, 0x1f800000, vcc_lo
	s_delay_alu instid0(VALU_DEP_2) | instskip(NEXT) | instid1(VALU_DEP_1)
	v_fmac_f32_e32 v2, 0x3fb8aa3b, v1
	v_exp_f32_e32 v2, v2
	s_waitcnt_depctr 0xfff
	v_fma_f32 v2, v2, v4, 1.0
	s_delay_alu instid0(VALU_DEP_1) | instskip(SKIP_1) | instid1(VALU_DEP_1)
	v_cmp_gt_f32_e32 vcc_lo, 0x800000, v2
	v_cndmask_b32_e64 v4, 1.0, 0x4f800000, vcc_lo
	v_mul_f32_e32 v2, v2, v4
	v_cndmask_b32_e64 v4, 0, 0x42000000, vcc_lo
	v_cmp_lt_f32_e32 vcc_lo, 0x41a00000, v1
	s_delay_alu instid0(VALU_DEP_3) | instskip(SKIP_2) | instid1(VALU_DEP_1)
	v_log_f32_e32 v2, v2
	s_waitcnt_depctr 0xfff
	v_sub_f32_e32 v2, v2, v4
	v_mul_f32_e32 v2, 0x3f317218, v2
	s_delay_alu instid0(VALU_DEP_1) | instskip(NEXT) | instid1(VALU_DEP_1)
	v_cndmask_b32_e32 v1, v2, v1, vcc_lo
	v_mul_f32_e32 v2, 0x4f800000, v1
	v_cmp_gt_f32_e32 vcc_lo, 0xf800000, v1
	s_delay_alu instid0(VALU_DEP_2) | instskip(NEXT) | instid1(VALU_DEP_1)
	v_cndmask_b32_e32 v1, v1, v2, vcc_lo
	v_sqrt_f32_e32 v2, v1
	s_waitcnt_depctr 0xfff
	v_add_nc_u32_e32 v4, -1, v2
	v_add_nc_u32_e32 v5, 1, v2
	s_delay_alu instid0(VALU_DEP_2) | instskip(NEXT) | instid1(VALU_DEP_2)
	v_fma_f32 v6, -v4, v2, v1
	v_fma_f32 v7, -v5, v2, v1
	s_delay_alu instid0(VALU_DEP_2) | instskip(NEXT) | instid1(VALU_DEP_1)
	v_cmp_ge_f32_e64 s2, 0, v6
	v_cndmask_b32_e64 v2, v2, v4, s2
	s_delay_alu instid0(VALU_DEP_3) | instskip(NEXT) | instid1(VALU_DEP_1)
	v_cmp_lt_f32_e64 s2, 0, v7
	v_cndmask_b32_e64 v2, v2, v5, s2
	s_delay_alu instid0(VALU_DEP_1) | instskip(NEXT) | instid1(VALU_DEP_1)
	v_mul_f32_e32 v4, 0x37800000, v2
	v_cndmask_b32_e32 v2, v2, v4, vcc_lo
	v_cmp_class_f32_e64 vcc_lo, v1, 0x260
	s_delay_alu instid0(VALU_DEP_2) | instskip(SKIP_1) | instid1(VALU_DEP_1)
	v_cndmask_b32_e32 v4, v2, v1, vcc_lo
	v_add_co_u32 v1, s2, s4, v3
	v_add_co_ci_u32_e64 v2, null, s5, 0, s2
	s_delay_alu instid0(VALU_DEP_3)
	v_mov_b32_e32 v5, v4
	s_and_b32 vcc_lo, exec_lo, s3
	s_cbranch_vccz .LBB259_2
; %bb.1:
	global_load_u16 v5, v3, s[6:7]
	s_waitcnt vmcnt(0)
	v_cvt_f32_f16_e32 v5, v5
	s_delay_alu instid0(VALU_DEP_1)
	v_add_f32_e32 v5, v4, v5
.LBB259_2:
	global_load_u16 v1, v[1:2], off offset:64
	s_waitcnt vmcnt(0)
	v_lshlrev_b32_e32 v1, 16, v1
	s_delay_alu instid0(VALU_DEP_1) | instskip(NEXT) | instid1(VALU_DEP_1)
	v_mul_f32_e32 v2, 0x3fb8aa3b, v1
	v_cmp_gt_f32_e32 vcc_lo, 0xc2fc0000, v2
	v_cndmask_b32_e64 v2, 0, 0x42800000, vcc_lo
	v_cndmask_b32_e64 v6, 1.0, 0x1f800000, vcc_lo
	s_delay_alu instid0(VALU_DEP_2) | instskip(NEXT) | instid1(VALU_DEP_1)
	v_fmac_f32_e32 v2, 0x3fb8aa3b, v1
	v_exp_f32_e32 v2, v2
	s_waitcnt_depctr 0xfff
	v_fma_f32 v2, v2, v6, 1.0
	s_delay_alu instid0(VALU_DEP_1) | instskip(SKIP_1) | instid1(VALU_DEP_1)
	v_cmp_gt_f32_e32 vcc_lo, 0x800000, v2
	v_cndmask_b32_e64 v6, 1.0, 0x4f800000, vcc_lo
	v_mul_f32_e32 v2, v2, v6
	v_cndmask_b32_e64 v6, 0, 0x42000000, vcc_lo
	v_cmp_lt_f32_e32 vcc_lo, 0x41a00000, v1
	s_delay_alu instid0(VALU_DEP_3) | instskip(SKIP_2) | instid1(VALU_DEP_1)
	v_log_f32_e32 v2, v2
	s_waitcnt_depctr 0xfff
	v_sub_f32_e32 v2, v2, v6
	v_mul_f32_e32 v2, 0x3f317218, v2
	s_delay_alu instid0(VALU_DEP_1) | instskip(NEXT) | instid1(VALU_DEP_1)
	v_cndmask_b32_e32 v1, v2, v1, vcc_lo
	v_mul_f32_e32 v2, 0x4f800000, v1
	v_cmp_gt_f32_e32 vcc_lo, 0xf800000, v1
	s_delay_alu instid0(VALU_DEP_2) | instskip(NEXT) | instid1(VALU_DEP_1)
	v_cndmask_b32_e32 v1, v1, v2, vcc_lo
	v_sqrt_f32_e32 v2, v1
	s_waitcnt_depctr 0xfff
	v_add_nc_u32_e32 v6, -1, v2
	v_add_nc_u32_e32 v7, 1, v2
	s_delay_alu instid0(VALU_DEP_2) | instskip(NEXT) | instid1(VALU_DEP_2)
	v_fma_f32 v8, -v6, v2, v1
	v_fma_f32 v9, -v7, v2, v1
	s_delay_alu instid0(VALU_DEP_2) | instskip(NEXT) | instid1(VALU_DEP_1)
	v_cmp_ge_f32_e64 s2, 0, v8
	v_cndmask_b32_e64 v2, v2, v6, s2
	s_delay_alu instid0(VALU_DEP_3) | instskip(NEXT) | instid1(VALU_DEP_1)
	v_cmp_lt_f32_e64 s2, 0, v9
	v_cndmask_b32_e64 v2, v2, v7, s2
	s_delay_alu instid0(VALU_DEP_1) | instskip(NEXT) | instid1(VALU_DEP_1)
	v_mul_f32_e32 v6, 0x37800000, v2
	v_cndmask_b32_e32 v2, v2, v6, vcc_lo
	v_cmp_class_f32_e64 vcc_lo, v1, 0x260
	s_delay_alu instid0(VALU_DEP_2) | instskip(SKIP_1) | instid1(VALU_DEP_1)
	v_cndmask_b32_e32 v10, v2, v1, vcc_lo
	s_and_not1_b32 vcc_lo, exec_lo, s3
	v_mov_b32_e32 v9, v10
	s_cbranch_vccnz .LBB259_4
; %bb.3:
	global_load_u16 v1, v3, s[6:7] offset:64
	s_waitcnt vmcnt(0)
	v_cvt_f32_f16_e32 v1, v1
	s_delay_alu instid0(VALU_DEP_1)
	v_add_f32_e32 v9, v10, v1
.LBB259_4:
	s_clause 0x1
	s_load_b32 s8, s[0:1], 0x28
	s_load_b128 s[4:7], s[0:1], 0x10
	v_dual_mov_b32 v3, 0 :: v_dual_mov_b32 v2, 0
	v_mov_b32_e32 v1, 0
	s_waitcnt lgkmcnt(0)
	s_cmp_gt_i32 s8, 0
	s_cbranch_scc0 .LBB259_7
; %bb.5:
	v_cmp_lt_f32_e32 vcc_lo, v5, v9
	v_add_nc_u32_e32 v1, 32, v0
	v_dual_mov_b32 v3, 0 :: v_dual_mov_b32 v2, 0
	v_dual_mov_b32 v11, v0 :: v_dual_cndmask_b32 v8, v9, v5
	s_delay_alu instid0(VALU_DEP_3)
	v_dual_cndmask_b32 v6, v1, v0 :: v_dual_cndmask_b32 v7, v0, v1
	v_cndmask_b32_e32 v5, v5, v9, vcc_lo
	v_dual_cndmask_b32 v9, v10, v4 :: v_dual_cndmask_b32 v4, v4, v10
	v_dual_mov_b32 v10, 0 :: v_dual_mov_b32 v1, 0
	s_mov_b32 s9, 0x76543210
	s_mov_b32 s10, s8
.LBB259_6:                              ; =>This Inner Loop Header: Depth=1
	s_delay_alu instid0(VALU_DEP_1) | instskip(SKIP_2) | instid1(VALU_DEP_1)
	v_cmp_eq_u32_e32 vcc_lo, 1, v10
	v_cmp_gt_u32_e64 s2, 2, v10
	v_dual_cndmask_b32 v12, v5, v8 :: v_dual_cndmask_b32 v13, v7, v6
	v_cndmask_b32_e64 v12, 0xff800000, v12, s2
	;;#ASMSTART
	v_max_f32 v15, v12, v12 quad_perm:[1,0,3,2] row_mask:0xf bank_mask:0xf bound_ctrl:1
	;;#ASMEND
	;;#ASMSTART
	v_max_f32 v16, v15, v15 quad_perm:[2,3,0,1] row_mask:0xf bank_mask:0xf bound_ctrl:1
	;;#ASMEND
	;;#ASMSTART
	v_max_f32 v15, v16, v16 row_half_mirror row_mask:0xf bank_mask:0xf bound_ctrl:1
	;;#ASMEND
	;;#ASMSTART
	v_max_f32 v16, v15, v15 row_mirror row_mask:0xf bank_mask:0xf bound_ctrl:1
	;;#ASMEND
	v_permlanex16_b32 v15, v16, s9, 0xfedcba98 op_sel:[1,1]
	v_max_f32_e32 v16, v16, v16
	v_cndmask_b32_e64 v14, 0, v13, s2
	s_delay_alu instid0(VALU_DEP_3) | instskip(NEXT) | instid1(VALU_DEP_1)
	v_max_f32_e32 v15, v15, v15
	v_max_f32_e32 v15, v16, v15
	s_delay_alu instid0(VALU_DEP_1) | instskip(SKIP_1) | instid1(VALU_DEP_2)
	v_cmp_eq_f32_e64 s3, v12, v15
	v_cndmask_b32_e32 v12, v4, v9, vcc_lo
	s_ctz_i32_b32 s11, s3
	s_cmp_lg_u32 s3, 0
	s_cselect_b32 s3, s11, 0
	s_add_i32 s10, s10, -1
	v_readlane_b32 s3, v14, s3
	s_delay_alu instid0(VALU_DEP_1)
	v_cmp_eq_u32_e32 vcc_lo, s3, v13
	s_and_b32 vcc_lo, s2, vcc_lo
	s_and_b32 s2, s3, 31
	v_cndmask_b32_e32 v12, 0, v12, vcc_lo
	v_add_co_ci_u32_e32 v10, vcc_lo, 0, v10, vcc_lo
	s_cmp_eq_u32 s10, 0
	s_delay_alu instid0(VALU_DEP_2) | instskip(SKIP_2) | instid1(VALU_DEP_3)
	v_readlane_b32 s11, v12, s2
	v_cmp_eq_u32_e64 s2, 0, v11
	v_add_nc_u32_e32 v11, -1, v11
	v_add_f32_e32 v3, s11, v3
	s_delay_alu instid0(VALU_DEP_3)
	v_cndmask_b32_e64 v2, v2, s11, s2
	v_cndmask_b32_e64 v1, v1, s3, s2
	s_cbranch_scc0 .LBB259_6
.LBB259_7:
	s_mov_b32 s2, exec_lo
	v_cmpx_gt_i32_e64 s8, v0
	s_cbranch_execz .LBB259_9
; %bb.8:
	s_load_b32 s2, s[0:1], 0x30
	v_max_f32_e32 v3, v3, v3
	s_load_b64 s[0:1], s[0:1], 0x20
	s_ashr_i32 s3, s15, 31
	s_delay_alu instid0(VALU_DEP_1) | instskip(SKIP_1) | instid1(VALU_DEP_1)
	v_dual_max_f32 v3, 0x1e3ce508, v3 :: v_dual_lshlrev_b32 v0, 2, v0
	s_waitcnt lgkmcnt(0)
	v_div_scale_f32 v4, null, v3, v3, s2
	v_div_scale_f32 v7, vcc_lo, s2, v3, s2
	s_mul_i32 s1, s15, s1
	s_delay_alu instid0(VALU_DEP_2)
	v_rcp_f32_e32 v5, v4
	s_mul_hi_u32 s8, s15, s0
	s_mul_i32 s3, s3, s0
	s_add_i32 s1, s8, s1
	s_mul_i32 s0, s15, s0
	s_add_i32 s1, s1, s3
	s_delay_alu instid0(SALU_CYCLE_1) | instskip(SKIP_2) | instid1(VALU_DEP_1)
	s_lshl_b64 s[0:1], s[0:1], 2
	s_waitcnt_depctr 0xfff
	v_fma_f32 v6, -v4, v5, 1.0
	v_fmac_f32_e32 v5, v6, v5
	s_delay_alu instid0(VALU_DEP_1) | instskip(NEXT) | instid1(VALU_DEP_1)
	v_mul_f32_e32 v6, v7, v5
	v_fma_f32 v8, -v4, v6, v7
	s_delay_alu instid0(VALU_DEP_1) | instskip(NEXT) | instid1(VALU_DEP_1)
	v_fmac_f32_e32 v6, v8, v5
	v_fma_f32 v4, -v4, v6, v7
	s_delay_alu instid0(VALU_DEP_1) | instskip(NEXT) | instid1(VALU_DEP_1)
	v_div_fmas_f32 v4, v4, v5, v6
	v_div_fixup_f32 v3, v4, v3, s2
	s_add_u32 s2, s4, s0
	s_addc_u32 s3, s5, s1
	s_add_u32 s0, s6, s0
	s_addc_u32 s1, s7, s1
	v_mul_f32_e32 v2, v2, v3
	s_clause 0x1
	global_store_b32 v0, v2, s[2:3]
	global_store_b32 v0, v1, s[0:1]
.LBB259_9:
	s_nop 0
	s_sendmsg sendmsg(MSG_DEALLOC_VGPRS)
	s_endpgm
	.section	.rodata,"a",@progbits
	.p2align	6, 0x0
	.amdhsa_kernel _ZN5aiter24topk_softplus_kernel_optI12hip_bfloat166__halfLi64ELb1ELi0EEEvPKT_PKT0_PfPimiif
		.amdhsa_group_segment_fixed_size 0
		.amdhsa_private_segment_fixed_size 0
		.amdhsa_kernarg_size 52
		.amdhsa_user_sgpr_count 15
		.amdhsa_user_sgpr_dispatch_ptr 0
		.amdhsa_user_sgpr_queue_ptr 0
		.amdhsa_user_sgpr_kernarg_segment_ptr 1
		.amdhsa_user_sgpr_dispatch_id 0
		.amdhsa_user_sgpr_private_segment_size 0
		.amdhsa_wavefront_size32 1
		.amdhsa_uses_dynamic_stack 0
		.amdhsa_enable_private_segment 0
		.amdhsa_system_sgpr_workgroup_id_x 1
		.amdhsa_system_sgpr_workgroup_id_y 0
		.amdhsa_system_sgpr_workgroup_id_z 0
		.amdhsa_system_sgpr_workgroup_info 0
		.amdhsa_system_vgpr_workitem_id 0
		.amdhsa_next_free_vgpr 17
		.amdhsa_next_free_sgpr 16
		.amdhsa_reserve_vcc 1
		.amdhsa_float_round_mode_32 0
		.amdhsa_float_round_mode_16_64 0
		.amdhsa_float_denorm_mode_32 3
		.amdhsa_float_denorm_mode_16_64 3
		.amdhsa_dx10_clamp 1
		.amdhsa_ieee_mode 1
		.amdhsa_fp16_overflow 0
		.amdhsa_workgroup_processor_mode 1
		.amdhsa_memory_ordered 1
		.amdhsa_forward_progress 0
		.amdhsa_shared_vgpr_count 0
		.amdhsa_exception_fp_ieee_invalid_op 0
		.amdhsa_exception_fp_denorm_src 0
		.amdhsa_exception_fp_ieee_div_zero 0
		.amdhsa_exception_fp_ieee_overflow 0
		.amdhsa_exception_fp_ieee_underflow 0
		.amdhsa_exception_fp_ieee_inexact 0
		.amdhsa_exception_int_div_zero 0
	.end_amdhsa_kernel
	.section	.text._ZN5aiter24topk_softplus_kernel_optI12hip_bfloat166__halfLi64ELb1ELi0EEEvPKT_PKT0_PfPimiif,"axG",@progbits,_ZN5aiter24topk_softplus_kernel_optI12hip_bfloat166__halfLi64ELb1ELi0EEEvPKT_PKT0_PfPimiif,comdat
.Lfunc_end259:
	.size	_ZN5aiter24topk_softplus_kernel_optI12hip_bfloat166__halfLi64ELb1ELi0EEEvPKT_PKT0_PfPimiif, .Lfunc_end259-_ZN5aiter24topk_softplus_kernel_optI12hip_bfloat166__halfLi64ELb1ELi0EEEvPKT_PKT0_PfPimiif
                                        ; -- End function
	.section	.AMDGPU.csdata,"",@progbits
; Kernel info:
; codeLenInByte = 1368
; NumSgprs: 18
; NumVgprs: 17
; ScratchSize: 0
; MemoryBound: 0
; FloatMode: 240
; IeeeMode: 1
; LDSByteSize: 0 bytes/workgroup (compile time only)
; SGPRBlocks: 2
; VGPRBlocks: 2
; NumSGPRsForWavesPerEU: 18
; NumVGPRsForWavesPerEU: 17
; Occupancy: 16
; WaveLimiterHint : 0
; COMPUTE_PGM_RSRC2:SCRATCH_EN: 0
; COMPUTE_PGM_RSRC2:USER_SGPR: 15
; COMPUTE_PGM_RSRC2:TRAP_HANDLER: 0
; COMPUTE_PGM_RSRC2:TGID_X_EN: 1
; COMPUTE_PGM_RSRC2:TGID_Y_EN: 0
; COMPUTE_PGM_RSRC2:TGID_Z_EN: 0
; COMPUTE_PGM_RSRC2:TIDIG_COMP_CNT: 0
	.section	.text._ZN5aiter24topk_softplus_kernel_optI12hip_bfloat166__halfLi64ELb0ELi0EEEvPKT_PKT0_PfPimiif,"axG",@progbits,_ZN5aiter24topk_softplus_kernel_optI12hip_bfloat166__halfLi64ELb0ELi0EEEvPKT_PKT0_PfPimiif,comdat
	.protected	_ZN5aiter24topk_softplus_kernel_optI12hip_bfloat166__halfLi64ELb0ELi0EEEvPKT_PKT0_PfPimiif ; -- Begin function _ZN5aiter24topk_softplus_kernel_optI12hip_bfloat166__halfLi64ELb0ELi0EEEvPKT_PKT0_PfPimiif
	.globl	_ZN5aiter24topk_softplus_kernel_optI12hip_bfloat166__halfLi64ELb0ELi0EEEvPKT_PKT0_PfPimiif
	.p2align	8
	.type	_ZN5aiter24topk_softplus_kernel_optI12hip_bfloat166__halfLi64ELb0ELi0EEEvPKT_PKT0_PfPimiif,@function
_ZN5aiter24topk_softplus_kernel_optI12hip_bfloat166__halfLi64ELb0ELi0EEEvPKT_PKT0_PfPimiif: ; @_ZN5aiter24topk_softplus_kernel_optI12hip_bfloat166__halfLi64ELb0ELi0EEEvPKT_PKT0_PfPimiif
; %bb.0:
	s_load_b128 s[4:7], s[0:1], 0x0
	s_lshl_b32 s2, s15, 6
	v_lshlrev_b32_e32 v3, 1, v0
	s_ashr_i32 s3, s2, 31
	s_delay_alu instid0(SALU_CYCLE_1)
	s_lshl_b64 s[2:3], s[2:3], 1
	s_waitcnt lgkmcnt(0)
	s_add_u32 s4, s4, s2
	s_addc_u32 s5, s5, s3
	s_cmp_lg_u64 s[6:7], 0
	global_load_u16 v1, v3, s[4:5]
	s_cselect_b32 s3, -1, 0
	s_waitcnt vmcnt(0)
	v_lshlrev_b32_e32 v1, 16, v1
	s_delay_alu instid0(VALU_DEP_1) | instskip(NEXT) | instid1(VALU_DEP_1)
	v_mul_f32_e32 v2, 0x3fb8aa3b, v1
	v_cmp_gt_f32_e32 vcc_lo, 0xc2fc0000, v2
	v_cndmask_b32_e64 v2, 0, 0x42800000, vcc_lo
	v_cndmask_b32_e64 v4, 1.0, 0x1f800000, vcc_lo
	s_delay_alu instid0(VALU_DEP_2) | instskip(NEXT) | instid1(VALU_DEP_1)
	v_fmac_f32_e32 v2, 0x3fb8aa3b, v1
	v_exp_f32_e32 v2, v2
	s_waitcnt_depctr 0xfff
	v_fma_f32 v2, v2, v4, 1.0
	s_delay_alu instid0(VALU_DEP_1) | instskip(SKIP_1) | instid1(VALU_DEP_1)
	v_cmp_gt_f32_e32 vcc_lo, 0x800000, v2
	v_cndmask_b32_e64 v4, 1.0, 0x4f800000, vcc_lo
	v_mul_f32_e32 v2, v2, v4
	v_cndmask_b32_e64 v4, 0, 0x42000000, vcc_lo
	v_cmp_lt_f32_e32 vcc_lo, 0x41a00000, v1
	s_delay_alu instid0(VALU_DEP_3) | instskip(SKIP_2) | instid1(VALU_DEP_1)
	v_log_f32_e32 v2, v2
	s_waitcnt_depctr 0xfff
	v_sub_f32_e32 v2, v2, v4
	v_mul_f32_e32 v2, 0x3f317218, v2
	s_delay_alu instid0(VALU_DEP_1) | instskip(NEXT) | instid1(VALU_DEP_1)
	v_cndmask_b32_e32 v1, v2, v1, vcc_lo
	v_mul_f32_e32 v2, 0x4f800000, v1
	v_cmp_gt_f32_e32 vcc_lo, 0xf800000, v1
	s_delay_alu instid0(VALU_DEP_2) | instskip(NEXT) | instid1(VALU_DEP_1)
	v_cndmask_b32_e32 v1, v1, v2, vcc_lo
	v_sqrt_f32_e32 v2, v1
	s_waitcnt_depctr 0xfff
	v_add_nc_u32_e32 v4, -1, v2
	v_add_nc_u32_e32 v5, 1, v2
	s_delay_alu instid0(VALU_DEP_2) | instskip(NEXT) | instid1(VALU_DEP_2)
	v_fma_f32 v6, -v4, v2, v1
	v_fma_f32 v7, -v5, v2, v1
	s_delay_alu instid0(VALU_DEP_2) | instskip(NEXT) | instid1(VALU_DEP_1)
	v_cmp_ge_f32_e64 s2, 0, v6
	v_cndmask_b32_e64 v2, v2, v4, s2
	s_delay_alu instid0(VALU_DEP_3) | instskip(NEXT) | instid1(VALU_DEP_1)
	v_cmp_lt_f32_e64 s2, 0, v7
	v_cndmask_b32_e64 v2, v2, v5, s2
	s_delay_alu instid0(VALU_DEP_1) | instskip(NEXT) | instid1(VALU_DEP_1)
	v_mul_f32_e32 v4, 0x37800000, v2
	v_cndmask_b32_e32 v2, v2, v4, vcc_lo
	v_cmp_class_f32_e64 vcc_lo, v1, 0x260
	s_delay_alu instid0(VALU_DEP_2) | instskip(SKIP_1) | instid1(VALU_DEP_1)
	v_cndmask_b32_e32 v4, v2, v1, vcc_lo
	v_add_co_u32 v1, s2, s4, v3
	v_add_co_ci_u32_e64 v2, null, s5, 0, s2
	s_delay_alu instid0(VALU_DEP_3)
	v_mov_b32_e32 v5, v4
	s_and_b32 vcc_lo, exec_lo, s3
	s_cbranch_vccz .LBB260_2
; %bb.1:
	global_load_u16 v5, v3, s[6:7]
	s_waitcnt vmcnt(0)
	v_cvt_f32_f16_e32 v5, v5
	s_delay_alu instid0(VALU_DEP_1)
	v_add_f32_e32 v5, v4, v5
.LBB260_2:
	global_load_u16 v1, v[1:2], off offset:64
	s_waitcnt vmcnt(0)
	v_lshlrev_b32_e32 v1, 16, v1
	s_delay_alu instid0(VALU_DEP_1) | instskip(NEXT) | instid1(VALU_DEP_1)
	v_mul_f32_e32 v2, 0x3fb8aa3b, v1
	v_cmp_gt_f32_e32 vcc_lo, 0xc2fc0000, v2
	v_cndmask_b32_e64 v2, 0, 0x42800000, vcc_lo
	v_cndmask_b32_e64 v6, 1.0, 0x1f800000, vcc_lo
	s_delay_alu instid0(VALU_DEP_2) | instskip(NEXT) | instid1(VALU_DEP_1)
	v_fmac_f32_e32 v2, 0x3fb8aa3b, v1
	v_exp_f32_e32 v2, v2
	s_waitcnt_depctr 0xfff
	v_fma_f32 v2, v2, v6, 1.0
	s_delay_alu instid0(VALU_DEP_1) | instskip(SKIP_1) | instid1(VALU_DEP_1)
	v_cmp_gt_f32_e32 vcc_lo, 0x800000, v2
	v_cndmask_b32_e64 v6, 1.0, 0x4f800000, vcc_lo
	v_mul_f32_e32 v2, v2, v6
	v_cndmask_b32_e64 v6, 0, 0x42000000, vcc_lo
	v_cmp_lt_f32_e32 vcc_lo, 0x41a00000, v1
	s_delay_alu instid0(VALU_DEP_3) | instskip(SKIP_2) | instid1(VALU_DEP_1)
	v_log_f32_e32 v2, v2
	s_waitcnt_depctr 0xfff
	v_sub_f32_e32 v2, v2, v6
	v_mul_f32_e32 v2, 0x3f317218, v2
	s_delay_alu instid0(VALU_DEP_1) | instskip(NEXT) | instid1(VALU_DEP_1)
	v_cndmask_b32_e32 v1, v2, v1, vcc_lo
	v_mul_f32_e32 v2, 0x4f800000, v1
	v_cmp_gt_f32_e32 vcc_lo, 0xf800000, v1
	s_delay_alu instid0(VALU_DEP_2) | instskip(NEXT) | instid1(VALU_DEP_1)
	v_cndmask_b32_e32 v1, v1, v2, vcc_lo
	v_sqrt_f32_e32 v2, v1
	s_waitcnt_depctr 0xfff
	v_add_nc_u32_e32 v6, -1, v2
	v_add_nc_u32_e32 v7, 1, v2
	s_delay_alu instid0(VALU_DEP_2) | instskip(NEXT) | instid1(VALU_DEP_2)
	v_fma_f32 v8, -v6, v2, v1
	v_fma_f32 v9, -v7, v2, v1
	s_delay_alu instid0(VALU_DEP_2) | instskip(NEXT) | instid1(VALU_DEP_1)
	v_cmp_ge_f32_e64 s2, 0, v8
	v_cndmask_b32_e64 v2, v2, v6, s2
	s_delay_alu instid0(VALU_DEP_3) | instskip(NEXT) | instid1(VALU_DEP_1)
	v_cmp_lt_f32_e64 s2, 0, v9
	v_cndmask_b32_e64 v2, v2, v7, s2
	s_delay_alu instid0(VALU_DEP_1) | instskip(NEXT) | instid1(VALU_DEP_1)
	v_mul_f32_e32 v6, 0x37800000, v2
	v_cndmask_b32_e32 v2, v2, v6, vcc_lo
	v_cmp_class_f32_e64 vcc_lo, v1, 0x260
	s_delay_alu instid0(VALU_DEP_2) | instskip(SKIP_1) | instid1(VALU_DEP_1)
	v_cndmask_b32_e32 v2, v2, v1, vcc_lo
	s_and_not1_b32 vcc_lo, exec_lo, s3
	v_mov_b32_e32 v8, v2
	s_cbranch_vccnz .LBB260_4
; %bb.3:
	global_load_u16 v1, v3, s[6:7] offset:64
	s_waitcnt vmcnt(0)
	v_cvt_f32_f16_e32 v1, v1
	s_delay_alu instid0(VALU_DEP_1)
	v_add_f32_e32 v8, v2, v1
.LBB260_4:
	s_clause 0x1
	s_load_b32 s8, s[0:1], 0x28
	s_load_b128 s[4:7], s[0:1], 0x10
	v_mov_b32_e32 v1, 0
	s_waitcnt lgkmcnt(0)
	s_cmp_gt_i32 s8, 0
	s_cbranch_scc0 .LBB260_10
; %bb.5:
	v_cmp_lt_f32_e32 vcc_lo, v5, v8
	v_add_nc_u32_e32 v1, 32, v0
	v_dual_mov_b32 v9, 0 :: v_dual_mov_b32 v10, v0
	s_mov_b32 s9, 0x76543210
	v_cndmask_b32_e32 v7, v8, v5, vcc_lo
	v_cndmask_b32_e32 v5, v5, v8, vcc_lo
	;; [unrolled: 1-line block ×4, first 2 shown]
	v_dual_mov_b32 v2, 0 :: v_dual_cndmask_b32 v3, v1, v0
	v_dual_cndmask_b32 v6, v0, v1 :: v_dual_mov_b32 v1, 0
	s_mov_b32 s10, s8
.LBB260_6:                              ; =>This Inner Loop Header: Depth=1
	v_cmp_eq_u32_e32 vcc_lo, 1, v9
	v_cmp_gt_u32_e64 s2, 2, v9
	v_cndmask_b32_e32 v11, v5, v7, vcc_lo
	s_delay_alu instid0(VALU_DEP_1)
	v_cndmask_b32_e64 v11, 0xff800000, v11, s2
	;;#ASMSTART
	v_max_f32 v12, v11, v11 quad_perm:[1,0,3,2] row_mask:0xf bank_mask:0xf bound_ctrl:1
	;;#ASMEND
	;;#ASMSTART
	v_max_f32 v13, v12, v12 quad_perm:[2,3,0,1] row_mask:0xf bank_mask:0xf bound_ctrl:1
	;;#ASMEND
	;;#ASMSTART
	v_max_f32 v12, v13, v13 row_half_mirror row_mask:0xf bank_mask:0xf bound_ctrl:1
	;;#ASMEND
	;;#ASMSTART
	v_max_f32 v13, v12, v12 row_mirror row_mask:0xf bank_mask:0xf bound_ctrl:1
	;;#ASMEND
	v_permlanex16_b32 v12, v13, s9, 0xfedcba98 op_sel:[1,1]
	s_delay_alu instid0(VALU_DEP_1) | instskip(NEXT) | instid1(VALU_DEP_1)
	v_dual_max_f32 v13, v13, v13 :: v_dual_max_f32 v12, v12, v12
	v_dual_max_f32 v12, v13, v12 :: v_dual_cndmask_b32 v13, v6, v3
	s_delay_alu instid0(VALU_DEP_1) | instskip(NEXT) | instid1(VALU_DEP_2)
	v_cmp_eq_f32_e64 s3, v11, v12
	v_cndmask_b32_e64 v11, 0, v13, s2
	s_delay_alu instid0(VALU_DEP_2)
	s_ctz_i32_b32 s11, s3
	s_cmp_lg_u32 s3, 0
	s_cselect_b32 s3, s11, 0
	s_add_i32 s10, s10, -1
	v_readlane_b32 s3, v11, s3
	v_cndmask_b32_e32 v11, v4, v8, vcc_lo
	s_delay_alu instid0(VALU_DEP_2) | instskip(SKIP_2) | instid1(VALU_DEP_2)
	v_cmp_eq_u32_e32 vcc_lo, s3, v13
	s_and_b32 vcc_lo, s2, vcc_lo
	s_and_b32 s2, s3, 31
	v_cndmask_b32_e32 v11, 0, v11, vcc_lo
	v_add_co_ci_u32_e32 v9, vcc_lo, 0, v9, vcc_lo
	s_cmp_eq_u32 s10, 0
	s_delay_alu instid0(VALU_DEP_2) | instskip(SKIP_2) | instid1(VALU_DEP_2)
	v_readlane_b32 s11, v11, s2
	v_cmp_eq_u32_e64 s2, 0, v10
	v_add_nc_u32_e32 v10, -1, v10
	v_cndmask_b32_e64 v2, v2, s11, s2
	v_cndmask_b32_e64 v1, v1, s3, s2
	s_cbranch_scc0 .LBB260_6
; %bb.7:
	s_mov_b32 s2, exec_lo
	v_cmpx_gt_i32_e64 s8, v0
	s_cbranch_execz .LBB260_9
.LBB260_8:
	s_clause 0x1
	s_load_b64 s[2:3], s[0:1], 0x20
	s_load_b32 s8, s[0:1], 0x30
	s_ashr_i32 s0, s15, 31
	v_lshlrev_b32_e32 v0, 2, v0
	s_waitcnt lgkmcnt(0)
	s_mul_i32 s1, s15, s3
	s_mul_hi_u32 s3, s15, s2
	s_mul_i32 s0, s0, s2
	s_add_i32 s1, s3, s1
	v_mul_f32_e32 v2, s8, v2
	s_add_i32 s1, s1, s0
	s_mul_i32 s0, s15, s2
	s_delay_alu instid0(SALU_CYCLE_1) | instskip(NEXT) | instid1(SALU_CYCLE_1)
	s_lshl_b64 s[0:1], s[0:1], 2
	s_add_u32 s2, s4, s0
	s_addc_u32 s3, s5, s1
	s_add_u32 s0, s6, s0
	s_addc_u32 s1, s7, s1
	s_clause 0x1
	global_store_b32 v0, v2, s[2:3]
	global_store_b32 v0, v1, s[0:1]
.LBB260_9:
	s_nop 0
	s_sendmsg sendmsg(MSG_DEALLOC_VGPRS)
	s_endpgm
.LBB260_10:
	v_mov_b32_e32 v2, 0
	s_mov_b32 s2, exec_lo
	v_cmpx_gt_i32_e64 s8, v0
	s_cbranch_execnz .LBB260_8
	s_branch .LBB260_9
	.section	.rodata,"a",@progbits
	.p2align	6, 0x0
	.amdhsa_kernel _ZN5aiter24topk_softplus_kernel_optI12hip_bfloat166__halfLi64ELb0ELi0EEEvPKT_PKT0_PfPimiif
		.amdhsa_group_segment_fixed_size 0
		.amdhsa_private_segment_fixed_size 0
		.amdhsa_kernarg_size 52
		.amdhsa_user_sgpr_count 15
		.amdhsa_user_sgpr_dispatch_ptr 0
		.amdhsa_user_sgpr_queue_ptr 0
		.amdhsa_user_sgpr_kernarg_segment_ptr 1
		.amdhsa_user_sgpr_dispatch_id 0
		.amdhsa_user_sgpr_private_segment_size 0
		.amdhsa_wavefront_size32 1
		.amdhsa_uses_dynamic_stack 0
		.amdhsa_enable_private_segment 0
		.amdhsa_system_sgpr_workgroup_id_x 1
		.amdhsa_system_sgpr_workgroup_id_y 0
		.amdhsa_system_sgpr_workgroup_id_z 0
		.amdhsa_system_sgpr_workgroup_info 0
		.amdhsa_system_vgpr_workitem_id 0
		.amdhsa_next_free_vgpr 14
		.amdhsa_next_free_sgpr 16
		.amdhsa_reserve_vcc 1
		.amdhsa_float_round_mode_32 0
		.amdhsa_float_round_mode_16_64 0
		.amdhsa_float_denorm_mode_32 3
		.amdhsa_float_denorm_mode_16_64 3
		.amdhsa_dx10_clamp 1
		.amdhsa_ieee_mode 1
		.amdhsa_fp16_overflow 0
		.amdhsa_workgroup_processor_mode 1
		.amdhsa_memory_ordered 1
		.amdhsa_forward_progress 0
		.amdhsa_shared_vgpr_count 0
		.amdhsa_exception_fp_ieee_invalid_op 0
		.amdhsa_exception_fp_denorm_src 0
		.amdhsa_exception_fp_ieee_div_zero 0
		.amdhsa_exception_fp_ieee_overflow 0
		.amdhsa_exception_fp_ieee_underflow 0
		.amdhsa_exception_fp_ieee_inexact 0
		.amdhsa_exception_int_div_zero 0
	.end_amdhsa_kernel
	.section	.text._ZN5aiter24topk_softplus_kernel_optI12hip_bfloat166__halfLi64ELb0ELi0EEEvPKT_PKT0_PfPimiif,"axG",@progbits,_ZN5aiter24topk_softplus_kernel_optI12hip_bfloat166__halfLi64ELb0ELi0EEEvPKT_PKT0_PfPimiif,comdat
.Lfunc_end260:
	.size	_ZN5aiter24topk_softplus_kernel_optI12hip_bfloat166__halfLi64ELb0ELi0EEEvPKT_PKT0_PfPimiif, .Lfunc_end260-_ZN5aiter24topk_softplus_kernel_optI12hip_bfloat166__halfLi64ELb0ELi0EEEvPKT_PKT0_PfPimiif
                                        ; -- End function
	.section	.AMDGPU.csdata,"",@progbits
; Kernel info:
; codeLenInByte = 1268
; NumSgprs: 18
; NumVgprs: 14
; ScratchSize: 0
; MemoryBound: 0
; FloatMode: 240
; IeeeMode: 1
; LDSByteSize: 0 bytes/workgroup (compile time only)
; SGPRBlocks: 2
; VGPRBlocks: 1
; NumSGPRsForWavesPerEU: 18
; NumVGPRsForWavesPerEU: 14
; Occupancy: 16
; WaveLimiterHint : 0
; COMPUTE_PGM_RSRC2:SCRATCH_EN: 0
; COMPUTE_PGM_RSRC2:USER_SGPR: 15
; COMPUTE_PGM_RSRC2:TRAP_HANDLER: 0
; COMPUTE_PGM_RSRC2:TGID_X_EN: 1
; COMPUTE_PGM_RSRC2:TGID_Y_EN: 0
; COMPUTE_PGM_RSRC2:TGID_Z_EN: 0
; COMPUTE_PGM_RSRC2:TIDIG_COMP_CNT: 0
	.section	.text._ZN5aiter24topk_softplus_kernel_optI12hip_bfloat166__halfLi128ELb1ELi0EEEvPKT_PKT0_PfPimiif,"axG",@progbits,_ZN5aiter24topk_softplus_kernel_optI12hip_bfloat166__halfLi128ELb1ELi0EEEvPKT_PKT0_PfPimiif,comdat
	.protected	_ZN5aiter24topk_softplus_kernel_optI12hip_bfloat166__halfLi128ELb1ELi0EEEvPKT_PKT0_PfPimiif ; -- Begin function _ZN5aiter24topk_softplus_kernel_optI12hip_bfloat166__halfLi128ELb1ELi0EEEvPKT_PKT0_PfPimiif
	.globl	_ZN5aiter24topk_softplus_kernel_optI12hip_bfloat166__halfLi128ELb1ELi0EEEvPKT_PKT0_PfPimiif
	.p2align	8
	.type	_ZN5aiter24topk_softplus_kernel_optI12hip_bfloat166__halfLi128ELb1ELi0EEEvPKT_PKT0_PfPimiif,@function
_ZN5aiter24topk_softplus_kernel_optI12hip_bfloat166__halfLi128ELb1ELi0EEEvPKT_PKT0_PfPimiif: ; @_ZN5aiter24topk_softplus_kernel_optI12hip_bfloat166__halfLi128ELb1ELi0EEEvPKT_PKT0_PfPimiif
; %bb.0:
	s_load_b128 s[4:7], s[0:1], 0x0
	s_lshl_b32 s2, s15, 7
	v_lshlrev_b32_e32 v3, 1, v0
	s_ashr_i32 s3, s2, 31
	s_delay_alu instid0(SALU_CYCLE_1)
	s_lshl_b64 s[2:3], s[2:3], 1
	s_waitcnt lgkmcnt(0)
	s_add_u32 s4, s4, s2
	s_addc_u32 s5, s5, s3
	s_cmp_lg_u64 s[6:7], 0
	global_load_u16 v1, v3, s[4:5]
	s_cselect_b32 s3, -1, 0
	s_waitcnt vmcnt(0)
	v_lshlrev_b32_e32 v1, 16, v1
	s_delay_alu instid0(VALU_DEP_1) | instskip(NEXT) | instid1(VALU_DEP_1)
	v_mul_f32_e32 v2, 0x3fb8aa3b, v1
	v_cmp_gt_f32_e32 vcc_lo, 0xc2fc0000, v2
	v_cndmask_b32_e64 v2, 0, 0x42800000, vcc_lo
	v_cndmask_b32_e64 v4, 1.0, 0x1f800000, vcc_lo
	s_delay_alu instid0(VALU_DEP_2) | instskip(NEXT) | instid1(VALU_DEP_1)
	v_fmac_f32_e32 v2, 0x3fb8aa3b, v1
	v_exp_f32_e32 v2, v2
	s_waitcnt_depctr 0xfff
	v_fma_f32 v2, v2, v4, 1.0
	s_delay_alu instid0(VALU_DEP_1) | instskip(SKIP_1) | instid1(VALU_DEP_1)
	v_cmp_gt_f32_e32 vcc_lo, 0x800000, v2
	v_cndmask_b32_e64 v4, 1.0, 0x4f800000, vcc_lo
	v_mul_f32_e32 v2, v2, v4
	v_cndmask_b32_e64 v4, 0, 0x42000000, vcc_lo
	v_cmp_lt_f32_e32 vcc_lo, 0x41a00000, v1
	s_delay_alu instid0(VALU_DEP_3) | instskip(SKIP_2) | instid1(VALU_DEP_1)
	v_log_f32_e32 v2, v2
	s_waitcnt_depctr 0xfff
	v_sub_f32_e32 v2, v2, v4
	v_mul_f32_e32 v2, 0x3f317218, v2
	s_delay_alu instid0(VALU_DEP_1) | instskip(NEXT) | instid1(VALU_DEP_1)
	v_cndmask_b32_e32 v1, v2, v1, vcc_lo
	v_mul_f32_e32 v2, 0x4f800000, v1
	v_cmp_gt_f32_e32 vcc_lo, 0xf800000, v1
	s_delay_alu instid0(VALU_DEP_2) | instskip(NEXT) | instid1(VALU_DEP_1)
	v_cndmask_b32_e32 v1, v1, v2, vcc_lo
	v_sqrt_f32_e32 v2, v1
	s_waitcnt_depctr 0xfff
	v_add_nc_u32_e32 v4, -1, v2
	v_add_nc_u32_e32 v5, 1, v2
	s_delay_alu instid0(VALU_DEP_2) | instskip(NEXT) | instid1(VALU_DEP_2)
	v_fma_f32 v6, -v4, v2, v1
	v_fma_f32 v7, -v5, v2, v1
	s_delay_alu instid0(VALU_DEP_2) | instskip(NEXT) | instid1(VALU_DEP_1)
	v_cmp_ge_f32_e64 s2, 0, v6
	v_cndmask_b32_e64 v2, v2, v4, s2
	s_delay_alu instid0(VALU_DEP_3) | instskip(NEXT) | instid1(VALU_DEP_1)
	v_cmp_lt_f32_e64 s2, 0, v7
	v_cndmask_b32_e64 v2, v2, v5, s2
	s_delay_alu instid0(VALU_DEP_1) | instskip(NEXT) | instid1(VALU_DEP_1)
	v_mul_f32_e32 v4, 0x37800000, v2
	v_cndmask_b32_e32 v2, v2, v4, vcc_lo
	v_cmp_class_f32_e64 vcc_lo, v1, 0x260
	s_delay_alu instid0(VALU_DEP_2) | instskip(SKIP_1) | instid1(VALU_DEP_1)
	v_cndmask_b32_e32 v4, v2, v1, vcc_lo
	v_add_co_u32 v1, s2, s4, v3
	v_add_co_ci_u32_e64 v2, null, s5, 0, s2
	s_delay_alu instid0(VALU_DEP_3)
	v_mov_b32_e32 v5, v4
	s_and_b32 vcc_lo, exec_lo, s3
	s_cbranch_vccz .LBB261_2
; %bb.1:
	global_load_u16 v5, v3, s[6:7]
	s_waitcnt vmcnt(0)
	v_cvt_f32_f16_e32 v5, v5
	s_delay_alu instid0(VALU_DEP_1)
	v_add_f32_e32 v5, v4, v5
.LBB261_2:
	global_load_u16 v6, v[1:2], off offset:64
	s_waitcnt vmcnt(0)
	v_lshlrev_b32_e32 v6, 16, v6
	s_delay_alu instid0(VALU_DEP_1) | instskip(NEXT) | instid1(VALU_DEP_1)
	v_mul_f32_e32 v7, 0x3fb8aa3b, v6
	v_cmp_gt_f32_e32 vcc_lo, 0xc2fc0000, v7
	v_cndmask_b32_e64 v7, 0, 0x42800000, vcc_lo
	v_cndmask_b32_e64 v8, 1.0, 0x1f800000, vcc_lo
	s_delay_alu instid0(VALU_DEP_2) | instskip(NEXT) | instid1(VALU_DEP_1)
	v_fmac_f32_e32 v7, 0x3fb8aa3b, v6
	v_exp_f32_e32 v7, v7
	s_waitcnt_depctr 0xfff
	v_fma_f32 v7, v7, v8, 1.0
	s_delay_alu instid0(VALU_DEP_1) | instskip(SKIP_1) | instid1(VALU_DEP_1)
	v_cmp_gt_f32_e32 vcc_lo, 0x800000, v7
	v_cndmask_b32_e64 v8, 1.0, 0x4f800000, vcc_lo
	v_mul_f32_e32 v7, v7, v8
	v_cndmask_b32_e64 v8, 0, 0x42000000, vcc_lo
	v_cmp_lt_f32_e32 vcc_lo, 0x41a00000, v6
	s_delay_alu instid0(VALU_DEP_3) | instskip(SKIP_2) | instid1(VALU_DEP_1)
	v_log_f32_e32 v7, v7
	s_waitcnt_depctr 0xfff
	v_sub_f32_e32 v7, v7, v8
	v_mul_f32_e32 v7, 0x3f317218, v7
	s_delay_alu instid0(VALU_DEP_1) | instskip(NEXT) | instid1(VALU_DEP_1)
	v_cndmask_b32_e32 v6, v7, v6, vcc_lo
	v_mul_f32_e32 v7, 0x4f800000, v6
	v_cmp_gt_f32_e32 vcc_lo, 0xf800000, v6
	s_delay_alu instid0(VALU_DEP_2) | instskip(NEXT) | instid1(VALU_DEP_1)
	v_cndmask_b32_e32 v6, v6, v7, vcc_lo
	v_sqrt_f32_e32 v7, v6
	s_waitcnt_depctr 0xfff
	v_add_nc_u32_e32 v8, -1, v7
	v_add_nc_u32_e32 v9, 1, v7
	s_delay_alu instid0(VALU_DEP_2) | instskip(NEXT) | instid1(VALU_DEP_2)
	v_fma_f32 v10, -v8, v7, v6
	v_fma_f32 v11, -v9, v7, v6
	s_delay_alu instid0(VALU_DEP_2) | instskip(NEXT) | instid1(VALU_DEP_1)
	v_cmp_ge_f32_e64 s2, 0, v10
	v_cndmask_b32_e64 v7, v7, v8, s2
	s_delay_alu instid0(VALU_DEP_3) | instskip(NEXT) | instid1(VALU_DEP_1)
	v_cmp_lt_f32_e64 s2, 0, v11
	v_cndmask_b32_e64 v7, v7, v9, s2
	s_delay_alu instid0(VALU_DEP_1) | instskip(NEXT) | instid1(VALU_DEP_1)
	v_mul_f32_e32 v8, 0x37800000, v7
	v_cndmask_b32_e32 v8, v7, v8, vcc_lo
	v_cmp_class_f32_e64 vcc_lo, v6, 0x260
	v_cndmask_b32_e64 v7, 0, 1, s3
	s_delay_alu instid0(VALU_DEP_3) | instskip(SKIP_1) | instid1(VALU_DEP_1)
	v_cndmask_b32_e32 v8, v8, v6, vcc_lo
	s_and_not1_b32 vcc_lo, exec_lo, s3
	v_mov_b32_e32 v11, v8
	s_cbranch_vccnz .LBB261_4
; %bb.3:
	global_load_u16 v6, v3, s[6:7] offset:64
	s_waitcnt vmcnt(0)
	v_cvt_f32_f16_e32 v6, v6
	s_delay_alu instid0(VALU_DEP_1)
	v_add_f32_e32 v11, v8, v6
.LBB261_4:
	global_load_u16 v6, v[1:2], off offset:128
	s_waitcnt vmcnt(0)
	v_lshlrev_b32_e32 v6, 16, v6
	s_delay_alu instid0(VALU_DEP_1) | instskip(NEXT) | instid1(VALU_DEP_1)
	v_mul_f32_e32 v9, 0x3fb8aa3b, v6
	v_cmp_gt_f32_e32 vcc_lo, 0xc2fc0000, v9
	v_cndmask_b32_e64 v9, 0, 0x42800000, vcc_lo
	v_cndmask_b32_e64 v10, 1.0, 0x1f800000, vcc_lo
	s_delay_alu instid0(VALU_DEP_2) | instskip(NEXT) | instid1(VALU_DEP_1)
	v_fmac_f32_e32 v9, 0x3fb8aa3b, v6
	v_exp_f32_e32 v9, v9
	s_waitcnt_depctr 0xfff
	v_fma_f32 v9, v9, v10, 1.0
	s_delay_alu instid0(VALU_DEP_1) | instskip(SKIP_1) | instid1(VALU_DEP_1)
	v_cmp_gt_f32_e32 vcc_lo, 0x800000, v9
	v_cndmask_b32_e64 v10, 1.0, 0x4f800000, vcc_lo
	v_mul_f32_e32 v9, v9, v10
	v_cndmask_b32_e64 v10, 0, 0x42000000, vcc_lo
	s_delay_alu instid0(VALU_DEP_2) | instskip(SKIP_2) | instid1(VALU_DEP_1)
	v_log_f32_e32 v9, v9
	s_waitcnt_depctr 0xfff
	v_sub_f32_e32 v9, v9, v10
	v_mul_f32_e32 v9, 0x3f317218, v9
	v_cmp_lt_f32_e32 vcc_lo, 0x41a00000, v6
	s_delay_alu instid0(VALU_DEP_2) | instskip(NEXT) | instid1(VALU_DEP_1)
	v_cndmask_b32_e32 v6, v9, v6, vcc_lo
	v_mul_f32_e32 v9, 0x4f800000, v6
	v_cmp_gt_f32_e32 vcc_lo, 0xf800000, v6
	s_delay_alu instid0(VALU_DEP_2) | instskip(NEXT) | instid1(VALU_DEP_1)
	v_cndmask_b32_e32 v6, v6, v9, vcc_lo
	v_sqrt_f32_e32 v9, v6
	s_waitcnt_depctr 0xfff
	v_add_nc_u32_e32 v10, -1, v9
	v_add_nc_u32_e32 v12, 1, v9
	s_delay_alu instid0(VALU_DEP_2) | instskip(NEXT) | instid1(VALU_DEP_2)
	v_fma_f32 v13, -v10, v9, v6
	v_fma_f32 v14, -v12, v9, v6
	s_delay_alu instid0(VALU_DEP_2) | instskip(NEXT) | instid1(VALU_DEP_1)
	v_cmp_ge_f32_e64 s2, 0, v13
	v_cndmask_b32_e64 v9, v9, v10, s2
	s_delay_alu instid0(VALU_DEP_3) | instskip(NEXT) | instid1(VALU_DEP_1)
	v_cmp_lt_f32_e64 s2, 0, v14
	v_cndmask_b32_e64 v9, v9, v12, s2
	s_delay_alu instid0(VALU_DEP_1) | instskip(NEXT) | instid1(VALU_DEP_1)
	v_mul_f32_e32 v10, 0x37800000, v9
	v_cndmask_b32_e32 v9, v9, v10, vcc_lo
	v_cmp_class_f32_e64 vcc_lo, v6, 0x260
	s_delay_alu instid0(VALU_DEP_2) | instskip(SKIP_1) | instid1(VALU_DEP_2)
	v_cndmask_b32_e32 v10, v9, v6, vcc_lo
	v_cmp_ne_u32_e32 vcc_lo, 1, v7
	v_mov_b32_e32 v6, v10
	s_cbranch_vccnz .LBB261_6
; %bb.5:
	global_load_u16 v6, v3, s[6:7] offset:128
	s_waitcnt vmcnt(0)
	v_cvt_f32_f16_e32 v6, v6
	s_delay_alu instid0(VALU_DEP_1)
	v_add_f32_e32 v6, v10, v6
.LBB261_6:
	global_load_u16 v1, v[1:2], off offset:192
	s_waitcnt vmcnt(0)
	v_lshlrev_b32_e32 v1, 16, v1
	s_delay_alu instid0(VALU_DEP_1) | instskip(NEXT) | instid1(VALU_DEP_1)
	v_mul_f32_e32 v2, 0x3fb8aa3b, v1
	v_cmp_gt_f32_e32 vcc_lo, 0xc2fc0000, v2
	v_cndmask_b32_e64 v2, 0, 0x42800000, vcc_lo
	v_cndmask_b32_e64 v9, 1.0, 0x1f800000, vcc_lo
	s_delay_alu instid0(VALU_DEP_2) | instskip(NEXT) | instid1(VALU_DEP_1)
	v_fmac_f32_e32 v2, 0x3fb8aa3b, v1
	v_exp_f32_e32 v2, v2
	s_waitcnt_depctr 0xfff
	v_fma_f32 v2, v2, v9, 1.0
	s_delay_alu instid0(VALU_DEP_1) | instskip(SKIP_1) | instid1(VALU_DEP_1)
	v_cmp_gt_f32_e32 vcc_lo, 0x800000, v2
	v_cndmask_b32_e64 v9, 1.0, 0x4f800000, vcc_lo
	v_mul_f32_e32 v2, v2, v9
	v_cndmask_b32_e64 v9, 0, 0x42000000, vcc_lo
	s_delay_alu instid0(VALU_DEP_2) | instskip(SKIP_2) | instid1(VALU_DEP_1)
	v_log_f32_e32 v2, v2
	s_waitcnt_depctr 0xfff
	v_sub_f32_e32 v2, v2, v9
	v_mul_f32_e32 v2, 0x3f317218, v2
	v_cmp_lt_f32_e32 vcc_lo, 0x41a00000, v1
	s_delay_alu instid0(VALU_DEP_2) | instskip(NEXT) | instid1(VALU_DEP_1)
	v_cndmask_b32_e32 v1, v2, v1, vcc_lo
	v_mul_f32_e32 v2, 0x4f800000, v1
	v_cmp_gt_f32_e32 vcc_lo, 0xf800000, v1
	s_delay_alu instid0(VALU_DEP_2) | instskip(NEXT) | instid1(VALU_DEP_1)
	v_cndmask_b32_e32 v1, v1, v2, vcc_lo
	v_sqrt_f32_e32 v2, v1
	s_waitcnt_depctr 0xfff
	v_add_nc_u32_e32 v9, -1, v2
	v_add_nc_u32_e32 v12, 1, v2
	s_delay_alu instid0(VALU_DEP_2) | instskip(NEXT) | instid1(VALU_DEP_2)
	v_fma_f32 v13, -v9, v2, v1
	v_fma_f32 v14, -v12, v2, v1
	s_delay_alu instid0(VALU_DEP_2) | instskip(NEXT) | instid1(VALU_DEP_1)
	v_cmp_ge_f32_e64 s2, 0, v13
	v_cndmask_b32_e64 v2, v2, v9, s2
	s_delay_alu instid0(VALU_DEP_3) | instskip(NEXT) | instid1(VALU_DEP_1)
	v_cmp_lt_f32_e64 s2, 0, v14
	v_cndmask_b32_e64 v2, v2, v12, s2
	s_delay_alu instid0(VALU_DEP_1) | instskip(NEXT) | instid1(VALU_DEP_1)
	v_mul_f32_e32 v9, 0x37800000, v2
	v_cndmask_b32_e32 v2, v2, v9, vcc_lo
	v_cmp_class_f32_e64 vcc_lo, v1, 0x260
	s_delay_alu instid0(VALU_DEP_2) | instskip(SKIP_1) | instid1(VALU_DEP_2)
	v_cndmask_b32_e32 v1, v2, v1, vcc_lo
	v_cmp_ne_u32_e32 vcc_lo, 1, v7
	v_mov_b32_e32 v2, v1
	s_cbranch_vccnz .LBB261_8
; %bb.7:
	global_load_u16 v2, v3, s[6:7] offset:192
	s_waitcnt vmcnt(0)
	v_cvt_f32_f16_e32 v2, v2
	s_delay_alu instid0(VALU_DEP_1)
	v_add_f32_e32 v2, v1, v2
.LBB261_8:
	v_cmp_lt_f32_e32 vcc_lo, v5, v11
	v_add_nc_u32_e32 v12, 32, v0
	v_add_nc_u32_e32 v14, 64, v0
	;; [unrolled: 1-line block ×3, first 2 shown]
	s_mov_b32 s2, exec_lo
	v_dual_cndmask_b32 v7, v8, v4 :: v_dual_mov_b32 v16, v6
	v_cndmask_b32_e32 v4, v4, v8, vcc_lo
	v_dual_cndmask_b32 v8, v11, v5 :: v_dual_cndmask_b32 v11, v5, v11
	v_cndmask_b32_e32 v9, v12, v0, vcc_lo
	v_cndmask_b32_e32 v13, v0, v12, vcc_lo
	v_cmpx_lt_f32_e32 v6, v2
	s_xor_b32 s2, exec_lo, s2
; %bb.9:
	v_mov_b32_e32 v15, v6
	v_mov_b32_e32 v5, v10
	;; [unrolled: 1-line block ×3, first 2 shown]
	v_swap_b32 v10, v1
	v_swap_b32 v14, v3
	v_mov_b32_e32 v6, v2
	v_mov_b32_e32 v16, v2
	;; [unrolled: 1-line block ×3, first 2 shown]
; %bb.10:
	s_or_b32 exec_lo, exec_lo, s2
	s_delay_alu instid0(VALU_DEP_3)
	v_cmp_lt_f32_e32 vcc_lo, v11, v6
	s_mov_b32 s2, exec_lo
	v_dual_cndmask_b32 v15, v10, v4 :: v_dual_cndmask_b32 v4, v4, v10
	v_dual_cndmask_b32 v12, v14, v13 :: v_dual_cndmask_b32 v5, v13, v14
	;; [unrolled: 1-line block ×3, first 2 shown]
	v_mov_b32_e32 v14, v8
	v_cmpx_lt_f32_e32 v8, v2
; %bb.11:
	v_mov_b32_e32 v16, v8
	v_dual_mov_b32 v10, v7 :: v_dual_mov_b32 v11, v9
	v_swap_b32 v7, v1
	v_swap_b32 v9, v3
	v_mov_b32_e32 v8, v2
	v_mov_b32_e32 v14, v2
	;; [unrolled: 1-line block ×3, first 2 shown]
; %bb.12:
	s_or_b32 exec_lo, exec_lo, s2
	s_clause 0x1
	s_load_b32 s8, s[0:1], 0x28
	s_load_b128 s[4:7], s[0:1], 0x10
	v_mov_b32_e32 v10, 0
	s_waitcnt lgkmcnt(0)
	s_cmp_lt_i32 s8, 1
	s_cbranch_scc1 .LBB261_18
; %bb.13:
	v_cmp_lt_f32_e32 vcc_lo, v8, v13
	v_mov_b32_e32 v17, v0
	s_mov_b32 s9, 0x76543210
	s_mov_b32 s10, s8
	v_dual_mov_b32 v10, 0 :: v_dual_cndmask_b32 v11, v12, v9
	v_cndmask_b32_e32 v9, v9, v12, vcc_lo
	v_dual_cndmask_b32 v12, v13, v8 :: v_dual_cndmask_b32 v13, v14, v13
	v_cndmask_b32_e32 v14, v15, v7, vcc_lo
	v_dual_cndmask_b32 v15, v7, v15 :: v_dual_mov_b32 v16, 0
	v_dual_mov_b32 v7, 0 :: v_dual_mov_b32 v8, 0
.LBB261_14:                             ; =>This Inner Loop Header: Depth=1
	s_delay_alu instid0(VALU_DEP_2) | instskip(SKIP_1) | instid1(VALU_DEP_4)
	v_cmp_eq_u32_e32 vcc_lo, 1, v16
	v_cmp_eq_u32_e64 s2, 2, v16
	v_dual_cndmask_b32 v19, v5, v9 :: v_dual_cndmask_b32 v20, v4, v15
	s_delay_alu instid0(VALU_DEP_1) | instskip(SKIP_2) | instid1(VALU_DEP_4)
	v_cndmask_b32_e64 v19, v19, v11, s2
	v_cndmask_b32_e32 v18, v6, v13, vcc_lo
	v_cmp_eq_u32_e32 vcc_lo, 3, v16
	v_cndmask_b32_e64 v20, v20, v14, s2
	s_delay_alu instid0(VALU_DEP_4) | instskip(NEXT) | instid1(VALU_DEP_4)
	v_cndmask_b32_e32 v19, v19, v3, vcc_lo
	v_cndmask_b32_e64 v18, v18, v12, s2
	v_cmp_gt_u32_e64 s2, 4, v16
	s_delay_alu instid0(VALU_DEP_2) | instskip(NEXT) | instid1(VALU_DEP_2)
	v_cndmask_b32_e32 v18, v18, v2, vcc_lo
	v_cndmask_b32_e64 v21, 0, v19, s2
	s_delay_alu instid0(VALU_DEP_2)
	v_cndmask_b32_e64 v18, 0xff800000, v18, s2
	;;#ASMSTART
	v_max_f32 v22, v18, v18 quad_perm:[1,0,3,2] row_mask:0xf bank_mask:0xf bound_ctrl:1
	;;#ASMEND
	;;#ASMSTART
	v_max_f32 v23, v22, v22 quad_perm:[2,3,0,1] row_mask:0xf bank_mask:0xf bound_ctrl:1
	;;#ASMEND
	;;#ASMSTART
	v_max_f32 v22, v23, v23 row_half_mirror row_mask:0xf bank_mask:0xf bound_ctrl:1
	;;#ASMEND
	;;#ASMSTART
	v_max_f32 v23, v22, v22 row_mirror row_mask:0xf bank_mask:0xf bound_ctrl:1
	;;#ASMEND
	v_permlanex16_b32 v22, v23, s9, 0xfedcba98 op_sel:[1,1]
	s_delay_alu instid0(VALU_DEP_1) | instskip(NEXT) | instid1(VALU_DEP_1)
	v_dual_max_f32 v23, v23, v23 :: v_dual_max_f32 v22, v22, v22
	v_max_f32_e32 v22, v23, v22
	s_delay_alu instid0(VALU_DEP_1) | instskip(SKIP_1) | instid1(VALU_DEP_2)
	v_cmp_eq_f32_e64 s3, v18, v22
	v_cndmask_b32_e32 v18, v20, v1, vcc_lo
	s_ctz_i32_b32 s11, s3
	s_cmp_lg_u32 s3, 0
	s_cselect_b32 s3, s11, 0
	s_add_i32 s10, s10, -1
	v_readlane_b32 s3, v21, s3
	s_delay_alu instid0(VALU_DEP_1)
	v_cmp_eq_u32_e32 vcc_lo, s3, v19
	s_and_b32 vcc_lo, s2, vcc_lo
	s_and_b32 s2, s3, 31
	v_cndmask_b32_e32 v18, 0, v18, vcc_lo
	v_add_co_ci_u32_e32 v16, vcc_lo, 0, v16, vcc_lo
	s_cmp_eq_u32 s10, 0
	s_delay_alu instid0(VALU_DEP_2) | instskip(SKIP_1) | instid1(VALU_DEP_2)
	v_readlane_b32 s11, v18, s2
	v_cmp_eq_u32_e64 s2, 0, v17
	v_dual_add_f32 v10, s11, v10 :: v_dual_add_nc_u32 v17, -1, v17
	s_delay_alu instid0(VALU_DEP_2)
	v_cndmask_b32_e64 v8, v8, s11, s2
	v_cndmask_b32_e64 v7, v7, s3, s2
	s_cbranch_scc0 .LBB261_14
; %bb.15:
	s_mov_b32 s2, exec_lo
	v_cmpx_gt_i32_e64 s8, v0
	s_cbranch_execz .LBB261_17
.LBB261_16:
	s_load_b32 s2, s[0:1], 0x30
	v_max_f32_e32 v1, v10, v10
	s_load_b64 s[0:1], s[0:1], 0x20
	s_ashr_i32 s3, s15, 31
	s_delay_alu instid0(VALU_DEP_1) | instskip(SKIP_1) | instid1(VALU_DEP_1)
	v_dual_max_f32 v1, 0x1e3ce508, v1 :: v_dual_lshlrev_b32 v0, 2, v0
	s_waitcnt lgkmcnt(0)
	v_div_scale_f32 v2, null, v1, v1, s2
	v_div_scale_f32 v5, vcc_lo, s2, v1, s2
	s_mul_i32 s1, s15, s1
	s_delay_alu instid0(VALU_DEP_2)
	v_rcp_f32_e32 v3, v2
	s_mul_hi_u32 s8, s15, s0
	s_mul_i32 s3, s3, s0
	s_add_i32 s1, s8, s1
	s_mul_i32 s0, s15, s0
	s_add_i32 s1, s1, s3
	s_delay_alu instid0(SALU_CYCLE_1) | instskip(SKIP_2) | instid1(VALU_DEP_1)
	s_lshl_b64 s[0:1], s[0:1], 2
	s_waitcnt_depctr 0xfff
	v_fma_f32 v4, -v2, v3, 1.0
	v_fmac_f32_e32 v3, v4, v3
	s_delay_alu instid0(VALU_DEP_1) | instskip(NEXT) | instid1(VALU_DEP_1)
	v_mul_f32_e32 v4, v5, v3
	v_fma_f32 v6, -v2, v4, v5
	s_delay_alu instid0(VALU_DEP_1) | instskip(NEXT) | instid1(VALU_DEP_1)
	v_fmac_f32_e32 v4, v6, v3
	v_fma_f32 v2, -v2, v4, v5
	s_delay_alu instid0(VALU_DEP_1) | instskip(NEXT) | instid1(VALU_DEP_1)
	v_div_fmas_f32 v2, v2, v3, v4
	v_div_fixup_f32 v1, v2, v1, s2
	s_add_u32 s2, s4, s0
	s_addc_u32 s3, s5, s1
	s_add_u32 s0, s6, s0
	s_addc_u32 s1, s7, s1
	v_mul_f32_e32 v1, v8, v1
	s_clause 0x1
	global_store_b32 v0, v1, s[2:3]
	global_store_b32 v0, v7, s[0:1]
.LBB261_17:
	s_nop 0
	s_sendmsg sendmsg(MSG_DEALLOC_VGPRS)
	s_endpgm
.LBB261_18:
	v_dual_mov_b32 v7, 0 :: v_dual_mov_b32 v8, 0
	s_mov_b32 s2, exec_lo
	v_cmpx_gt_i32_e64 s8, v0
	s_cbranch_execnz .LBB261_16
	s_branch .LBB261_17
	.section	.rodata,"a",@progbits
	.p2align	6, 0x0
	.amdhsa_kernel _ZN5aiter24topk_softplus_kernel_optI12hip_bfloat166__halfLi128ELb1ELi0EEEvPKT_PKT0_PfPimiif
		.amdhsa_group_segment_fixed_size 0
		.amdhsa_private_segment_fixed_size 0
		.amdhsa_kernarg_size 52
		.amdhsa_user_sgpr_count 15
		.amdhsa_user_sgpr_dispatch_ptr 0
		.amdhsa_user_sgpr_queue_ptr 0
		.amdhsa_user_sgpr_kernarg_segment_ptr 1
		.amdhsa_user_sgpr_dispatch_id 0
		.amdhsa_user_sgpr_private_segment_size 0
		.amdhsa_wavefront_size32 1
		.amdhsa_uses_dynamic_stack 0
		.amdhsa_enable_private_segment 0
		.amdhsa_system_sgpr_workgroup_id_x 1
		.amdhsa_system_sgpr_workgroup_id_y 0
		.amdhsa_system_sgpr_workgroup_id_z 0
		.amdhsa_system_sgpr_workgroup_info 0
		.amdhsa_system_vgpr_workitem_id 0
		.amdhsa_next_free_vgpr 24
		.amdhsa_next_free_sgpr 16
		.amdhsa_reserve_vcc 1
		.amdhsa_float_round_mode_32 0
		.amdhsa_float_round_mode_16_64 0
		.amdhsa_float_denorm_mode_32 3
		.amdhsa_float_denorm_mode_16_64 3
		.amdhsa_dx10_clamp 1
		.amdhsa_ieee_mode 1
		.amdhsa_fp16_overflow 0
		.amdhsa_workgroup_processor_mode 1
		.amdhsa_memory_ordered 1
		.amdhsa_forward_progress 0
		.amdhsa_shared_vgpr_count 0
		.amdhsa_exception_fp_ieee_invalid_op 0
		.amdhsa_exception_fp_denorm_src 0
		.amdhsa_exception_fp_ieee_div_zero 0
		.amdhsa_exception_fp_ieee_overflow 0
		.amdhsa_exception_fp_ieee_underflow 0
		.amdhsa_exception_fp_ieee_inexact 0
		.amdhsa_exception_int_div_zero 0
	.end_amdhsa_kernel
	.section	.text._ZN5aiter24topk_softplus_kernel_optI12hip_bfloat166__halfLi128ELb1ELi0EEEvPKT_PKT0_PfPimiif,"axG",@progbits,_ZN5aiter24topk_softplus_kernel_optI12hip_bfloat166__halfLi128ELb1ELi0EEEvPKT_PKT0_PfPimiif,comdat
.Lfunc_end261:
	.size	_ZN5aiter24topk_softplus_kernel_optI12hip_bfloat166__halfLi128ELb1ELi0EEEvPKT_PKT0_PfPimiif, .Lfunc_end261-_ZN5aiter24topk_softplus_kernel_optI12hip_bfloat166__halfLi128ELb1ELi0EEEvPKT_PKT0_PfPimiif
                                        ; -- End function
	.section	.AMDGPU.csdata,"",@progbits
; Kernel info:
; codeLenInByte = 2308
; NumSgprs: 18
; NumVgprs: 24
; ScratchSize: 0
; MemoryBound: 0
; FloatMode: 240
; IeeeMode: 1
; LDSByteSize: 0 bytes/workgroup (compile time only)
; SGPRBlocks: 2
; VGPRBlocks: 2
; NumSGPRsForWavesPerEU: 18
; NumVGPRsForWavesPerEU: 24
; Occupancy: 16
; WaveLimiterHint : 0
; COMPUTE_PGM_RSRC2:SCRATCH_EN: 0
; COMPUTE_PGM_RSRC2:USER_SGPR: 15
; COMPUTE_PGM_RSRC2:TRAP_HANDLER: 0
; COMPUTE_PGM_RSRC2:TGID_X_EN: 1
; COMPUTE_PGM_RSRC2:TGID_Y_EN: 0
; COMPUTE_PGM_RSRC2:TGID_Z_EN: 0
; COMPUTE_PGM_RSRC2:TIDIG_COMP_CNT: 0
	.section	.text._ZN5aiter24topk_softplus_kernel_optI12hip_bfloat166__halfLi128ELb0ELi0EEEvPKT_PKT0_PfPimiif,"axG",@progbits,_ZN5aiter24topk_softplus_kernel_optI12hip_bfloat166__halfLi128ELb0ELi0EEEvPKT_PKT0_PfPimiif,comdat
	.protected	_ZN5aiter24topk_softplus_kernel_optI12hip_bfloat166__halfLi128ELb0ELi0EEEvPKT_PKT0_PfPimiif ; -- Begin function _ZN5aiter24topk_softplus_kernel_optI12hip_bfloat166__halfLi128ELb0ELi0EEEvPKT_PKT0_PfPimiif
	.globl	_ZN5aiter24topk_softplus_kernel_optI12hip_bfloat166__halfLi128ELb0ELi0EEEvPKT_PKT0_PfPimiif
	.p2align	8
	.type	_ZN5aiter24topk_softplus_kernel_optI12hip_bfloat166__halfLi128ELb0ELi0EEEvPKT_PKT0_PfPimiif,@function
_ZN5aiter24topk_softplus_kernel_optI12hip_bfloat166__halfLi128ELb0ELi0EEEvPKT_PKT0_PfPimiif: ; @_ZN5aiter24topk_softplus_kernel_optI12hip_bfloat166__halfLi128ELb0ELi0EEEvPKT_PKT0_PfPimiif
; %bb.0:
	s_load_b128 s[4:7], s[0:1], 0x0
	s_lshl_b32 s2, s15, 7
	v_lshlrev_b32_e32 v3, 1, v0
	s_ashr_i32 s3, s2, 31
	s_delay_alu instid0(SALU_CYCLE_1)
	s_lshl_b64 s[2:3], s[2:3], 1
	s_waitcnt lgkmcnt(0)
	s_add_u32 s4, s4, s2
	s_addc_u32 s5, s5, s3
	s_cmp_lg_u64 s[6:7], 0
	global_load_u16 v1, v3, s[4:5]
	s_cselect_b32 s3, -1, 0
	s_waitcnt vmcnt(0)
	v_lshlrev_b32_e32 v1, 16, v1
	s_delay_alu instid0(VALU_DEP_1) | instskip(NEXT) | instid1(VALU_DEP_1)
	v_mul_f32_e32 v2, 0x3fb8aa3b, v1
	v_cmp_gt_f32_e32 vcc_lo, 0xc2fc0000, v2
	v_cndmask_b32_e64 v2, 0, 0x42800000, vcc_lo
	v_cndmask_b32_e64 v4, 1.0, 0x1f800000, vcc_lo
	s_delay_alu instid0(VALU_DEP_2) | instskip(NEXT) | instid1(VALU_DEP_1)
	v_fmac_f32_e32 v2, 0x3fb8aa3b, v1
	v_exp_f32_e32 v2, v2
	s_waitcnt_depctr 0xfff
	v_fma_f32 v2, v2, v4, 1.0
	s_delay_alu instid0(VALU_DEP_1) | instskip(SKIP_1) | instid1(VALU_DEP_1)
	v_cmp_gt_f32_e32 vcc_lo, 0x800000, v2
	v_cndmask_b32_e64 v4, 1.0, 0x4f800000, vcc_lo
	v_mul_f32_e32 v2, v2, v4
	v_cndmask_b32_e64 v4, 0, 0x42000000, vcc_lo
	v_cmp_lt_f32_e32 vcc_lo, 0x41a00000, v1
	s_delay_alu instid0(VALU_DEP_3) | instskip(SKIP_2) | instid1(VALU_DEP_1)
	v_log_f32_e32 v2, v2
	s_waitcnt_depctr 0xfff
	v_sub_f32_e32 v2, v2, v4
	v_mul_f32_e32 v2, 0x3f317218, v2
	s_delay_alu instid0(VALU_DEP_1) | instskip(NEXT) | instid1(VALU_DEP_1)
	v_cndmask_b32_e32 v1, v2, v1, vcc_lo
	v_mul_f32_e32 v2, 0x4f800000, v1
	v_cmp_gt_f32_e32 vcc_lo, 0xf800000, v1
	s_delay_alu instid0(VALU_DEP_2) | instskip(NEXT) | instid1(VALU_DEP_1)
	v_cndmask_b32_e32 v1, v1, v2, vcc_lo
	v_sqrt_f32_e32 v2, v1
	s_waitcnt_depctr 0xfff
	v_add_nc_u32_e32 v4, -1, v2
	v_add_nc_u32_e32 v5, 1, v2
	s_delay_alu instid0(VALU_DEP_2) | instskip(NEXT) | instid1(VALU_DEP_2)
	v_fma_f32 v6, -v4, v2, v1
	v_fma_f32 v7, -v5, v2, v1
	s_delay_alu instid0(VALU_DEP_2) | instskip(NEXT) | instid1(VALU_DEP_1)
	v_cmp_ge_f32_e64 s2, 0, v6
	v_cndmask_b32_e64 v2, v2, v4, s2
	s_delay_alu instid0(VALU_DEP_3) | instskip(NEXT) | instid1(VALU_DEP_1)
	v_cmp_lt_f32_e64 s2, 0, v7
	v_cndmask_b32_e64 v2, v2, v5, s2
	s_delay_alu instid0(VALU_DEP_1) | instskip(NEXT) | instid1(VALU_DEP_1)
	v_mul_f32_e32 v4, 0x37800000, v2
	v_cndmask_b32_e32 v2, v2, v4, vcc_lo
	v_cmp_class_f32_e64 vcc_lo, v1, 0x260
	s_delay_alu instid0(VALU_DEP_2) | instskip(SKIP_1) | instid1(VALU_DEP_1)
	v_cndmask_b32_e32 v4, v2, v1, vcc_lo
	v_add_co_u32 v1, s2, s4, v3
	v_add_co_ci_u32_e64 v2, null, s5, 0, s2
	s_delay_alu instid0(VALU_DEP_3)
	v_mov_b32_e32 v5, v4
	s_and_b32 vcc_lo, exec_lo, s3
	s_cbranch_vccz .LBB262_2
; %bb.1:
	global_load_u16 v5, v3, s[6:7]
	s_waitcnt vmcnt(0)
	v_cvt_f32_f16_e32 v5, v5
	s_delay_alu instid0(VALU_DEP_1)
	v_add_f32_e32 v5, v4, v5
.LBB262_2:
	global_load_u16 v6, v[1:2], off offset:64
	s_waitcnt vmcnt(0)
	v_lshlrev_b32_e32 v6, 16, v6
	s_delay_alu instid0(VALU_DEP_1) | instskip(NEXT) | instid1(VALU_DEP_1)
	v_mul_f32_e32 v7, 0x3fb8aa3b, v6
	v_cmp_gt_f32_e32 vcc_lo, 0xc2fc0000, v7
	v_cndmask_b32_e64 v7, 0, 0x42800000, vcc_lo
	v_cndmask_b32_e64 v8, 1.0, 0x1f800000, vcc_lo
	s_delay_alu instid0(VALU_DEP_2) | instskip(NEXT) | instid1(VALU_DEP_1)
	v_fmac_f32_e32 v7, 0x3fb8aa3b, v6
	v_exp_f32_e32 v7, v7
	s_waitcnt_depctr 0xfff
	v_fma_f32 v7, v7, v8, 1.0
	s_delay_alu instid0(VALU_DEP_1) | instskip(SKIP_1) | instid1(VALU_DEP_1)
	v_cmp_gt_f32_e32 vcc_lo, 0x800000, v7
	v_cndmask_b32_e64 v8, 1.0, 0x4f800000, vcc_lo
	v_mul_f32_e32 v7, v7, v8
	v_cndmask_b32_e64 v8, 0, 0x42000000, vcc_lo
	v_cmp_lt_f32_e32 vcc_lo, 0x41a00000, v6
	s_delay_alu instid0(VALU_DEP_3) | instskip(SKIP_2) | instid1(VALU_DEP_1)
	v_log_f32_e32 v7, v7
	s_waitcnt_depctr 0xfff
	v_sub_f32_e32 v7, v7, v8
	v_mul_f32_e32 v7, 0x3f317218, v7
	s_delay_alu instid0(VALU_DEP_1) | instskip(NEXT) | instid1(VALU_DEP_1)
	v_cndmask_b32_e32 v6, v7, v6, vcc_lo
	v_mul_f32_e32 v7, 0x4f800000, v6
	v_cmp_gt_f32_e32 vcc_lo, 0xf800000, v6
	s_delay_alu instid0(VALU_DEP_2) | instskip(NEXT) | instid1(VALU_DEP_1)
	v_cndmask_b32_e32 v6, v6, v7, vcc_lo
	v_sqrt_f32_e32 v7, v6
	s_waitcnt_depctr 0xfff
	v_add_nc_u32_e32 v8, -1, v7
	v_add_nc_u32_e32 v9, 1, v7
	s_delay_alu instid0(VALU_DEP_2) | instskip(NEXT) | instid1(VALU_DEP_2)
	v_fma_f32 v10, -v8, v7, v6
	v_fma_f32 v11, -v9, v7, v6
	s_delay_alu instid0(VALU_DEP_2) | instskip(NEXT) | instid1(VALU_DEP_1)
	v_cmp_ge_f32_e64 s2, 0, v10
	v_cndmask_b32_e64 v7, v7, v8, s2
	s_delay_alu instid0(VALU_DEP_3) | instskip(NEXT) | instid1(VALU_DEP_1)
	v_cmp_lt_f32_e64 s2, 0, v11
	v_cndmask_b32_e64 v7, v7, v9, s2
	s_delay_alu instid0(VALU_DEP_1) | instskip(NEXT) | instid1(VALU_DEP_1)
	v_mul_f32_e32 v8, 0x37800000, v7
	v_cndmask_b32_e32 v8, v7, v8, vcc_lo
	v_cmp_class_f32_e64 vcc_lo, v6, 0x260
	v_cndmask_b32_e64 v7, 0, 1, s3
	s_delay_alu instid0(VALU_DEP_3) | instskip(SKIP_1) | instid1(VALU_DEP_1)
	v_cndmask_b32_e32 v8, v8, v6, vcc_lo
	s_and_not1_b32 vcc_lo, exec_lo, s3
	v_mov_b32_e32 v11, v8
	s_cbranch_vccnz .LBB262_4
; %bb.3:
	global_load_u16 v6, v3, s[6:7] offset:64
	s_waitcnt vmcnt(0)
	v_cvt_f32_f16_e32 v6, v6
	s_delay_alu instid0(VALU_DEP_1)
	v_add_f32_e32 v11, v8, v6
.LBB262_4:
	global_load_u16 v6, v[1:2], off offset:128
	s_waitcnt vmcnt(0)
	v_lshlrev_b32_e32 v6, 16, v6
	s_delay_alu instid0(VALU_DEP_1) | instskip(NEXT) | instid1(VALU_DEP_1)
	v_mul_f32_e32 v9, 0x3fb8aa3b, v6
	v_cmp_gt_f32_e32 vcc_lo, 0xc2fc0000, v9
	v_cndmask_b32_e64 v9, 0, 0x42800000, vcc_lo
	v_cndmask_b32_e64 v10, 1.0, 0x1f800000, vcc_lo
	s_delay_alu instid0(VALU_DEP_2) | instskip(NEXT) | instid1(VALU_DEP_1)
	v_fmac_f32_e32 v9, 0x3fb8aa3b, v6
	v_exp_f32_e32 v9, v9
	s_waitcnt_depctr 0xfff
	v_fma_f32 v9, v9, v10, 1.0
	s_delay_alu instid0(VALU_DEP_1) | instskip(SKIP_1) | instid1(VALU_DEP_1)
	v_cmp_gt_f32_e32 vcc_lo, 0x800000, v9
	v_cndmask_b32_e64 v10, 1.0, 0x4f800000, vcc_lo
	v_mul_f32_e32 v9, v9, v10
	v_cndmask_b32_e64 v10, 0, 0x42000000, vcc_lo
	s_delay_alu instid0(VALU_DEP_2) | instskip(SKIP_2) | instid1(VALU_DEP_1)
	v_log_f32_e32 v9, v9
	s_waitcnt_depctr 0xfff
	v_sub_f32_e32 v9, v9, v10
	v_mul_f32_e32 v9, 0x3f317218, v9
	v_cmp_lt_f32_e32 vcc_lo, 0x41a00000, v6
	s_delay_alu instid0(VALU_DEP_2) | instskip(NEXT) | instid1(VALU_DEP_1)
	v_cndmask_b32_e32 v6, v9, v6, vcc_lo
	v_mul_f32_e32 v9, 0x4f800000, v6
	v_cmp_gt_f32_e32 vcc_lo, 0xf800000, v6
	s_delay_alu instid0(VALU_DEP_2) | instskip(NEXT) | instid1(VALU_DEP_1)
	v_cndmask_b32_e32 v6, v6, v9, vcc_lo
	v_sqrt_f32_e32 v9, v6
	s_waitcnt_depctr 0xfff
	v_add_nc_u32_e32 v10, -1, v9
	v_add_nc_u32_e32 v12, 1, v9
	s_delay_alu instid0(VALU_DEP_2) | instskip(NEXT) | instid1(VALU_DEP_2)
	v_fma_f32 v13, -v10, v9, v6
	v_fma_f32 v14, -v12, v9, v6
	s_delay_alu instid0(VALU_DEP_2) | instskip(NEXT) | instid1(VALU_DEP_1)
	v_cmp_ge_f32_e64 s2, 0, v13
	v_cndmask_b32_e64 v9, v9, v10, s2
	s_delay_alu instid0(VALU_DEP_3) | instskip(NEXT) | instid1(VALU_DEP_1)
	v_cmp_lt_f32_e64 s2, 0, v14
	v_cndmask_b32_e64 v9, v9, v12, s2
	s_delay_alu instid0(VALU_DEP_1) | instskip(NEXT) | instid1(VALU_DEP_1)
	v_mul_f32_e32 v10, 0x37800000, v9
	v_cndmask_b32_e32 v9, v9, v10, vcc_lo
	v_cmp_class_f32_e64 vcc_lo, v6, 0x260
	s_delay_alu instid0(VALU_DEP_2) | instskip(SKIP_1) | instid1(VALU_DEP_2)
	v_cndmask_b32_e32 v10, v9, v6, vcc_lo
	v_cmp_ne_u32_e32 vcc_lo, 1, v7
	v_mov_b32_e32 v6, v10
	s_cbranch_vccnz .LBB262_6
; %bb.5:
	global_load_u16 v6, v3, s[6:7] offset:128
	s_waitcnt vmcnt(0)
	v_cvt_f32_f16_e32 v6, v6
	s_delay_alu instid0(VALU_DEP_1)
	v_add_f32_e32 v6, v10, v6
.LBB262_6:
	global_load_u16 v1, v[1:2], off offset:192
	s_waitcnt vmcnt(0)
	v_lshlrev_b32_e32 v1, 16, v1
	s_delay_alu instid0(VALU_DEP_1) | instskip(NEXT) | instid1(VALU_DEP_1)
	v_mul_f32_e32 v2, 0x3fb8aa3b, v1
	v_cmp_gt_f32_e32 vcc_lo, 0xc2fc0000, v2
	v_cndmask_b32_e64 v2, 0, 0x42800000, vcc_lo
	v_cndmask_b32_e64 v9, 1.0, 0x1f800000, vcc_lo
	s_delay_alu instid0(VALU_DEP_2) | instskip(NEXT) | instid1(VALU_DEP_1)
	v_fmac_f32_e32 v2, 0x3fb8aa3b, v1
	v_exp_f32_e32 v2, v2
	s_waitcnt_depctr 0xfff
	v_fma_f32 v2, v2, v9, 1.0
	s_delay_alu instid0(VALU_DEP_1) | instskip(SKIP_1) | instid1(VALU_DEP_1)
	v_cmp_gt_f32_e32 vcc_lo, 0x800000, v2
	v_cndmask_b32_e64 v9, 1.0, 0x4f800000, vcc_lo
	v_mul_f32_e32 v2, v2, v9
	v_cndmask_b32_e64 v9, 0, 0x42000000, vcc_lo
	s_delay_alu instid0(VALU_DEP_2) | instskip(SKIP_2) | instid1(VALU_DEP_1)
	v_log_f32_e32 v2, v2
	s_waitcnt_depctr 0xfff
	v_sub_f32_e32 v2, v2, v9
	v_mul_f32_e32 v2, 0x3f317218, v2
	v_cmp_lt_f32_e32 vcc_lo, 0x41a00000, v1
	s_delay_alu instid0(VALU_DEP_2) | instskip(NEXT) | instid1(VALU_DEP_1)
	v_cndmask_b32_e32 v1, v2, v1, vcc_lo
	v_mul_f32_e32 v2, 0x4f800000, v1
	v_cmp_gt_f32_e32 vcc_lo, 0xf800000, v1
	s_delay_alu instid0(VALU_DEP_2) | instskip(NEXT) | instid1(VALU_DEP_1)
	v_cndmask_b32_e32 v1, v1, v2, vcc_lo
	v_sqrt_f32_e32 v2, v1
	s_waitcnt_depctr 0xfff
	v_add_nc_u32_e32 v9, -1, v2
	v_add_nc_u32_e32 v12, 1, v2
	s_delay_alu instid0(VALU_DEP_2) | instskip(NEXT) | instid1(VALU_DEP_2)
	v_fma_f32 v13, -v9, v2, v1
	v_fma_f32 v14, -v12, v2, v1
	s_delay_alu instid0(VALU_DEP_2) | instskip(NEXT) | instid1(VALU_DEP_1)
	v_cmp_ge_f32_e64 s2, 0, v13
	v_cndmask_b32_e64 v2, v2, v9, s2
	s_delay_alu instid0(VALU_DEP_3) | instskip(NEXT) | instid1(VALU_DEP_1)
	v_cmp_lt_f32_e64 s2, 0, v14
	v_cndmask_b32_e64 v2, v2, v12, s2
	s_delay_alu instid0(VALU_DEP_1) | instskip(NEXT) | instid1(VALU_DEP_1)
	v_mul_f32_e32 v9, 0x37800000, v2
	v_cndmask_b32_e32 v2, v2, v9, vcc_lo
	v_cmp_class_f32_e64 vcc_lo, v1, 0x260
	s_delay_alu instid0(VALU_DEP_2) | instskip(SKIP_1) | instid1(VALU_DEP_2)
	v_cndmask_b32_e32 v1, v2, v1, vcc_lo
	v_cmp_ne_u32_e32 vcc_lo, 1, v7
	v_mov_b32_e32 v2, v1
	s_cbranch_vccnz .LBB262_8
; %bb.7:
	global_load_u16 v2, v3, s[6:7] offset:192
	s_waitcnt vmcnt(0)
	v_cvt_f32_f16_e32 v2, v2
	s_delay_alu instid0(VALU_DEP_1)
	v_add_f32_e32 v2, v1, v2
.LBB262_8:
	v_cmp_lt_f32_e32 vcc_lo, v5, v11
	v_add_nc_u32_e32 v12, 32, v0
	v_add_nc_u32_e32 v15, 64, v0
	v_dual_mov_b32 v16, v6 :: v_dual_add_nc_u32 v3, 0x60, v0
	v_cndmask_b32_e32 v7, v8, v4, vcc_lo
	v_cndmask_b32_e32 v4, v4, v8, vcc_lo
	v_dual_cndmask_b32 v8, v11, v5 :: v_dual_cndmask_b32 v13, v5, v11
	v_cndmask_b32_e32 v9, v12, v0, vcc_lo
	v_cndmask_b32_e32 v12, v0, v12, vcc_lo
	s_mov_b32 s2, exec_lo
	v_cmpx_lt_f32_e32 v6, v2
	s_xor_b32 s2, exec_lo, s2
; %bb.9:
	v_dual_mov_b32 v11, v15 :: v_dual_mov_b32 v14, v6
	v_mov_b32_e32 v5, v10
	v_swap_b32 v10, v1
	v_swap_b32 v15, v3
	v_mov_b32_e32 v6, v2
	v_mov_b32_e32 v16, v2
	;; [unrolled: 1-line block ×3, first 2 shown]
; %bb.10:
	s_or_b32 exec_lo, exec_lo, s2
	s_delay_alu instid0(VALU_DEP_3)
	v_cmp_lt_f32_e32 vcc_lo, v13, v6
	s_mov_b32 s2, exec_lo
	v_dual_cndmask_b32 v14, v10, v4 :: v_dual_cndmask_b32 v5, v12, v15
	v_dual_cndmask_b32 v4, v4, v10 :: v_dual_cndmask_b32 v11, v15, v12
	v_cndmask_b32_e32 v12, v16, v13, vcc_lo
	v_dual_cndmask_b32 v6, v13, v6 :: v_dual_mov_b32 v13, v8
	v_cmpx_lt_f32_e32 v8, v2
; %bb.11:
	v_dual_mov_b32 v15, v8 :: v_dual_mov_b32 v8, v2
	v_dual_mov_b32 v10, v7 :: v_dual_mov_b32 v13, v9
	v_swap_b32 v7, v1
	v_swap_b32 v9, v3
	s_delay_alu instid0(VALU_DEP_4)
	v_dual_mov_b32 v13, v2 :: v_dual_mov_b32 v2, v15
; %bb.12:
	s_or_b32 exec_lo, exec_lo, s2
	s_clause 0x1
	s_load_b32 s8, s[0:1], 0x28
	s_load_b128 s[4:7], s[0:1], 0x10
	s_waitcnt lgkmcnt(0)
	s_cmp_lt_i32 s8, 1
	s_cbranch_scc1 .LBB262_18
; %bb.13:
	v_cmp_lt_f32_e32 vcc_lo, v8, v12
	v_dual_mov_b32 v15, 0 :: v_dual_mov_b32 v16, v0
	s_mov_b32 s9, 0x76543210
	s_mov_b32 s10, s8
	v_dual_cndmask_b32 v10, v11, v9 :: v_dual_cndmask_b32 v9, v9, v11
	v_cndmask_b32_e32 v11, v12, v8, vcc_lo
	v_dual_cndmask_b32 v12, v13, v12 :: v_dual_cndmask_b32 v13, v14, v7
	v_cndmask_b32_e32 v14, v7, v14, vcc_lo
	v_dual_mov_b32 v8, 0 :: v_dual_mov_b32 v7, 0
.LBB262_14:                             ; =>This Inner Loop Header: Depth=1
	v_cmp_eq_u32_e32 vcc_lo, 1, v15
	v_cmp_eq_u32_e64 s2, 2, v15
	v_cmp_gt_u32_e64 s3, 4, v15
	v_dual_cndmask_b32 v17, v6, v12 :: v_dual_cndmask_b32 v18, v5, v9
	v_cndmask_b32_e32 v19, v4, v14, vcc_lo
	v_cmp_eq_u32_e32 vcc_lo, 3, v15
	s_delay_alu instid0(VALU_DEP_3) | instskip(NEXT) | instid1(VALU_DEP_4)
	v_cndmask_b32_e64 v17, v17, v11, s2
	v_cndmask_b32_e64 v18, v18, v10, s2
	s_delay_alu instid0(VALU_DEP_1) | instskip(NEXT) | instid1(VALU_DEP_1)
	v_dual_cndmask_b32 v17, v17, v2 :: v_dual_cndmask_b32 v18, v18, v3
	v_cndmask_b32_e64 v17, 0xff800000, v17, s3
	;;#ASMSTART
	v_max_f32 v20, v17, v17 quad_perm:[1,0,3,2] row_mask:0xf bank_mask:0xf bound_ctrl:1
	;;#ASMEND
	;;#ASMSTART
	v_max_f32 v21, v20, v20 quad_perm:[2,3,0,1] row_mask:0xf bank_mask:0xf bound_ctrl:1
	;;#ASMEND
	;;#ASMSTART
	v_max_f32 v20, v21, v21 row_half_mirror row_mask:0xf bank_mask:0xf bound_ctrl:1
	;;#ASMEND
	;;#ASMSTART
	v_max_f32 v21, v20, v20 row_mirror row_mask:0xf bank_mask:0xf bound_ctrl:1
	;;#ASMEND
	v_permlanex16_b32 v20, v21, s9, 0xfedcba98 op_sel:[1,1]
	s_delay_alu instid0(VALU_DEP_1) | instskip(NEXT) | instid1(VALU_DEP_1)
	v_dual_max_f32 v21, v21, v21 :: v_dual_max_f32 v20, v20, v20
	v_max_f32_e32 v20, v21, v20
	v_cndmask_b32_e64 v19, v19, v13, s2
	s_delay_alu instid0(VALU_DEP_2) | instskip(SKIP_1) | instid1(VALU_DEP_2)
	v_cmp_eq_f32_e64 s2, v17, v20
	v_cndmask_b32_e64 v17, 0, v18, s3
	s_ctz_i32_b32 s11, s2
	s_cmp_lg_u32 s2, 0
	s_cselect_b32 s2, s11, 0
	s_add_i32 s10, s10, -1
	v_readlane_b32 s11, v17, s2
	v_cndmask_b32_e32 v17, v19, v1, vcc_lo
	s_delay_alu instid0(VALU_DEP_2)
	v_cmp_eq_u32_e32 vcc_lo, s11, v18
	s_and_b32 s2, s11, 31
	s_and_b32 vcc_lo, s3, vcc_lo
	s_cmp_eq_u32 s10, 0
	v_cndmask_b32_e32 v17, 0, v17, vcc_lo
	v_add_co_ci_u32_e32 v15, vcc_lo, 0, v15, vcc_lo
	s_delay_alu instid0(VALU_DEP_2) | instskip(SKIP_2) | instid1(VALU_DEP_2)
	v_readlane_b32 s3, v17, s2
	v_cmp_eq_u32_e64 s2, 0, v16
	v_add_nc_u32_e32 v16, -1, v16
	v_cndmask_b32_e64 v8, v8, s3, s2
	v_cndmask_b32_e64 v7, v7, s11, s2
	s_cbranch_scc0 .LBB262_14
; %bb.15:
	s_mov_b32 s2, exec_lo
	v_cmpx_gt_i32_e64 s8, v0
	s_cbranch_execz .LBB262_17
.LBB262_16:
	s_clause 0x1
	s_load_b64 s[2:3], s[0:1], 0x20
	s_load_b32 s8, s[0:1], 0x30
	s_ashr_i32 s0, s15, 31
	v_lshlrev_b32_e32 v0, 2, v0
	s_waitcnt lgkmcnt(0)
	s_mul_i32 s1, s15, s3
	s_mul_hi_u32 s3, s15, s2
	s_mul_i32 s0, s0, s2
	s_add_i32 s1, s3, s1
	v_mul_f32_e32 v1, s8, v8
	s_add_i32 s1, s1, s0
	s_mul_i32 s0, s15, s2
	s_delay_alu instid0(SALU_CYCLE_1) | instskip(NEXT) | instid1(SALU_CYCLE_1)
	s_lshl_b64 s[0:1], s[0:1], 2
	s_add_u32 s2, s4, s0
	s_addc_u32 s3, s5, s1
	s_add_u32 s0, s6, s0
	s_addc_u32 s1, s7, s1
	s_clause 0x1
	global_store_b32 v0, v1, s[2:3]
	global_store_b32 v0, v7, s[0:1]
.LBB262_17:
	s_nop 0
	s_sendmsg sendmsg(MSG_DEALLOC_VGPRS)
	s_endpgm
.LBB262_18:
	v_dual_mov_b32 v7, 0 :: v_dual_mov_b32 v8, 0
	s_mov_b32 s2, exec_lo
	v_cmpx_gt_i32_e64 s8, v0
	s_cbranch_execnz .LBB262_16
	s_branch .LBB262_17
	.section	.rodata,"a",@progbits
	.p2align	6, 0x0
	.amdhsa_kernel _ZN5aiter24topk_softplus_kernel_optI12hip_bfloat166__halfLi128ELb0ELi0EEEvPKT_PKT0_PfPimiif
		.amdhsa_group_segment_fixed_size 0
		.amdhsa_private_segment_fixed_size 0
		.amdhsa_kernarg_size 52
		.amdhsa_user_sgpr_count 15
		.amdhsa_user_sgpr_dispatch_ptr 0
		.amdhsa_user_sgpr_queue_ptr 0
		.amdhsa_user_sgpr_kernarg_segment_ptr 1
		.amdhsa_user_sgpr_dispatch_id 0
		.amdhsa_user_sgpr_private_segment_size 0
		.amdhsa_wavefront_size32 1
		.amdhsa_uses_dynamic_stack 0
		.amdhsa_enable_private_segment 0
		.amdhsa_system_sgpr_workgroup_id_x 1
		.amdhsa_system_sgpr_workgroup_id_y 0
		.amdhsa_system_sgpr_workgroup_id_z 0
		.amdhsa_system_sgpr_workgroup_info 0
		.amdhsa_system_vgpr_workitem_id 0
		.amdhsa_next_free_vgpr 22
		.amdhsa_next_free_sgpr 16
		.amdhsa_reserve_vcc 1
		.amdhsa_float_round_mode_32 0
		.amdhsa_float_round_mode_16_64 0
		.amdhsa_float_denorm_mode_32 3
		.amdhsa_float_denorm_mode_16_64 3
		.amdhsa_dx10_clamp 1
		.amdhsa_ieee_mode 1
		.amdhsa_fp16_overflow 0
		.amdhsa_workgroup_processor_mode 1
		.amdhsa_memory_ordered 1
		.amdhsa_forward_progress 0
		.amdhsa_shared_vgpr_count 0
		.amdhsa_exception_fp_ieee_invalid_op 0
		.amdhsa_exception_fp_denorm_src 0
		.amdhsa_exception_fp_ieee_div_zero 0
		.amdhsa_exception_fp_ieee_overflow 0
		.amdhsa_exception_fp_ieee_underflow 0
		.amdhsa_exception_fp_ieee_inexact 0
		.amdhsa_exception_int_div_zero 0
	.end_amdhsa_kernel
	.section	.text._ZN5aiter24topk_softplus_kernel_optI12hip_bfloat166__halfLi128ELb0ELi0EEEvPKT_PKT0_PfPimiif,"axG",@progbits,_ZN5aiter24topk_softplus_kernel_optI12hip_bfloat166__halfLi128ELb0ELi0EEEvPKT_PKT0_PfPimiif,comdat
.Lfunc_end262:
	.size	_ZN5aiter24topk_softplus_kernel_optI12hip_bfloat166__halfLi128ELb0ELi0EEEvPKT_PKT0_PfPimiif, .Lfunc_end262-_ZN5aiter24topk_softplus_kernel_optI12hip_bfloat166__halfLi128ELb0ELi0EEEvPKT_PKT0_PfPimiif
                                        ; -- End function
	.section	.AMDGPU.csdata,"",@progbits
; Kernel info:
; codeLenInByte = 2180
; NumSgprs: 18
; NumVgprs: 22
; ScratchSize: 0
; MemoryBound: 0
; FloatMode: 240
; IeeeMode: 1
; LDSByteSize: 0 bytes/workgroup (compile time only)
; SGPRBlocks: 2
; VGPRBlocks: 2
; NumSGPRsForWavesPerEU: 18
; NumVGPRsForWavesPerEU: 22
; Occupancy: 16
; WaveLimiterHint : 0
; COMPUTE_PGM_RSRC2:SCRATCH_EN: 0
; COMPUTE_PGM_RSRC2:USER_SGPR: 15
; COMPUTE_PGM_RSRC2:TRAP_HANDLER: 0
; COMPUTE_PGM_RSRC2:TGID_X_EN: 1
; COMPUTE_PGM_RSRC2:TGID_Y_EN: 0
; COMPUTE_PGM_RSRC2:TGID_Z_EN: 0
; COMPUTE_PGM_RSRC2:TIDIG_COMP_CNT: 0
	.section	.text._ZN5aiter24topk_softplus_kernel_optI12hip_bfloat166__halfLi256ELb1ELi0EEEvPKT_PKT0_PfPimiif,"axG",@progbits,_ZN5aiter24topk_softplus_kernel_optI12hip_bfloat166__halfLi256ELb1ELi0EEEvPKT_PKT0_PfPimiif,comdat
	.protected	_ZN5aiter24topk_softplus_kernel_optI12hip_bfloat166__halfLi256ELb1ELi0EEEvPKT_PKT0_PfPimiif ; -- Begin function _ZN5aiter24topk_softplus_kernel_optI12hip_bfloat166__halfLi256ELb1ELi0EEEvPKT_PKT0_PfPimiif
	.globl	_ZN5aiter24topk_softplus_kernel_optI12hip_bfloat166__halfLi256ELb1ELi0EEEvPKT_PKT0_PfPimiif
	.p2align	8
	.type	_ZN5aiter24topk_softplus_kernel_optI12hip_bfloat166__halfLi256ELb1ELi0EEEvPKT_PKT0_PfPimiif,@function
_ZN5aiter24topk_softplus_kernel_optI12hip_bfloat166__halfLi256ELb1ELi0EEEvPKT_PKT0_PfPimiif: ; @_ZN5aiter24topk_softplus_kernel_optI12hip_bfloat166__halfLi256ELb1ELi0EEEvPKT_PKT0_PfPimiif
; %bb.0:
	s_load_b128 s[4:7], s[0:1], 0x0
	s_lshl_b32 s2, s15, 8
	v_lshlrev_b32_e32 v3, 1, v0
	s_ashr_i32 s3, s2, 31
	s_delay_alu instid0(SALU_CYCLE_1)
	s_lshl_b64 s[2:3], s[2:3], 1
	s_waitcnt lgkmcnt(0)
	s_add_u32 s4, s4, s2
	s_addc_u32 s5, s5, s3
	s_cmp_lg_u64 s[6:7], 0
	global_load_u16 v1, v3, s[4:5]
	s_cselect_b32 s3, -1, 0
	s_waitcnt vmcnt(0)
	v_lshlrev_b32_e32 v1, 16, v1
	s_delay_alu instid0(VALU_DEP_1) | instskip(NEXT) | instid1(VALU_DEP_1)
	v_mul_f32_e32 v2, 0x3fb8aa3b, v1
	v_cmp_gt_f32_e32 vcc_lo, 0xc2fc0000, v2
	v_cndmask_b32_e64 v2, 0, 0x42800000, vcc_lo
	v_cndmask_b32_e64 v4, 1.0, 0x1f800000, vcc_lo
	s_delay_alu instid0(VALU_DEP_2) | instskip(NEXT) | instid1(VALU_DEP_1)
	v_fmac_f32_e32 v2, 0x3fb8aa3b, v1
	v_exp_f32_e32 v2, v2
	s_waitcnt_depctr 0xfff
	v_fma_f32 v2, v2, v4, 1.0
	s_delay_alu instid0(VALU_DEP_1) | instskip(SKIP_1) | instid1(VALU_DEP_1)
	v_cmp_gt_f32_e32 vcc_lo, 0x800000, v2
	v_cndmask_b32_e64 v4, 1.0, 0x4f800000, vcc_lo
	v_mul_f32_e32 v2, v2, v4
	v_cndmask_b32_e64 v4, 0, 0x42000000, vcc_lo
	v_cmp_lt_f32_e32 vcc_lo, 0x41a00000, v1
	s_delay_alu instid0(VALU_DEP_3) | instskip(SKIP_2) | instid1(VALU_DEP_1)
	v_log_f32_e32 v2, v2
	s_waitcnt_depctr 0xfff
	v_sub_f32_e32 v2, v2, v4
	v_mul_f32_e32 v2, 0x3f317218, v2
	s_delay_alu instid0(VALU_DEP_1) | instskip(NEXT) | instid1(VALU_DEP_1)
	v_cndmask_b32_e32 v1, v2, v1, vcc_lo
	v_mul_f32_e32 v2, 0x4f800000, v1
	v_cmp_gt_f32_e32 vcc_lo, 0xf800000, v1
	s_delay_alu instid0(VALU_DEP_2) | instskip(NEXT) | instid1(VALU_DEP_1)
	v_cndmask_b32_e32 v1, v1, v2, vcc_lo
	v_sqrt_f32_e32 v2, v1
	s_waitcnt_depctr 0xfff
	v_add_nc_u32_e32 v4, -1, v2
	v_add_nc_u32_e32 v5, 1, v2
	s_delay_alu instid0(VALU_DEP_2) | instskip(NEXT) | instid1(VALU_DEP_2)
	v_fma_f32 v6, -v4, v2, v1
	v_fma_f32 v7, -v5, v2, v1
	s_delay_alu instid0(VALU_DEP_2) | instskip(NEXT) | instid1(VALU_DEP_1)
	v_cmp_ge_f32_e64 s2, 0, v6
	v_cndmask_b32_e64 v2, v2, v4, s2
	s_delay_alu instid0(VALU_DEP_3) | instskip(NEXT) | instid1(VALU_DEP_1)
	v_cmp_lt_f32_e64 s2, 0, v7
	v_cndmask_b32_e64 v2, v2, v5, s2
	s_delay_alu instid0(VALU_DEP_1) | instskip(NEXT) | instid1(VALU_DEP_1)
	v_mul_f32_e32 v4, 0x37800000, v2
	v_cndmask_b32_e32 v2, v2, v4, vcc_lo
	v_cmp_class_f32_e64 vcc_lo, v1, 0x260
	s_delay_alu instid0(VALU_DEP_2) | instskip(SKIP_1) | instid1(VALU_DEP_1)
	v_cndmask_b32_e32 v56, v2, v1, vcc_lo
	v_add_co_u32 v1, s2, s4, v3
	v_add_co_ci_u32_e64 v2, null, s5, 0, s2
	s_delay_alu instid0(VALU_DEP_3)
	v_mov_b32_e32 v24, v56
	s_and_b32 vcc_lo, exec_lo, s3
	s_cbranch_vccz .LBB263_2
; %bb.1:
	global_load_u16 v4, v3, s[6:7]
	s_waitcnt vmcnt(0)
	v_cvt_f32_f16_e32 v4, v4
	s_delay_alu instid0(VALU_DEP_1)
	v_add_f32_e32 v24, v56, v4
.LBB263_2:
	global_load_u16 v4, v[1:2], off offset:64
	s_waitcnt vmcnt(0)
	v_lshlrev_b32_e32 v4, 16, v4
	s_delay_alu instid0(VALU_DEP_1) | instskip(NEXT) | instid1(VALU_DEP_1)
	v_mul_f32_e32 v5, 0x3fb8aa3b, v4
	v_cmp_gt_f32_e32 vcc_lo, 0xc2fc0000, v5
	v_cndmask_b32_e64 v5, 0, 0x42800000, vcc_lo
	v_cndmask_b32_e64 v6, 1.0, 0x1f800000, vcc_lo
	s_delay_alu instid0(VALU_DEP_2) | instskip(NEXT) | instid1(VALU_DEP_1)
	v_fmac_f32_e32 v5, 0x3fb8aa3b, v4
	v_exp_f32_e32 v5, v5
	s_waitcnt_depctr 0xfff
	v_fma_f32 v5, v5, v6, 1.0
	s_delay_alu instid0(VALU_DEP_1) | instskip(SKIP_1) | instid1(VALU_DEP_1)
	v_cmp_gt_f32_e32 vcc_lo, 0x800000, v5
	v_cndmask_b32_e64 v6, 1.0, 0x4f800000, vcc_lo
	v_mul_f32_e32 v5, v5, v6
	v_cndmask_b32_e64 v6, 0, 0x42000000, vcc_lo
	v_cmp_lt_f32_e32 vcc_lo, 0x41a00000, v4
	s_delay_alu instid0(VALU_DEP_3) | instskip(SKIP_2) | instid1(VALU_DEP_1)
	v_log_f32_e32 v5, v5
	s_waitcnt_depctr 0xfff
	v_sub_f32_e32 v5, v5, v6
	v_mul_f32_e32 v5, 0x3f317218, v5
	s_delay_alu instid0(VALU_DEP_1) | instskip(NEXT) | instid1(VALU_DEP_1)
	v_cndmask_b32_e32 v4, v5, v4, vcc_lo
	v_mul_f32_e32 v5, 0x4f800000, v4
	v_cmp_gt_f32_e32 vcc_lo, 0xf800000, v4
	s_delay_alu instid0(VALU_DEP_2) | instskip(NEXT) | instid1(VALU_DEP_1)
	v_cndmask_b32_e32 v5, v4, v5, vcc_lo
	v_sqrt_f32_e32 v4, v5
	s_waitcnt_depctr 0xfff
	v_add_nc_u32_e32 v6, -1, v4
	v_add_nc_u32_e32 v7, 1, v4
	s_delay_alu instid0(VALU_DEP_2) | instskip(NEXT) | instid1(VALU_DEP_2)
	v_fma_f32 v8, -v6, v4, v5
	v_fma_f32 v9, -v7, v4, v5
	s_delay_alu instid0(VALU_DEP_2) | instskip(NEXT) | instid1(VALU_DEP_1)
	v_cmp_ge_f32_e64 s2, 0, v8
	v_cndmask_b32_e64 v4, v4, v6, s2
	s_delay_alu instid0(VALU_DEP_3) | instskip(NEXT) | instid1(VALU_DEP_1)
	v_cmp_lt_f32_e64 s2, 0, v9
	v_cndmask_b32_e64 v4, v4, v7, s2
	s_delay_alu instid0(VALU_DEP_1) | instskip(NEXT) | instid1(VALU_DEP_1)
	v_mul_f32_e32 v6, 0x37800000, v4
	v_cndmask_b32_e32 v6, v4, v6, vcc_lo
	v_cmp_class_f32_e64 vcc_lo, v5, 0x260
	v_cndmask_b32_e64 v4, 0, 1, s3
	s_delay_alu instid0(VALU_DEP_3) | instskip(SKIP_1) | instid1(VALU_DEP_1)
	v_cndmask_b32_e32 v9, v6, v5, vcc_lo
	s_and_not1_b32 vcc_lo, exec_lo, s3
	v_mov_b32_e32 v25, v9
	s_cbranch_vccnz .LBB263_4
; %bb.3:
	global_load_u16 v5, v3, s[6:7] offset:64
	s_waitcnt vmcnt(0)
	v_cvt_f32_f16_e32 v5, v5
	s_delay_alu instid0(VALU_DEP_1)
	v_add_f32_e32 v25, v9, v5
.LBB263_4:
	global_load_u16 v5, v[1:2], off offset:128
	s_waitcnt vmcnt(0)
	v_lshlrev_b32_e32 v5, 16, v5
	s_delay_alu instid0(VALU_DEP_1) | instskip(NEXT) | instid1(VALU_DEP_1)
	v_mul_f32_e32 v6, 0x3fb8aa3b, v5
	v_cmp_gt_f32_e32 vcc_lo, 0xc2fc0000, v6
	v_cndmask_b32_e64 v6, 0, 0x42800000, vcc_lo
	v_cndmask_b32_e64 v7, 1.0, 0x1f800000, vcc_lo
	s_delay_alu instid0(VALU_DEP_2) | instskip(NEXT) | instid1(VALU_DEP_1)
	v_fmac_f32_e32 v6, 0x3fb8aa3b, v5
	v_exp_f32_e32 v6, v6
	s_waitcnt_depctr 0xfff
	v_fma_f32 v6, v6, v7, 1.0
	s_delay_alu instid0(VALU_DEP_1) | instskip(SKIP_1) | instid1(VALU_DEP_1)
	v_cmp_gt_f32_e32 vcc_lo, 0x800000, v6
	v_cndmask_b32_e64 v7, 1.0, 0x4f800000, vcc_lo
	v_mul_f32_e32 v6, v6, v7
	v_cndmask_b32_e64 v7, 0, 0x42000000, vcc_lo
	v_cmp_lt_f32_e32 vcc_lo, 0x41a00000, v5
	s_delay_alu instid0(VALU_DEP_3) | instskip(SKIP_2) | instid1(VALU_DEP_1)
	v_log_f32_e32 v6, v6
	s_waitcnt_depctr 0xfff
	v_sub_f32_e32 v6, v6, v7
	v_mul_f32_e32 v6, 0x3f317218, v6
	s_delay_alu instid0(VALU_DEP_1) | instskip(NEXT) | instid1(VALU_DEP_1)
	v_cndmask_b32_e32 v5, v6, v5, vcc_lo
	v_mul_f32_e32 v6, 0x4f800000, v5
	v_cmp_gt_f32_e32 vcc_lo, 0xf800000, v5
	s_delay_alu instid0(VALU_DEP_2) | instskip(NEXT) | instid1(VALU_DEP_1)
	v_cndmask_b32_e32 v5, v5, v6, vcc_lo
	v_sqrt_f32_e32 v6, v5
	s_waitcnt_depctr 0xfff
	v_add_nc_u32_e32 v7, -1, v6
	v_add_nc_u32_e32 v8, 1, v6
	s_delay_alu instid0(VALU_DEP_2) | instskip(NEXT) | instid1(VALU_DEP_2)
	v_fma_f32 v10, -v7, v6, v5
	v_fma_f32 v11, -v8, v6, v5
	s_delay_alu instid0(VALU_DEP_2) | instskip(NEXT) | instid1(VALU_DEP_1)
	v_cmp_ge_f32_e64 s2, 0, v10
	v_cndmask_b32_e64 v6, v6, v7, s2
	s_delay_alu instid0(VALU_DEP_3) | instskip(NEXT) | instid1(VALU_DEP_1)
	v_cmp_lt_f32_e64 s2, 0, v11
	v_cndmask_b32_e64 v6, v6, v8, s2
	s_delay_alu instid0(VALU_DEP_1) | instskip(NEXT) | instid1(VALU_DEP_1)
	v_mul_f32_e32 v7, 0x37800000, v6
	v_cndmask_b32_e32 v6, v6, v7, vcc_lo
	v_cmp_class_f32_e64 vcc_lo, v5, 0x260
	s_delay_alu instid0(VALU_DEP_2) | instskip(SKIP_1) | instid1(VALU_DEP_2)
	v_cndmask_b32_e32 v10, v6, v5, vcc_lo
	v_cmp_ne_u32_e32 vcc_lo, 1, v4
	v_mov_b32_e32 v26, v10
	s_cbranch_vccnz .LBB263_6
; %bb.5:
	global_load_u16 v5, v3, s[6:7] offset:128
	s_waitcnt vmcnt(0)
	v_cvt_f32_f16_e32 v5, v5
	s_delay_alu instid0(VALU_DEP_1)
	v_add_f32_e32 v26, v10, v5
.LBB263_6:
	global_load_u16 v5, v[1:2], off offset:192
	s_waitcnt vmcnt(0)
	v_lshlrev_b32_e32 v5, 16, v5
	s_delay_alu instid0(VALU_DEP_1) | instskip(NEXT) | instid1(VALU_DEP_1)
	v_mul_f32_e32 v6, 0x3fb8aa3b, v5
	v_cmp_gt_f32_e32 vcc_lo, 0xc2fc0000, v6
	v_cndmask_b32_e64 v6, 0, 0x42800000, vcc_lo
	v_cndmask_b32_e64 v7, 1.0, 0x1f800000, vcc_lo
	s_delay_alu instid0(VALU_DEP_2) | instskip(NEXT) | instid1(VALU_DEP_1)
	v_fmac_f32_e32 v6, 0x3fb8aa3b, v5
	v_exp_f32_e32 v6, v6
	s_waitcnt_depctr 0xfff
	v_fma_f32 v6, v6, v7, 1.0
	s_delay_alu instid0(VALU_DEP_1) | instskip(SKIP_1) | instid1(VALU_DEP_1)
	v_cmp_gt_f32_e32 vcc_lo, 0x800000, v6
	v_cndmask_b32_e64 v7, 1.0, 0x4f800000, vcc_lo
	v_mul_f32_e32 v6, v6, v7
	v_cndmask_b32_e64 v7, 0, 0x42000000, vcc_lo
	v_cmp_lt_f32_e32 vcc_lo, 0x41a00000, v5
	s_delay_alu instid0(VALU_DEP_3) | instskip(SKIP_2) | instid1(VALU_DEP_1)
	v_log_f32_e32 v6, v6
	s_waitcnt_depctr 0xfff
	v_sub_f32_e32 v6, v6, v7
	v_mul_f32_e32 v6, 0x3f317218, v6
	s_delay_alu instid0(VALU_DEP_1) | instskip(NEXT) | instid1(VALU_DEP_1)
	v_cndmask_b32_e32 v5, v6, v5, vcc_lo
	v_mul_f32_e32 v6, 0x4f800000, v5
	v_cmp_gt_f32_e32 vcc_lo, 0xf800000, v5
	s_delay_alu instid0(VALU_DEP_2) | instskip(NEXT) | instid1(VALU_DEP_1)
	v_cndmask_b32_e32 v5, v5, v6, vcc_lo
	v_sqrt_f32_e32 v6, v5
	s_waitcnt_depctr 0xfff
	v_add_nc_u32_e32 v7, -1, v6
	v_add_nc_u32_e32 v8, 1, v6
	s_delay_alu instid0(VALU_DEP_2) | instskip(NEXT) | instid1(VALU_DEP_2)
	v_fma_f32 v11, -v7, v6, v5
	v_fma_f32 v12, -v8, v6, v5
	s_delay_alu instid0(VALU_DEP_2) | instskip(NEXT) | instid1(VALU_DEP_1)
	v_cmp_ge_f32_e64 s2, 0, v11
	v_cndmask_b32_e64 v6, v6, v7, s2
	s_delay_alu instid0(VALU_DEP_3) | instskip(NEXT) | instid1(VALU_DEP_1)
	v_cmp_lt_f32_e64 s2, 0, v12
	v_cndmask_b32_e64 v6, v6, v8, s2
	s_delay_alu instid0(VALU_DEP_1) | instskip(NEXT) | instid1(VALU_DEP_1)
	v_mul_f32_e32 v7, 0x37800000, v6
	v_cndmask_b32_e32 v6, v6, v7, vcc_lo
	v_cmp_class_f32_e64 vcc_lo, v5, 0x260
	s_delay_alu instid0(VALU_DEP_2) | instskip(SKIP_1) | instid1(VALU_DEP_2)
	v_cndmask_b32_e32 v11, v6, v5, vcc_lo
	v_cmp_ne_u32_e32 vcc_lo, 1, v4
	v_mov_b32_e32 v27, v11
	s_cbranch_vccnz .LBB263_8
; %bb.7:
	global_load_u16 v5, v3, s[6:7] offset:192
	s_waitcnt vmcnt(0)
	v_cvt_f32_f16_e32 v5, v5
	s_delay_alu instid0(VALU_DEP_1)
	v_add_f32_e32 v27, v11, v5
.LBB263_8:
	global_load_u16 v5, v[1:2], off offset:256
	s_waitcnt vmcnt(0)
	v_lshlrev_b32_e32 v5, 16, v5
	s_delay_alu instid0(VALU_DEP_1) | instskip(NEXT) | instid1(VALU_DEP_1)
	v_mul_f32_e32 v6, 0x3fb8aa3b, v5
	v_cmp_gt_f32_e32 vcc_lo, 0xc2fc0000, v6
	v_cndmask_b32_e64 v6, 0, 0x42800000, vcc_lo
	v_cndmask_b32_e64 v7, 1.0, 0x1f800000, vcc_lo
	s_delay_alu instid0(VALU_DEP_2) | instskip(NEXT) | instid1(VALU_DEP_1)
	v_fmac_f32_e32 v6, 0x3fb8aa3b, v5
	v_exp_f32_e32 v6, v6
	s_waitcnt_depctr 0xfff
	v_fma_f32 v6, v6, v7, 1.0
	s_delay_alu instid0(VALU_DEP_1) | instskip(SKIP_1) | instid1(VALU_DEP_1)
	v_cmp_gt_f32_e32 vcc_lo, 0x800000, v6
	v_cndmask_b32_e64 v7, 1.0, 0x4f800000, vcc_lo
	v_mul_f32_e32 v6, v6, v7
	v_cndmask_b32_e64 v7, 0, 0x42000000, vcc_lo
	v_cmp_lt_f32_e32 vcc_lo, 0x41a00000, v5
	s_delay_alu instid0(VALU_DEP_3) | instskip(SKIP_2) | instid1(VALU_DEP_1)
	v_log_f32_e32 v6, v6
	s_waitcnt_depctr 0xfff
	v_sub_f32_e32 v6, v6, v7
	v_mul_f32_e32 v6, 0x3f317218, v6
	s_delay_alu instid0(VALU_DEP_1) | instskip(NEXT) | instid1(VALU_DEP_1)
	v_cndmask_b32_e32 v5, v6, v5, vcc_lo
	v_mul_f32_e32 v6, 0x4f800000, v5
	v_cmp_gt_f32_e32 vcc_lo, 0xf800000, v5
	s_delay_alu instid0(VALU_DEP_2) | instskip(NEXT) | instid1(VALU_DEP_1)
	v_cndmask_b32_e32 v5, v5, v6, vcc_lo
	v_sqrt_f32_e32 v6, v5
	s_waitcnt_depctr 0xfff
	v_add_nc_u32_e32 v7, -1, v6
	v_add_nc_u32_e32 v8, 1, v6
	s_delay_alu instid0(VALU_DEP_2) | instskip(NEXT) | instid1(VALU_DEP_2)
	v_fma_f32 v12, -v7, v6, v5
	v_fma_f32 v13, -v8, v6, v5
	s_delay_alu instid0(VALU_DEP_2) | instskip(NEXT) | instid1(VALU_DEP_1)
	v_cmp_ge_f32_e64 s2, 0, v12
	v_cndmask_b32_e64 v6, v6, v7, s2
	s_delay_alu instid0(VALU_DEP_3) | instskip(NEXT) | instid1(VALU_DEP_1)
	v_cmp_lt_f32_e64 s2, 0, v13
	v_cndmask_b32_e64 v6, v6, v8, s2
	s_delay_alu instid0(VALU_DEP_1) | instskip(NEXT) | instid1(VALU_DEP_1)
	v_mul_f32_e32 v7, 0x37800000, v6
	v_cndmask_b32_e32 v6, v6, v7, vcc_lo
	v_cmp_class_f32_e64 vcc_lo, v5, 0x260
	s_delay_alu instid0(VALU_DEP_2) | instskip(SKIP_1) | instid1(VALU_DEP_2)
	v_cndmask_b32_e32 v12, v6, v5, vcc_lo
	v_cmp_ne_u32_e32 vcc_lo, 1, v4
	v_mov_b32_e32 v28, v12
	s_cbranch_vccnz .LBB263_10
; %bb.9:
	global_load_u16 v5, v3, s[6:7] offset:256
	s_waitcnt vmcnt(0)
	v_cvt_f32_f16_e32 v5, v5
	s_delay_alu instid0(VALU_DEP_1)
	v_add_f32_e32 v28, v12, v5
.LBB263_10:
	global_load_u16 v5, v[1:2], off offset:320
	s_waitcnt vmcnt(0)
	v_lshlrev_b32_e32 v5, 16, v5
	s_delay_alu instid0(VALU_DEP_1) | instskip(NEXT) | instid1(VALU_DEP_1)
	v_mul_f32_e32 v6, 0x3fb8aa3b, v5
	v_cmp_gt_f32_e32 vcc_lo, 0xc2fc0000, v6
	v_cndmask_b32_e64 v6, 0, 0x42800000, vcc_lo
	v_cndmask_b32_e64 v7, 1.0, 0x1f800000, vcc_lo
	s_delay_alu instid0(VALU_DEP_2) | instskip(NEXT) | instid1(VALU_DEP_1)
	v_fmac_f32_e32 v6, 0x3fb8aa3b, v5
	v_exp_f32_e32 v6, v6
	s_waitcnt_depctr 0xfff
	v_fma_f32 v6, v6, v7, 1.0
	s_delay_alu instid0(VALU_DEP_1) | instskip(SKIP_1) | instid1(VALU_DEP_1)
	v_cmp_gt_f32_e32 vcc_lo, 0x800000, v6
	v_cndmask_b32_e64 v7, 1.0, 0x4f800000, vcc_lo
	v_mul_f32_e32 v6, v6, v7
	v_cndmask_b32_e64 v7, 0, 0x42000000, vcc_lo
	v_cmp_lt_f32_e32 vcc_lo, 0x41a00000, v5
	s_delay_alu instid0(VALU_DEP_3) | instskip(SKIP_2) | instid1(VALU_DEP_1)
	v_log_f32_e32 v6, v6
	s_waitcnt_depctr 0xfff
	v_sub_f32_e32 v6, v6, v7
	v_mul_f32_e32 v6, 0x3f317218, v6
	s_delay_alu instid0(VALU_DEP_1) | instskip(NEXT) | instid1(VALU_DEP_1)
	v_cndmask_b32_e32 v5, v6, v5, vcc_lo
	v_mul_f32_e32 v6, 0x4f800000, v5
	v_cmp_gt_f32_e32 vcc_lo, 0xf800000, v5
	s_delay_alu instid0(VALU_DEP_2) | instskip(NEXT) | instid1(VALU_DEP_1)
	v_cndmask_b32_e32 v5, v5, v6, vcc_lo
	v_sqrt_f32_e32 v6, v5
	s_waitcnt_depctr 0xfff
	v_add_nc_u32_e32 v7, -1, v6
	v_add_nc_u32_e32 v8, 1, v6
	s_delay_alu instid0(VALU_DEP_2) | instskip(NEXT) | instid1(VALU_DEP_2)
	v_fma_f32 v13, -v7, v6, v5
	v_fma_f32 v14, -v8, v6, v5
	s_delay_alu instid0(VALU_DEP_2) | instskip(NEXT) | instid1(VALU_DEP_1)
	v_cmp_ge_f32_e64 s2, 0, v13
	v_cndmask_b32_e64 v6, v6, v7, s2
	s_delay_alu instid0(VALU_DEP_3) | instskip(NEXT) | instid1(VALU_DEP_1)
	v_cmp_lt_f32_e64 s2, 0, v14
	v_cndmask_b32_e64 v6, v6, v8, s2
	s_delay_alu instid0(VALU_DEP_1) | instskip(NEXT) | instid1(VALU_DEP_1)
	v_mul_f32_e32 v7, 0x37800000, v6
	v_cndmask_b32_e32 v6, v6, v7, vcc_lo
	v_cmp_class_f32_e64 vcc_lo, v5, 0x260
	s_delay_alu instid0(VALU_DEP_2) | instskip(SKIP_1) | instid1(VALU_DEP_2)
	v_cndmask_b32_e32 v13, v6, v5, vcc_lo
	v_cmp_ne_u32_e32 vcc_lo, 1, v4
	v_mov_b32_e32 v29, v13
	s_cbranch_vccnz .LBB263_12
; %bb.11:
	global_load_u16 v5, v3, s[6:7] offset:320
	s_waitcnt vmcnt(0)
	v_cvt_f32_f16_e32 v5, v5
	s_delay_alu instid0(VALU_DEP_1)
	v_add_f32_e32 v29, v13, v5
.LBB263_12:
	global_load_u16 v5, v[1:2], off offset:384
	s_waitcnt vmcnt(0)
	v_lshlrev_b32_e32 v5, 16, v5
	s_delay_alu instid0(VALU_DEP_1) | instskip(NEXT) | instid1(VALU_DEP_1)
	v_mul_f32_e32 v6, 0x3fb8aa3b, v5
	v_cmp_gt_f32_e32 vcc_lo, 0xc2fc0000, v6
	v_cndmask_b32_e64 v6, 0, 0x42800000, vcc_lo
	v_cndmask_b32_e64 v7, 1.0, 0x1f800000, vcc_lo
	s_delay_alu instid0(VALU_DEP_2) | instskip(NEXT) | instid1(VALU_DEP_1)
	v_fmac_f32_e32 v6, 0x3fb8aa3b, v5
	v_exp_f32_e32 v6, v6
	s_waitcnt_depctr 0xfff
	v_fma_f32 v6, v6, v7, 1.0
	s_delay_alu instid0(VALU_DEP_1) | instskip(SKIP_1) | instid1(VALU_DEP_1)
	v_cmp_gt_f32_e32 vcc_lo, 0x800000, v6
	v_cndmask_b32_e64 v7, 1.0, 0x4f800000, vcc_lo
	v_mul_f32_e32 v6, v6, v7
	v_cndmask_b32_e64 v7, 0, 0x42000000, vcc_lo
	v_cmp_lt_f32_e32 vcc_lo, 0x41a00000, v5
	s_delay_alu instid0(VALU_DEP_3) | instskip(SKIP_2) | instid1(VALU_DEP_1)
	v_log_f32_e32 v6, v6
	s_waitcnt_depctr 0xfff
	v_sub_f32_e32 v6, v6, v7
	v_mul_f32_e32 v6, 0x3f317218, v6
	s_delay_alu instid0(VALU_DEP_1) | instskip(NEXT) | instid1(VALU_DEP_1)
	v_cndmask_b32_e32 v5, v6, v5, vcc_lo
	v_mul_f32_e32 v6, 0x4f800000, v5
	v_cmp_gt_f32_e32 vcc_lo, 0xf800000, v5
	s_delay_alu instid0(VALU_DEP_2) | instskip(NEXT) | instid1(VALU_DEP_1)
	v_cndmask_b32_e32 v5, v5, v6, vcc_lo
	v_sqrt_f32_e32 v6, v5
	s_waitcnt_depctr 0xfff
	v_add_nc_u32_e32 v7, -1, v6
	v_add_nc_u32_e32 v8, 1, v6
	s_delay_alu instid0(VALU_DEP_2) | instskip(NEXT) | instid1(VALU_DEP_2)
	v_fma_f32 v14, -v7, v6, v5
	v_fma_f32 v15, -v8, v6, v5
	s_delay_alu instid0(VALU_DEP_2) | instskip(NEXT) | instid1(VALU_DEP_1)
	v_cmp_ge_f32_e64 s2, 0, v14
	v_cndmask_b32_e64 v6, v6, v7, s2
	s_delay_alu instid0(VALU_DEP_3) | instskip(NEXT) | instid1(VALU_DEP_1)
	v_cmp_lt_f32_e64 s2, 0, v15
	v_cndmask_b32_e64 v6, v6, v8, s2
	s_delay_alu instid0(VALU_DEP_1) | instskip(NEXT) | instid1(VALU_DEP_1)
	v_mul_f32_e32 v7, 0x37800000, v6
	v_cndmask_b32_e32 v6, v6, v7, vcc_lo
	v_cmp_class_f32_e64 vcc_lo, v5, 0x260
	s_delay_alu instid0(VALU_DEP_2) | instskip(SKIP_1) | instid1(VALU_DEP_2)
	v_cndmask_b32_e32 v14, v6, v5, vcc_lo
	v_cmp_ne_u32_e32 vcc_lo, 1, v4
	v_mov_b32_e32 v30, v14
	s_cbranch_vccnz .LBB263_14
; %bb.13:
	global_load_u16 v5, v3, s[6:7] offset:384
	s_waitcnt vmcnt(0)
	v_cvt_f32_f16_e32 v5, v5
	s_delay_alu instid0(VALU_DEP_1)
	v_add_f32_e32 v30, v14, v5
.LBB263_14:
	global_load_u16 v1, v[1:2], off offset:448
	s_waitcnt vmcnt(0)
	v_lshlrev_b32_e32 v1, 16, v1
	s_delay_alu instid0(VALU_DEP_1) | instskip(NEXT) | instid1(VALU_DEP_1)
	v_mul_f32_e32 v2, 0x3fb8aa3b, v1
	v_cmp_gt_f32_e32 vcc_lo, 0xc2fc0000, v2
	v_cndmask_b32_e64 v2, 0, 0x42800000, vcc_lo
	v_cndmask_b32_e64 v5, 1.0, 0x1f800000, vcc_lo
	s_delay_alu instid0(VALU_DEP_2) | instskip(NEXT) | instid1(VALU_DEP_1)
	v_fmac_f32_e32 v2, 0x3fb8aa3b, v1
	v_exp_f32_e32 v2, v2
	s_waitcnt_depctr 0xfff
	v_fma_f32 v2, v2, v5, 1.0
	s_delay_alu instid0(VALU_DEP_1) | instskip(SKIP_1) | instid1(VALU_DEP_1)
	v_cmp_gt_f32_e32 vcc_lo, 0x800000, v2
	v_cndmask_b32_e64 v5, 1.0, 0x4f800000, vcc_lo
	v_mul_f32_e32 v2, v2, v5
	v_cndmask_b32_e64 v5, 0, 0x42000000, vcc_lo
	s_delay_alu instid0(VALU_DEP_2) | instskip(SKIP_2) | instid1(VALU_DEP_1)
	v_log_f32_e32 v2, v2
	s_waitcnt_depctr 0xfff
	v_sub_f32_e32 v2, v2, v5
	v_mul_f32_e32 v2, 0x3f317218, v2
	v_cmp_lt_f32_e32 vcc_lo, 0x41a00000, v1
	s_delay_alu instid0(VALU_DEP_2) | instskip(NEXT) | instid1(VALU_DEP_1)
	v_cndmask_b32_e32 v1, v2, v1, vcc_lo
	v_mul_f32_e32 v2, 0x4f800000, v1
	v_cmp_gt_f32_e32 vcc_lo, 0xf800000, v1
	s_delay_alu instid0(VALU_DEP_2) | instskip(NEXT) | instid1(VALU_DEP_1)
	v_cndmask_b32_e32 v1, v1, v2, vcc_lo
	v_sqrt_f32_e32 v2, v1
	s_waitcnt_depctr 0xfff
	v_add_nc_u32_e32 v5, -1, v2
	v_add_nc_u32_e32 v6, 1, v2
	s_delay_alu instid0(VALU_DEP_2) | instskip(NEXT) | instid1(VALU_DEP_2)
	v_fma_f32 v7, -v5, v2, v1
	v_fma_f32 v8, -v6, v2, v1
	s_delay_alu instid0(VALU_DEP_2) | instskip(NEXT) | instid1(VALU_DEP_1)
	v_cmp_ge_f32_e64 s2, 0, v7
	v_cndmask_b32_e64 v2, v2, v5, s2
	s_delay_alu instid0(VALU_DEP_3) | instskip(NEXT) | instid1(VALU_DEP_1)
	v_cmp_lt_f32_e64 s2, 0, v8
	v_cndmask_b32_e64 v2, v2, v6, s2
	s_delay_alu instid0(VALU_DEP_1) | instskip(NEXT) | instid1(VALU_DEP_1)
	v_mul_f32_e32 v5, 0x37800000, v2
	v_cndmask_b32_e32 v2, v2, v5, vcc_lo
	v_cmp_class_f32_e64 vcc_lo, v1, 0x260
	s_delay_alu instid0(VALU_DEP_2)
	v_cndmask_b32_e32 v15, v2, v1, vcc_lo
	v_cmp_ne_u32_e32 vcc_lo, 1, v4
	s_cbranch_vccnz .LBB263_16
; %bb.15:
	global_load_u16 v1, v3, s[6:7] offset:448
	s_waitcnt vmcnt(0)
	v_cvt_f32_f16_e32 v1, v1
	s_delay_alu instid0(VALU_DEP_1)
	v_add_f32_e32 v31, v15, v1
	s_branch .LBB263_17
.LBB263_16:
	s_delay_alu instid0(VALU_DEP_2)
	v_mov_b32_e32 v31, v15
.LBB263_17:
	v_add_nc_u32_e32 v7, 0xe0, v0
	v_dual_mov_b32 v16, v24 :: v_dual_add_nc_u32 v1, 32, v0
	v_dual_mov_b32 v17, v25 :: v_dual_add_nc_u32 v2, 64, v0
	;; [unrolled: 1-line block ×6, first 2 shown]
	v_dual_mov_b32 v22, v30 :: v_dual_mov_b32 v39, v7
	s_delay_alu instid0(VALU_DEP_2)
	v_dual_mov_b32 v47, v7 :: v_dual_mov_b32 v46, v6
	v_dual_mov_b32 v71, v7 :: v_dual_mov_b32 v70, v6
	;; [unrolled: 1-line block ×16, first 2 shown]
	v_mov_b32_e32 v8, v56
	s_mov_b32 s2, exec_lo
	v_cmpx_lt_f32_e32 v24, v25
	s_xor_b32 s2, exec_lo, s2
	s_cbranch_execz .LBB263_19
; %bb.18:
	v_dual_mov_b32 v38, v6 :: v_dual_mov_b32 v39, v7
	v_dual_mov_b32 v32, v1 :: v_dual_mov_b32 v33, v0
	;; [unrolled: 1-line block ×4, first 2 shown]
	s_delay_alu instid0(VALU_DEP_4)
	v_dual_mov_b32 v47, v39 :: v_dual_mov_b32 v46, v38
	v_dual_mov_b32 v71, v39 :: v_dual_mov_b32 v70, v38
	;; [unrolled: 1-line block ×17, first 2 shown]
	v_mov_b32_e32 v9, v56
	v_mov_b32_e32 v1, v0
.LBB263_19:
	s_or_b32 exec_lo, exec_lo, s2
	v_dual_mov_b32 v63, v15 :: v_dual_mov_b32 v62, v14
	v_dual_mov_b32 v79, v15 :: v_dual_mov_b32 v78, v14
	;; [unrolled: 1-line block ×16, first 2 shown]
	v_mov_b32_e32 v24, v18
	s_mov_b32 s2, exec_lo
	v_cmpx_lt_f32_e32 v25, v18
	s_cbranch_execz .LBB263_21
; %bb.20:
	v_dual_mov_b32 v55, v39 :: v_dual_mov_b32 v54, v38
	v_dual_mov_b32 v51, v35 :: v_dual_mov_b32 v50, v34
	;; [unrolled: 1-line block ×16, first 2 shown]
	v_mov_b32_e32 v83, v11
	v_dual_mov_b32 v85, v93 :: v_dual_mov_b32 v86, v94
	v_dual_mov_b32 v87, v95 :: v_dual_mov_b32 v40, v64
	;; [unrolled: 1-line block ×3, first 2 shown]
	v_mov_b32_e32 v42, v66
	v_dual_mov_b32 v17, v18 :: v_dual_mov_b32 v72, v80
	v_dual_mov_b32 v41, v65 :: v_dual_mov_b32 v44, v68
	v_dual_mov_b32 v75, v83 :: v_dual_mov_b32 v76, v84
	v_dual_mov_b32 v43, v67 :: v_dual_mov_b32 v46, v70
	v_dual_mov_b32 v45, v69 :: v_dual_mov_b32 v44, v4
	v_dual_mov_b32 v47, v71 :: v_dual_mov_b32 v18, v25
	v_dual_mov_b32 v77, v85 :: v_dual_mov_b32 v78, v86
	v_dual_mov_b32 v79, v87 :: v_dual_mov_b32 v76, v12
	v_dual_mov_b32 v73, v81 :: v_dual_mov_b32 v74, v82
	v_dual_mov_b32 v32, v40 :: v_dual_mov_b32 v33, v41
	s_delay_alu instid0(VALU_DEP_2)
	v_dual_mov_b32 v56, v72 :: v_dual_mov_b32 v57, v73
	v_dual_mov_b32 v36, v44 :: v_dual_mov_b32 v37, v45
	;; [unrolled: 1-line block ×11, first 2 shown]
	v_mov_b32_e32 v2, v1
.LBB263_21:
	s_or_b32 exec_lo, exec_lo, s2
	v_mov_b32_e32 v1, v19
	s_mov_b32 s2, exec_lo
	v_cmpx_lt_f32_e32 v24, v19
	s_cbranch_execz .LBB263_23
; %bb.22:
	v_mov_b32_e32 v90, v11
	v_mov_b32_e32 v50, v3
	v_dual_mov_b32 v80, v88 :: v_dual_mov_b32 v81, v89
	v_dual_mov_b32 v71, v55 :: v_dual_mov_b32 v70, v54
	;; [unrolled: 1-line block ×3, first 2 shown]
	s_delay_alu instid0(VALU_DEP_4)
	v_dual_mov_b32 v83, v91 :: v_dual_mov_b32 v66, v50
	v_dual_mov_b32 v65, v49 :: v_dual_mov_b32 v68, v52
	;; [unrolled: 1-line block ×3, first 2 shown]
	v_mov_b32_e32 v67, v2
	v_dual_mov_b32 v82, v90 :: v_dual_mov_b32 v87, v95
	v_dual_mov_b32 v85, v93 :: v_dual_mov_b32 v86, v94
	;; [unrolled: 1-line block ×11, first 2 shown]
	v_mov_b32_e32 v44, v4
	v_dual_mov_b32 v56, v72 :: v_dual_mov_b32 v57, v73
	v_dual_mov_b32 v32, v40 :: v_dual_mov_b32 v35, v43
	;; [unrolled: 1-line block ×3, first 2 shown]
	s_delay_alu instid0(VALU_DEP_4)
	v_dual_mov_b32 v37, v45 :: v_dual_mov_b32 v36, v44
	v_dual_mov_b32 v39, v47 :: v_dual_mov_b32 v38, v46
	;; [unrolled: 1-line block ×3, first 2 shown]
	v_mov_b32_e32 v63, v79
	v_dual_mov_b32 v61, v77 :: v_dual_mov_b32 v62, v78
	v_mov_b32_e32 v39, v7
	v_dual_mov_b32 v18, v19 :: v_dual_mov_b32 v19, v24
	v_dual_mov_b32 v60, v76 :: v_dual_mov_b32 v37, v5
	;; [unrolled: 1-line block ×4, first 2 shown]
	v_mov_b32_e32 v1, v24
	v_mov_b32_e32 v11, v10
	v_mov_b32_e32 v3, v2
.LBB263_23:
	s_or_b32 exec_lo, exec_lo, s2
	v_mov_b32_e32 v2, v20
	s_mov_b32 s2, exec_lo
	v_cmpx_lt_f32_e32 v1, v20
	s_cbranch_execz .LBB263_25
; %bb.24:
	v_mov_b32_e32 v91, v12
	v_mov_b32_e32 v51, v4
	;; [unrolled: 1-line block ×4, first 2 shown]
	v_dual_mov_b32 v40, v48 :: v_dual_mov_b32 v41, v49
	v_dual_mov_b32 v42, v50 :: v_dual_mov_b32 v47, v55
	;; [unrolled: 1-line block ×4, first 2 shown]
	v_mov_b32_e32 v44, v3
	v_dual_mov_b32 v76, v11 :: v_dual_mov_b32 v19, v20
	v_dual_mov_b32 v45, v53 :: v_dual_mov_b32 v46, v54
	v_dual_mov_b32 v75, v91 :: v_dual_mov_b32 v78, v94
	v_dual_mov_b32 v79, v95 :: v_dual_mov_b32 v20, v1
	v_mov_b32_e32 v73, v89
	v_mov_b32_e32 v56, v72
	v_dual_mov_b32 v32, v40 :: v_dual_mov_b32 v33, v41
	v_dual_mov_b32 v60, v76 :: v_dual_mov_b32 v61, v77
	;; [unrolled: 1-line block ×9, first 2 shown]
	v_mov_b32_e32 v59, v75
	v_dual_mov_b32 v37, v5 :: v_dual_mov_b32 v38, v6
	v_dual_mov_b32 v39, v7 :: v_dual_mov_b32 v62, v14
	;; [unrolled: 1-line block ×10, first 2 shown]
	v_mov_b32_e32 v4, v3
.LBB263_25:
	s_or_b32 exec_lo, exec_lo, s2
	v_mov_b32_e32 v1, v21
	s_mov_b32 s2, exec_lo
	v_cmpx_lt_f32_e32 v2, v21
	s_cbranch_execz .LBB263_27
; %bb.26:
	v_mov_b32_e32 v68, v5
	v_dual_mov_b32 v20, v21 :: v_dual_mov_b32 v21, v2
	v_mov_b32_e32 v84, v13
	v_dual_mov_b32 v32, v64 :: v_dual_mov_b32 v33, v65
	v_dual_mov_b32 v39, v71 :: v_dual_mov_b32 v56, v80
	;; [unrolled: 1-line block ×7, first 2 shown]
	v_mov_b32_e32 v61, v12
	v_dual_mov_b32 v72, v80 :: v_dual_mov_b32 v73, v81
	v_dual_mov_b32 v40, v64 :: v_dual_mov_b32 v41, v65
	v_dual_mov_b32 v35, v67 :: v_dual_mov_b32 v36, v68
	v_dual_mov_b32 v39, v7 :: v_dual_mov_b32 v38, v6
	v_dual_mov_b32 v57, v81 :: v_dual_mov_b32 v62, v14
	v_dual_mov_b32 v63, v15 :: v_dual_mov_b32 v74, v82
	v_dual_mov_b32 v75, v83 :: v_dual_mov_b32 v76, v84
	v_dual_mov_b32 v77, v85 :: v_dual_mov_b32 v42, v66
	v_dual_mov_b32 v43, v67 :: v_dual_mov_b32 v44, v68
	v_mov_b32_e32 v45, v69
	v_mov_b32_e32 v1, v2
	;; [unrolled: 1-line block ×3, first 2 shown]
	v_dual_mov_b32 v5, v4 :: v_dual_mov_b32 v78, v86
	v_dual_mov_b32 v79, v87 :: v_dual_mov_b32 v46, v70
	v_mov_b32_e32 v47, v71
.LBB263_27:
	s_or_b32 exec_lo, exec_lo, s2
	v_mov_b32_e32 v2, v22
	s_mov_b32 s2, exec_lo
	v_cmpx_lt_f32_e32 v1, v22
	s_cbranch_execz .LBB263_29
; %bb.28:
	v_dual_mov_b32 v77, v14 :: v_dual_mov_b32 v78, v13
	v_dual_mov_b32 v45, v6 :: v_dual_mov_b32 v46, v5
	v_mov_b32_e32 v79, v15
	v_dual_mov_b32 v21, v22 :: v_dual_mov_b32 v22, v1
	v_dual_mov_b32 v47, v7 :: v_dual_mov_b32 v56, v72
	;; [unrolled: 1-line block ×10, first 2 shown]
.LBB263_29:
	s_or_b32 exec_lo, exec_lo, s2
	s_delay_alu instid0(VALU_DEP_1)
	v_cmp_lt_f32_e32 vcc_lo, v2, v23
	v_mov_b32_e32 v43, v59
	v_cmp_lt_f32_e64 s2, v16, v17
	v_dual_mov_b32 v41, v57 :: v_dual_mov_b32 v42, v58
	v_dual_cndmask_b32 v9, v23, v2 :: v_dual_mov_b32 v44, v60
	v_dual_cndmask_b32 v22, v22, v23 :: v_dual_cndmask_b32 v47, v63, v62
	s_delay_alu instid0(VALU_DEP_2)
	v_dual_mov_b32 v40, v56 :: v_dual_mov_b32 v23, v9
	v_dual_cndmask_b32 v46, v62, v63 :: v_dual_mov_b32 v1, v16
	v_dual_mov_b32 v4, v19 :: v_dual_mov_b32 v45, v61
	v_dual_cndmask_b32 v54, v38, v39 :: v_dual_cndmask_b32 v55, v39, v38
	v_dual_mov_b32 v2, v17 :: v_dual_mov_b32 v3, v18
	v_dual_mov_b32 v6, v21 :: v_dual_mov_b32 v5, v20
	;; [unrolled: 1-line block ×6, first 2 shown]
	s_and_saveexec_b32 s3, s2
	s_delay_alu instid0(SALU_CYCLE_1)
	s_xor_b32 s2, exec_lo, s3
	s_cbranch_execz .LBB263_31
; %bb.30:
	v_dual_mov_b32 v2, v17 :: v_dual_mov_b32 v3, v16
	v_dual_mov_b32 v4, v18 :: v_dual_mov_b32 v5, v19
	;; [unrolled: 1-line block ×4, first 2 shown]
	s_delay_alu instid0(VALU_DEP_4)
	v_dual_mov_b32 v1, v2 :: v_dual_mov_b32 v40, v57
	v_dual_mov_b32 v2, v3 :: v_dual_mov_b32 v41, v56
	;; [unrolled: 1-line block ×10, first 2 shown]
.LBB263_31:
	s_or_b32 exec_lo, exec_lo, s2
	v_dual_mov_b32 v26, v40 :: v_dual_mov_b32 v27, v41
	v_dual_mov_b32 v79, v47 :: v_dual_mov_b32 v78, v46
	;; [unrolled: 1-line block ×22, first 2 shown]
	v_mov_b32_e32 v34, v3
	s_mov_b32 s2, exec_lo
	v_dual_mov_b32 v77, v45 :: v_dual_mov_b32 v76, v44
	v_dual_mov_b32 v69, v53 :: v_dual_mov_b32 v68, v52
	v_cmpx_lt_f32_e32 v17, v3
	s_cbranch_execz .LBB263_33
; %bb.32:
	v_dual_mov_b32 v9, v48 :: v_dual_mov_b32 v10, v49
	v_dual_mov_b32 v15, v54 :: v_dual_mov_b32 v16, v55
	v_mov_b32_e32 v10, v50
	v_dual_mov_b32 v11, v50 :: v_dual_mov_b32 v12, v51
	v_dual_mov_b32 v13, v52 :: v_dual_mov_b32 v14, v53
	;; [unrolled: 1-line block ×3, first 2 shown]
	v_mov_b32_e32 v11, v49
	v_dual_mov_b32 v59, v43 :: v_dual_mov_b32 v58, v42
	v_dual_mov_b32 v57, v41 :: v_dual_mov_b32 v56, v40
	;; [unrolled: 1-line block ×14, first 2 shown]
	v_mov_b32_e32 v23, v69
	v_dual_mov_b32 v23, v53 :: v_dual_mov_b32 v26, v72
	v_dual_mov_b32 v19, v65 :: v_dual_mov_b32 v22, v68
	;; [unrolled: 1-line block ×12, first 2 shown]
	v_mov_b32_e32 v42, v41
	v_mov_b32_e32 v50, v49
.LBB263_33:
	s_or_b32 exec_lo, exec_lo, s2
	v_mov_b32_e32 v17, v4
	s_mov_b32 s2, exec_lo
	v_cmpx_lt_f32_e32 v34, v4
	s_cbranch_execz .LBB263_35
; %bb.34:
	v_mov_b32_e32 v11, v51
	v_dual_mov_b32 v3, v4 :: v_dual_mov_b32 v4, v34
	v_dual_mov_b32 v58, v43 :: v_dual_mov_b32 v71, v16
	v_mov_b32_e32 v64, v9
	v_dual_mov_b32 v70, v15 :: v_dual_mov_b32 v69, v14
	v_dual_mov_b32 v79, v63 :: v_dual_mov_b32 v76, v60
	;; [unrolled: 1-line block ×5, first 2 shown]
	v_mov_b32_e32 v67, v50
	v_dual_mov_b32 v78, v62 :: v_dual_mov_b32 v77, v61
	v_dual_mov_b32 v74, v58 :: v_dual_mov_b32 v73, v57
	;; [unrolled: 1-line block ×14, first 2 shown]
	v_mov_b32_e32 v33, v47
	v_mov_b32_e32 v17, v34
	;; [unrolled: 1-line block ×4, first 2 shown]
.LBB263_35:
	s_or_b32 exec_lo, exec_lo, s2
	v_mov_b32_e32 v12, v5
	s_mov_b32 s2, exec_lo
	v_cmpx_lt_f32_e32 v17, v5
	s_cbranch_execz .LBB263_37
; %bb.36:
	v_mov_b32_e32 v12, v52
	v_dual_mov_b32 v4, v5 :: v_dual_mov_b32 v59, v44
	v_mov_b32_e32 v5, v17
	v_dual_mov_b32 v25, v16 :: v_dual_mov_b32 v24, v15
	v_dual_mov_b32 v26, v56 :: v_dual_mov_b32 v27, v57
	;; [unrolled: 1-line block ×19, first 2 shown]
	v_mov_b32_e32 v12, v17
	v_mov_b32_e32 v44, v43
	v_dual_mov_b32 v52, v51 :: v_dual_mov_b32 v77, v61
	v_mov_b32_e32 v76, v60
.LBB263_37:
	s_or_b32 exec_lo, exec_lo, s2
	v_mov_b32_e32 v9, v6
	s_mov_b32 s2, exec_lo
	v_cmpx_lt_f32_e32 v12, v6
	s_cbranch_execz .LBB263_39
; %bb.38:
	v_dual_mov_b32 v68, v53 :: v_dual_mov_b32 v69, v52
	v_dual_mov_b32 v70, v54 :: v_dual_mov_b32 v77, v44
	;; [unrolled: 1-line block ×13, first 2 shown]
	v_mov_b32_e32 v9, v12
.LBB263_39:
	s_or_b32 exec_lo, exec_lo, s2
	s_delay_alu instid0(VALU_DEP_1)
	v_cmp_lt_f32_e32 vcc_lo, v9, v7
	v_mov_b32_e32 v11, v3
	v_mov_b32_e32 v13, v5
	s_mov_b32 s2, exec_lo
	v_dual_mov_b32 v10, v2 :: v_dual_cndmask_b32 v17, v32, v31
	v_dual_cndmask_b32 v31, v31, v32 :: v_dual_cndmask_b32 v66, v24, v23
	v_dual_cndmask_b32 v23, v23, v24 :: v_dual_cndmask_b32 v14, v6, v7
	v_dual_cndmask_b32 v15, v7, v9 :: v_dual_mov_b32 v12, v4
	v_dual_mov_b32 v9, v1 :: v_dual_mov_b32 v16, v8
	v_cmpx_lt_f32_e32 v1, v2
	s_cbranch_execz .LBB263_41
; %bb.40:
	s_delay_alu instid0(VALU_DEP_2) | instskip(NEXT) | instid1(VALU_DEP_3)
	v_dual_mov_b32 v2, v10 :: v_dual_mov_b32 v3, v9
	v_dual_mov_b32 v8, v15 :: v_dual_mov_b32 v9, v16
	v_dual_mov_b32 v4, v11 :: v_dual_mov_b32 v5, v12
	v_dual_mov_b32 v6, v13 :: v_dual_mov_b32 v7, v14
	s_delay_alu instid0(VALU_DEP_3) | instskip(NEXT) | instid1(VALU_DEP_4)
	v_mov_b32_e32 v16, v9
	v_dual_mov_b32 v24, v26 :: v_dual_mov_b32 v15, v8
	s_delay_alu instid0(VALU_DEP_4)
	v_dual_mov_b32 v32, v18 :: v_dual_mov_b32 v11, v4
	v_swap_b32 v26, v27
	v_swap_b32 v18, v19
	v_dual_mov_b32 v14, v7 :: v_dual_mov_b32 v13, v6
	v_mov_b32_e32 v12, v5
	v_dual_mov_b32 v10, v3 :: v_dual_mov_b32 v9, v2
	v_mov_b32_e32 v2, v1
.LBB263_41:
	s_or_b32 exec_lo, exec_lo, s2
	v_mov_b32_e32 v24, v66
	v_mov_b32_e32 v32, v17
	;; [unrolled: 1-line block ×4, first 2 shown]
	s_delay_alu instid0(VALU_DEP_4)
	v_dual_mov_b32 v41, v33 :: v_dual_mov_b32 v48, v24
	v_dual_mov_b32 v34, v26 :: v_dual_mov_b32 v65, v33
	;; [unrolled: 1-line block ×15, first 2 shown]
	v_mov_b32_e32 v50, v18
	s_mov_b32 s2, exec_lo
	v_cmpx_lt_f32_e32 v2, v11
	s_cbranch_execz .LBB263_43
; %bb.42:
	v_dual_mov_b32 v57, v25 :: v_dual_mov_b32 v56, v24
	v_dual_mov_b32 v53, v21 :: v_dual_mov_b32 v52, v20
	v_dual_mov_b32 v51, v19 :: v_dual_mov_b32 v50, v18
	v_dual_mov_b32 v51, v20 :: v_dual_mov_b32 v52, v19
	v_dual_mov_b32 v55, v23 :: v_dual_mov_b32 v54, v22
	v_dual_mov_b32 v65, v33 :: v_dual_mov_b32 v64, v32
	v_dual_mov_b32 v59, v27 :: v_dual_mov_b32 v58, v26
	s_delay_alu instid0(VALU_DEP_4)
	v_dual_mov_b32 v42, v50 :: v_dual_mov_b32 v43, v51
	v_dual_mov_b32 v63, v31 :: v_dual_mov_b32 v62, v30
	;; [unrolled: 1-line block ×18, first 2 shown]
	v_mov_b32_e32 v1, v2
.LBB263_43:
	s_or_b32 exec_lo, exec_lo, s2
	v_mov_b32_e32 v2, v12
	s_mov_b32 s2, exec_lo
	s_delay_alu instid0(VALU_DEP_2)
	v_cmpx_lt_f32_e32 v1, v12
	s_cbranch_execz .LBB263_45
; %bb.44:
	v_dual_mov_b32 v52, v21 :: v_dual_mov_b32 v11, v12
	v_mov_b32_e32 v60, v29
	v_dual_mov_b32 v42, v50 :: v_dual_mov_b32 v45, v53
	v_dual_mov_b32 v47, v55 :: v_dual_mov_b32 v34, v58
	s_delay_alu instid0(VALU_DEP_4)
	v_dual_mov_b32 v37, v61 :: v_dual_mov_b32 v44, v52
	v_dual_mov_b32 v49, v57 :: v_dual_mov_b32 v46, v54
	v_mov_b32_e32 v45, v20
	v_dual_mov_b32 v48, v56 :: v_dual_mov_b32 v47, v23
	v_dual_mov_b32 v36, v60 :: v_dual_mov_b32 v39, v63
	;; [unrolled: 1-line block ×9, first 2 shown]
	v_mov_b32_e32 v41, v33
	v_dual_mov_b32 v2, v1 :: v_dual_mov_b32 v21, v20
.LBB263_45:
	s_or_b32 exec_lo, exec_lo, s2
	v_mov_b32_e32 v1, v13
	s_mov_b32 s2, exec_lo
	s_delay_alu instid0(VALU_DEP_2)
	v_cmpx_lt_f32_e32 v2, v13
	s_cbranch_execz .LBB263_47
; %bb.46:
	v_dual_mov_b32 v53, v22 :: v_dual_mov_b32 v54, v21
	v_dual_mov_b32 v55, v23 :: v_dual_mov_b32 v56, v66
	;; [unrolled: 1-line block ×4, first 2 shown]
	v_mov_b32_e32 v57, v25
	v_dual_mov_b32 v65, v33 :: v_dual_mov_b32 v42, v50
	v_mov_b32_e32 v34, v58
	v_dual_mov_b32 v12, v13 :: v_dual_mov_b32 v13, v2
	v_dual_mov_b32 v35, v59 :: v_dual_mov_b32 v36, v60
	;; [unrolled: 1-line block ×7, first 2 shown]
	v_mov_b32_e32 v47, v55
	v_mov_b32_e32 v49, v57
	;; [unrolled: 1-line block ×3, first 2 shown]
.LBB263_47:
	s_or_b32 exec_lo, exec_lo, s2
	s_delay_alu instid0(VALU_DEP_1)
	v_cmp_lt_f32_e32 vcc_lo, v1, v14
	v_dual_mov_b32 v20, v10 :: v_dual_mov_b32 v25, v15
	v_mov_b32_e32 v22, v12
	v_dual_mov_b32 v26, v16 :: v_dual_cndmask_b32 v27, v39, v38
	v_cndmask_b32_e32 v38, v38, v39, vcc_lo
	v_dual_cndmask_b32 v28, v47, v46 :: v_dual_mov_b32 v19, v9
	v_dual_cndmask_b32 v46, v46, v47 :: v_dual_cndmask_b32 v23, v13, v14
	v_dual_cndmask_b32 v24, v14, v1 :: v_dual_mov_b32 v21, v11
	s_mov_b32 s2, exec_lo
	v_cmpx_lt_f32_e32 v9, v10
	s_cbranch_execz .LBB263_49
; %bb.48:
	v_dual_mov_b32 v7, v25 :: v_dual_mov_b32 v8, v26
	v_dual_mov_b32 v1, v20 :: v_dual_mov_b32 v2, v19
	;; [unrolled: 1-line block ×4, first 2 shown]
	s_delay_alu instid0(VALU_DEP_4)
	v_dual_mov_b32 v11, v34 :: v_dual_mov_b32 v26, v8
	v_dual_mov_b32 v12, v42 :: v_dual_mov_b32 v25, v7
	v_swap_b32 v34, v35
	v_swap_b32 v42, v43
	v_dual_mov_b32 v24, v6 :: v_dual_mov_b32 v23, v5
	v_dual_mov_b32 v22, v4 :: v_dual_mov_b32 v21, v3
	;; [unrolled: 1-line block ×3, first 2 shown]
	v_mov_b32_e32 v10, v9
.LBB263_49:
	s_or_b32 exec_lo, exec_lo, s2
	v_mov_b32_e32 v47, v28
	v_mov_b32_e32 v39, v27
	v_dual_mov_b32 v1, v42 :: v_dual_mov_b32 v4, v45
	v_dual_mov_b32 v11, v34 :: v_dual_mov_b32 v14, v37
	;; [unrolled: 1-line block ×3, first 2 shown]
	s_delay_alu instid0(VALU_DEP_4)
	v_dual_mov_b32 v16, v39 :: v_dual_mov_b32 v15, v38
	v_dual_mov_b32 v18, v41 :: v_dual_mov_b32 v17, v40
	;; [unrolled: 1-line block ×5, first 2 shown]
	v_mov_b32_e32 v9, v21
	s_mov_b32 s2, exec_lo
	v_cmpx_lt_f32_e32 v10, v21
	s_cbranch_execz .LBB263_51
; %bb.50:
	v_dual_mov_b32 v1, v42 :: v_dual_mov_b32 v2, v43
	v_dual_mov_b32 v5, v46 :: v_dual_mov_b32 v6, v47
	;; [unrolled: 1-line block ×16, first 2 shown]
	v_mov_b32_e32 v18, v41
	v_mov_b32_e32 v36, v35
	;; [unrolled: 1-line block ×3, first 2 shown]
.LBB263_51:
	s_or_b32 exec_lo, exec_lo, s2
	v_mov_b32_e32 v29, v22
	s_mov_b32 s2, exec_lo
	v_cmpx_lt_f32_e32 v9, v22
; %bb.52:
	v_dual_mov_b32 v21, v22 :: v_dual_mov_b32 v22, v9
	v_dual_mov_b32 v3, v45 :: v_dual_mov_b32 v4, v44
	;; [unrolled: 1-line block ×7, first 2 shown]
	v_mov_b32_e32 v29, v9
; %bb.53:
	s_or_b32 exec_lo, exec_lo, s2
	s_delay_alu instid0(VALU_DEP_1)
	v_cmp_lt_f32_e32 vcc_lo, v29, v23
	v_dual_mov_b32 v28, v20 :: v_dual_mov_b32 v33, v25
	v_mov_b32_e32 v32, v24
	v_dual_mov_b32 v34, v26 :: v_dual_cndmask_b32 v9, v15, v14
	v_cndmask_b32_e32 v14, v14, v15, vcc_lo
	v_dual_cndmask_b32 v10, v5, v4 :: v_dual_cndmask_b32 v31, v23, v29
	v_dual_cndmask_b32 v4, v4, v5 :: v_dual_mov_b32 v27, v19
	v_dual_cndmask_b32 v30, v22, v23 :: v_dual_mov_b32 v29, v21
	s_mov_b32 s2, exec_lo
	v_cmpx_lt_f32_e32 v19, v20
	s_cbranch_execz .LBB263_55
; %bb.54:
	v_dual_mov_b32 v20, v28 :: v_dual_mov_b32 v21, v27
	v_dual_mov_b32 v26, v33 :: v_dual_mov_b32 v27, v34
	;; [unrolled: 1-line block ×4, first 2 shown]
	s_delay_alu instid0(VALU_DEP_3) | instskip(SKIP_2) | instid1(VALU_DEP_4)
	v_dual_mov_b32 v15, v1 :: v_dual_mov_b32 v34, v27
	v_mov_b32_e32 v5, v11
	v_swap_b32 v11, v12
	v_mov_b32_e32 v32, v25
	v_swap_b32 v1, v2
	v_dual_mov_b32 v33, v26 :: v_dual_mov_b32 v30, v23
	v_dual_mov_b32 v31, v24 :: v_dual_mov_b32 v28, v21
	v_mov_b32_e32 v29, v22
	v_dual_mov_b32 v27, v20 :: v_dual_mov_b32 v20, v19
.LBB263_55:
	s_or_b32 exec_lo, exec_lo, s2
	v_mov_b32_e32 v5, v10
	v_mov_b32_e32 v15, v9
	;; [unrolled: 1-line block ×3, first 2 shown]
	s_mov_b32 s2, exec_lo
	v_cmpx_lt_f32_e32 v20, v29
	s_cbranch_execz .LBB263_57
; %bb.56:
	v_dual_mov_b32 v50, v18 :: v_dual_mov_b32 v49, v17
	v_dual_mov_b32 v42, v8 :: v_dual_mov_b32 v41, v7
	;; [unrolled: 1-line block ×14, first 2 shown]
	v_mov_b32_e32 v50, v18
	v_dual_mov_b32 v28, v29 :: v_dual_mov_b32 v29, v20
	v_dual_mov_b32 v42, v8 :: v_dual_mov_b32 v11, v43
	;; [unrolled: 1-line block ×10, first 2 shown]
.LBB263_57:
	s_or_b32 exec_lo, exec_lo, s2
	s_delay_alu instid0(VALU_DEP_1) | instskip(NEXT) | instid1(VALU_DEP_3)
	v_cmp_lt_f32_e32 vcc_lo, v19, v30
	v_dual_mov_b32 v20, v5 :: v_dual_mov_b32 v21, v6
	s_delay_alu instid0(VALU_DEP_3)
	v_dual_mov_b32 v22, v7 :: v_dual_mov_b32 v23, v8
	v_dual_cndmask_b32 v9, v14, v13 :: v_dual_cndmask_b32 v10, v4, v3
	v_dual_cndmask_b32 v35, v13, v14 :: v_dual_cndmask_b32 v36, v3, v4
	;; [unrolled: 1-line block ×3, first 2 shown]
	v_dual_mov_b32 v4, v15 :: v_dual_mov_b32 v13, v16
	v_dual_mov_b32 v14, v17 :: v_dual_mov_b32 v19, v18
	;; [unrolled: 1-line block ×4, first 2 shown]
	v_mov_b32_e32 v29, v34
	s_mov_b32 s2, exec_lo
	v_cmpx_lt_f32_e32 v27, v28
	s_cbranch_execz .LBB263_59
; %bb.58:
	v_dual_mov_b32 v24, v28 :: v_dual_mov_b32 v19, v18
	v_dual_mov_b32 v4, v11 :: v_dual_mov_b32 v13, v16
	v_dual_mov_b32 v20, v1 :: v_dual_mov_b32 v37, v27
	v_swap_b32 v11, v12
	v_swap_b32 v1, v2
	v_dual_mov_b32 v28, v27 :: v_dual_mov_b32 v21, v6
	v_dual_mov_b32 v4, v15 :: v_dual_mov_b32 v23, v8
	;; [unrolled: 1-line block ×5, first 2 shown]
	v_mov_b32_e32 v24, v31
	v_mov_b32_e32 v26, v33
.LBB263_59:
	s_or_b32 exec_lo, exec_lo, s2
	s_clause 0x1
	s_load_b32 s8, s[0:1], 0x28
	s_load_b128 s[4:7], s[0:1], 0x10
	v_mov_b32_e32 v6, 0
	s_waitcnt lgkmcnt(0)
	s_cmp_lt_i32 s8, 1
	s_cbranch_scc1 .LBB263_65
; %bb.60:
	v_cmp_lt_f32_e32 vcc_lo, v28, v30
	s_mov_b32 s9, 0x76543210
	s_mov_b32 s10, s8
	v_dual_mov_b32 v7, 0 :: v_dual_mov_b32 v6, 0
	v_cndmask_b32_e32 v18, v37, v30, vcc_lo
	v_dual_cndmask_b32 v5, v36, v2 :: v_dual_cndmask_b32 v2, v2, v36
	v_cndmask_b32_e32 v8, v30, v28, vcc_lo
	v_dual_cndmask_b32 v15, v35, v12 :: v_dual_cndmask_b32 v28, v12, v35
	s_delay_alu instid0(VALU_DEP_4) | instskip(NEXT) | instid1(VALU_DEP_1)
	v_cmp_lt_f32_e64 s2, v27, v18
	v_cndmask_b32_e64 v12, v2, v1, s2
	v_cndmask_b32_e64 v16, v1, v2, s2
	;; [unrolled: 1-line block ×6, first 2 shown]
	v_dual_mov_b32 v28, v0 :: v_dual_mov_b32 v1, 0
	v_mov_b32_e32 v2, 0
.LBB263_61:                             ; =>This Inner Loop Header: Depth=1
	v_cmp_eq_u32_e32 vcc_lo, 1, v7
	v_cmp_eq_u32_e64 s2, 2, v7
	v_dual_cndmask_b32 v30, v18, v17 :: v_dual_cndmask_b32 v31, v16, v12
	v_cndmask_b32_e32 v32, v11, v27, vcc_lo
	v_cmp_eq_u32_e32 vcc_lo, 3, v7
	s_delay_alu instid0(VALU_DEP_3) | instskip(NEXT) | instid1(VALU_DEP_4)
	v_cndmask_b32_e64 v30, v30, v8, s2
	v_cndmask_b32_e64 v31, v31, v5, s2
	s_delay_alu instid0(VALU_DEP_4) | instskip(SKIP_1) | instid1(VALU_DEP_3)
	v_cndmask_b32_e64 v32, v32, v15, s2
	v_cmp_eq_u32_e64 s2, 4, v7
	v_dual_cndmask_b32 v30, v30, v3 :: v_dual_cndmask_b32 v31, v31, v10
	s_delay_alu instid0(VALU_DEP_3) | instskip(SKIP_1) | instid1(VALU_DEP_3)
	v_cndmask_b32_e32 v32, v32, v9, vcc_lo
	v_cmp_eq_u32_e32 vcc_lo, 5, v7
	v_cndmask_b32_e64 v30, v30, v24, s2
	s_delay_alu instid0(VALU_DEP_4) | instskip(NEXT) | instid1(VALU_DEP_4)
	v_cndmask_b32_e64 v31, v31, v20, s2
	v_cndmask_b32_e64 v32, v32, v4, s2
	v_cmp_eq_u32_e64 s2, 6, v7
	s_delay_alu instid0(VALU_DEP_4) | instskip(NEXT) | instid1(VALU_DEP_4)
	v_cndmask_b32_e32 v30, v30, v25, vcc_lo
	v_cndmask_b32_e32 v31, v31, v21, vcc_lo
	s_delay_alu instid0(VALU_DEP_4) | instskip(SKIP_1) | instid1(VALU_DEP_4)
	v_cndmask_b32_e32 v32, v32, v13, vcc_lo
	v_cmp_eq_u32_e32 vcc_lo, 7, v7
	v_cndmask_b32_e64 v30, v30, v26, s2
	s_delay_alu instid0(VALU_DEP_4) | instskip(NEXT) | instid1(VALU_DEP_4)
	v_cndmask_b32_e64 v31, v31, v22, s2
	v_cndmask_b32_e64 v32, v32, v14, s2
	v_cmp_gt_u32_e64 s2, 8, v7
	s_delay_alu instid0(VALU_DEP_3) | instskip(NEXT) | instid1(VALU_DEP_1)
	v_dual_cndmask_b32 v30, v30, v29 :: v_dual_cndmask_b32 v31, v31, v23
	v_cndmask_b32_e64 v30, 0xff800000, v30, s2
	;;#ASMSTART
	v_max_f32 v34, v30, v30 quad_perm:[1,0,3,2] row_mask:0xf bank_mask:0xf bound_ctrl:1
	;;#ASMEND
	;;#ASMSTART
	v_max_f32 v35, v34, v34 quad_perm:[2,3,0,1] row_mask:0xf bank_mask:0xf bound_ctrl:1
	;;#ASMEND
	;;#ASMSTART
	v_max_f32 v34, v35, v35 row_half_mirror row_mask:0xf bank_mask:0xf bound_ctrl:1
	;;#ASMEND
	;;#ASMSTART
	v_max_f32 v35, v34, v34 row_mirror row_mask:0xf bank_mask:0xf bound_ctrl:1
	;;#ASMEND
	v_permlanex16_b32 v34, v35, s9, 0xfedcba98 op_sel:[1,1]
	v_max_f32_e32 v35, v35, v35
	v_cndmask_b32_e64 v33, 0, v31, s2
	s_delay_alu instid0(VALU_DEP_3) | instskip(NEXT) | instid1(VALU_DEP_1)
	v_max_f32_e32 v34, v34, v34
	v_max_f32_e32 v34, v35, v34
	s_delay_alu instid0(VALU_DEP_1) | instskip(SKIP_1) | instid1(VALU_DEP_2)
	v_cmp_eq_f32_e64 s3, v30, v34
	v_cndmask_b32_e32 v30, v32, v19, vcc_lo
	s_ctz_i32_b32 s11, s3
	s_cmp_lg_u32 s3, 0
	s_cselect_b32 s3, s11, 0
	s_add_i32 s10, s10, -1
	v_readlane_b32 s3, v33, s3
	s_delay_alu instid0(VALU_DEP_1)
	v_cmp_eq_u32_e32 vcc_lo, s3, v31
	s_and_b32 vcc_lo, s2, vcc_lo
	s_and_b32 s2, s3, 31
	v_cndmask_b32_e32 v30, 0, v30, vcc_lo
	v_add_co_ci_u32_e32 v7, vcc_lo, 0, v7, vcc_lo
	s_cmp_eq_u32 s10, 0
	s_delay_alu instid0(VALU_DEP_2) | instskip(SKIP_2) | instid1(VALU_DEP_3)
	v_readlane_b32 s11, v30, s2
	v_cmp_eq_u32_e64 s2, 0, v28
	v_add_nc_u32_e32 v28, -1, v28
	v_add_f32_e32 v6, s11, v6
	s_delay_alu instid0(VALU_DEP_3)
	v_cndmask_b32_e64 v2, v2, s11, s2
	v_cndmask_b32_e64 v1, v1, s3, s2
	s_cbranch_scc0 .LBB263_61
; %bb.62:
	s_mov_b32 s2, exec_lo
	v_cmpx_gt_i32_e64 s8, v0
	s_cbranch_execz .LBB263_64
.LBB263_63:
	s_load_b32 s2, s[0:1], 0x30
	v_max_f32_e32 v3, v6, v6
	s_load_b64 s[0:1], s[0:1], 0x20
	s_ashr_i32 s3, s15, 31
	s_delay_alu instid0(VALU_DEP_1) | instskip(SKIP_1) | instid1(VALU_DEP_1)
	v_dual_max_f32 v3, 0x1e3ce508, v3 :: v_dual_lshlrev_b32 v0, 2, v0
	s_waitcnt lgkmcnt(0)
	v_div_scale_f32 v4, null, v3, v3, s2
	v_div_scale_f32 v7, vcc_lo, s2, v3, s2
	s_mul_i32 s1, s15, s1
	s_delay_alu instid0(VALU_DEP_2)
	v_rcp_f32_e32 v5, v4
	s_mul_hi_u32 s8, s15, s0
	s_mul_i32 s3, s3, s0
	s_add_i32 s1, s8, s1
	s_mul_i32 s0, s15, s0
	s_add_i32 s1, s1, s3
	s_delay_alu instid0(SALU_CYCLE_1) | instskip(SKIP_2) | instid1(VALU_DEP_1)
	s_lshl_b64 s[0:1], s[0:1], 2
	s_waitcnt_depctr 0xfff
	v_fma_f32 v6, -v4, v5, 1.0
	v_fmac_f32_e32 v5, v6, v5
	s_delay_alu instid0(VALU_DEP_1) | instskip(NEXT) | instid1(VALU_DEP_1)
	v_mul_f32_e32 v6, v7, v5
	v_fma_f32 v8, -v4, v6, v7
	s_delay_alu instid0(VALU_DEP_1) | instskip(NEXT) | instid1(VALU_DEP_1)
	v_fmac_f32_e32 v6, v8, v5
	v_fma_f32 v4, -v4, v6, v7
	s_delay_alu instid0(VALU_DEP_1) | instskip(NEXT) | instid1(VALU_DEP_1)
	v_div_fmas_f32 v4, v4, v5, v6
	v_div_fixup_f32 v3, v4, v3, s2
	s_add_u32 s2, s4, s0
	s_addc_u32 s3, s5, s1
	s_add_u32 s0, s6, s0
	s_addc_u32 s1, s7, s1
	v_mul_f32_e32 v2, v2, v3
	s_clause 0x1
	global_store_b32 v0, v2, s[2:3]
	global_store_b32 v0, v1, s[0:1]
.LBB263_64:
	s_nop 0
	s_sendmsg sendmsg(MSG_DEALLOC_VGPRS)
	s_endpgm
.LBB263_65:
	v_dual_mov_b32 v1, 0 :: v_dual_mov_b32 v2, 0
	s_mov_b32 s2, exec_lo
	v_cmpx_gt_i32_e64 s8, v0
	s_cbranch_execnz .LBB263_63
	s_branch .LBB263_64
	.section	.rodata,"a",@progbits
	.p2align	6, 0x0
	.amdhsa_kernel _ZN5aiter24topk_softplus_kernel_optI12hip_bfloat166__halfLi256ELb1ELi0EEEvPKT_PKT0_PfPimiif
		.amdhsa_group_segment_fixed_size 0
		.amdhsa_private_segment_fixed_size 0
		.amdhsa_kernarg_size 52
		.amdhsa_user_sgpr_count 15
		.amdhsa_user_sgpr_dispatch_ptr 0
		.amdhsa_user_sgpr_queue_ptr 0
		.amdhsa_user_sgpr_kernarg_segment_ptr 1
		.amdhsa_user_sgpr_dispatch_id 0
		.amdhsa_user_sgpr_private_segment_size 0
		.amdhsa_wavefront_size32 1
		.amdhsa_uses_dynamic_stack 0
		.amdhsa_enable_private_segment 0
		.amdhsa_system_sgpr_workgroup_id_x 1
		.amdhsa_system_sgpr_workgroup_id_y 0
		.amdhsa_system_sgpr_workgroup_id_z 0
		.amdhsa_system_sgpr_workgroup_info 0
		.amdhsa_system_vgpr_workitem_id 0
		.amdhsa_next_free_vgpr 96
		.amdhsa_next_free_sgpr 16
		.amdhsa_reserve_vcc 1
		.amdhsa_float_round_mode_32 0
		.amdhsa_float_round_mode_16_64 0
		.amdhsa_float_denorm_mode_32 3
		.amdhsa_float_denorm_mode_16_64 3
		.amdhsa_dx10_clamp 1
		.amdhsa_ieee_mode 1
		.amdhsa_fp16_overflow 0
		.amdhsa_workgroup_processor_mode 1
		.amdhsa_memory_ordered 1
		.amdhsa_forward_progress 0
		.amdhsa_shared_vgpr_count 0
		.amdhsa_exception_fp_ieee_invalid_op 0
		.amdhsa_exception_fp_denorm_src 0
		.amdhsa_exception_fp_ieee_div_zero 0
		.amdhsa_exception_fp_ieee_overflow 0
		.amdhsa_exception_fp_ieee_underflow 0
		.amdhsa_exception_fp_ieee_inexact 0
		.amdhsa_exception_int_div_zero 0
	.end_amdhsa_kernel
	.section	.text._ZN5aiter24topk_softplus_kernel_optI12hip_bfloat166__halfLi256ELb1ELi0EEEvPKT_PKT0_PfPimiif,"axG",@progbits,_ZN5aiter24topk_softplus_kernel_optI12hip_bfloat166__halfLi256ELb1ELi0EEEvPKT_PKT0_PfPimiif,comdat
.Lfunc_end263:
	.size	_ZN5aiter24topk_softplus_kernel_optI12hip_bfloat166__halfLi256ELb1ELi0EEEvPKT_PKT0_PfPimiif, .Lfunc_end263-_ZN5aiter24topk_softplus_kernel_optI12hip_bfloat166__halfLi256ELb1ELi0EEEvPKT_PKT0_PfPimiif
                                        ; -- End function
	.section	.AMDGPU.csdata,"",@progbits
; Kernel info:
; codeLenInByte = 8620
; NumSgprs: 18
; NumVgprs: 96
; ScratchSize: 0
; MemoryBound: 0
; FloatMode: 240
; IeeeMode: 1
; LDSByteSize: 0 bytes/workgroup (compile time only)
; SGPRBlocks: 2
; VGPRBlocks: 11
; NumSGPRsForWavesPerEU: 18
; NumVGPRsForWavesPerEU: 96
; Occupancy: 16
; WaveLimiterHint : 0
; COMPUTE_PGM_RSRC2:SCRATCH_EN: 0
; COMPUTE_PGM_RSRC2:USER_SGPR: 15
; COMPUTE_PGM_RSRC2:TRAP_HANDLER: 0
; COMPUTE_PGM_RSRC2:TGID_X_EN: 1
; COMPUTE_PGM_RSRC2:TGID_Y_EN: 0
; COMPUTE_PGM_RSRC2:TGID_Z_EN: 0
; COMPUTE_PGM_RSRC2:TIDIG_COMP_CNT: 0
	.section	.text._ZN5aiter24topk_softplus_kernel_optI12hip_bfloat166__halfLi256ELb0ELi0EEEvPKT_PKT0_PfPimiif,"axG",@progbits,_ZN5aiter24topk_softplus_kernel_optI12hip_bfloat166__halfLi256ELb0ELi0EEEvPKT_PKT0_PfPimiif,comdat
	.protected	_ZN5aiter24topk_softplus_kernel_optI12hip_bfloat166__halfLi256ELb0ELi0EEEvPKT_PKT0_PfPimiif ; -- Begin function _ZN5aiter24topk_softplus_kernel_optI12hip_bfloat166__halfLi256ELb0ELi0EEEvPKT_PKT0_PfPimiif
	.globl	_ZN5aiter24topk_softplus_kernel_optI12hip_bfloat166__halfLi256ELb0ELi0EEEvPKT_PKT0_PfPimiif
	.p2align	8
	.type	_ZN5aiter24topk_softplus_kernel_optI12hip_bfloat166__halfLi256ELb0ELi0EEEvPKT_PKT0_PfPimiif,@function
_ZN5aiter24topk_softplus_kernel_optI12hip_bfloat166__halfLi256ELb0ELi0EEEvPKT_PKT0_PfPimiif: ; @_ZN5aiter24topk_softplus_kernel_optI12hip_bfloat166__halfLi256ELb0ELi0EEEvPKT_PKT0_PfPimiif
; %bb.0:
	s_load_b128 s[4:7], s[0:1], 0x0
	s_lshl_b32 s2, s15, 8
	v_lshlrev_b32_e32 v3, 1, v0
	s_ashr_i32 s3, s2, 31
	s_delay_alu instid0(SALU_CYCLE_1)
	s_lshl_b64 s[2:3], s[2:3], 1
	s_waitcnt lgkmcnt(0)
	s_add_u32 s4, s4, s2
	s_addc_u32 s5, s5, s3
	s_cmp_lg_u64 s[6:7], 0
	global_load_u16 v1, v3, s[4:5]
	s_cselect_b32 s3, -1, 0
	s_waitcnt vmcnt(0)
	v_lshlrev_b32_e32 v1, 16, v1
	s_delay_alu instid0(VALU_DEP_1) | instskip(NEXT) | instid1(VALU_DEP_1)
	v_mul_f32_e32 v2, 0x3fb8aa3b, v1
	v_cmp_gt_f32_e32 vcc_lo, 0xc2fc0000, v2
	v_cndmask_b32_e64 v2, 0, 0x42800000, vcc_lo
	v_cndmask_b32_e64 v4, 1.0, 0x1f800000, vcc_lo
	s_delay_alu instid0(VALU_DEP_2) | instskip(NEXT) | instid1(VALU_DEP_1)
	v_fmac_f32_e32 v2, 0x3fb8aa3b, v1
	v_exp_f32_e32 v2, v2
	s_waitcnt_depctr 0xfff
	v_fma_f32 v2, v2, v4, 1.0
	s_delay_alu instid0(VALU_DEP_1) | instskip(SKIP_1) | instid1(VALU_DEP_1)
	v_cmp_gt_f32_e32 vcc_lo, 0x800000, v2
	v_cndmask_b32_e64 v4, 1.0, 0x4f800000, vcc_lo
	v_mul_f32_e32 v2, v2, v4
	v_cndmask_b32_e64 v4, 0, 0x42000000, vcc_lo
	v_cmp_lt_f32_e32 vcc_lo, 0x41a00000, v1
	s_delay_alu instid0(VALU_DEP_3) | instskip(SKIP_2) | instid1(VALU_DEP_1)
	v_log_f32_e32 v2, v2
	s_waitcnt_depctr 0xfff
	v_sub_f32_e32 v2, v2, v4
	v_mul_f32_e32 v2, 0x3f317218, v2
	s_delay_alu instid0(VALU_DEP_1) | instskip(NEXT) | instid1(VALU_DEP_1)
	v_cndmask_b32_e32 v1, v2, v1, vcc_lo
	v_mul_f32_e32 v2, 0x4f800000, v1
	v_cmp_gt_f32_e32 vcc_lo, 0xf800000, v1
	s_delay_alu instid0(VALU_DEP_2) | instskip(NEXT) | instid1(VALU_DEP_1)
	v_cndmask_b32_e32 v1, v1, v2, vcc_lo
	v_sqrt_f32_e32 v2, v1
	s_waitcnt_depctr 0xfff
	v_add_nc_u32_e32 v4, -1, v2
	v_add_nc_u32_e32 v5, 1, v2
	s_delay_alu instid0(VALU_DEP_2) | instskip(NEXT) | instid1(VALU_DEP_2)
	v_fma_f32 v6, -v4, v2, v1
	v_fma_f32 v7, -v5, v2, v1
	s_delay_alu instid0(VALU_DEP_2) | instskip(NEXT) | instid1(VALU_DEP_1)
	v_cmp_ge_f32_e64 s2, 0, v6
	v_cndmask_b32_e64 v2, v2, v4, s2
	s_delay_alu instid0(VALU_DEP_3) | instskip(NEXT) | instid1(VALU_DEP_1)
	v_cmp_lt_f32_e64 s2, 0, v7
	v_cndmask_b32_e64 v2, v2, v5, s2
	s_delay_alu instid0(VALU_DEP_1) | instskip(NEXT) | instid1(VALU_DEP_1)
	v_mul_f32_e32 v4, 0x37800000, v2
	v_cndmask_b32_e32 v2, v2, v4, vcc_lo
	v_cmp_class_f32_e64 vcc_lo, v1, 0x260
	s_delay_alu instid0(VALU_DEP_2) | instskip(SKIP_1) | instid1(VALU_DEP_1)
	v_cndmask_b32_e32 v56, v2, v1, vcc_lo
	v_add_co_u32 v1, s2, s4, v3
	v_add_co_ci_u32_e64 v2, null, s5, 0, s2
	s_delay_alu instid0(VALU_DEP_3)
	v_mov_b32_e32 v24, v56
	s_and_b32 vcc_lo, exec_lo, s3
	s_cbranch_vccz .LBB264_2
; %bb.1:
	global_load_u16 v4, v3, s[6:7]
	s_waitcnt vmcnt(0)
	v_cvt_f32_f16_e32 v4, v4
	s_delay_alu instid0(VALU_DEP_1)
	v_add_f32_e32 v24, v56, v4
.LBB264_2:
	global_load_u16 v4, v[1:2], off offset:64
	s_waitcnt vmcnt(0)
	v_lshlrev_b32_e32 v4, 16, v4
	s_delay_alu instid0(VALU_DEP_1) | instskip(NEXT) | instid1(VALU_DEP_1)
	v_mul_f32_e32 v5, 0x3fb8aa3b, v4
	v_cmp_gt_f32_e32 vcc_lo, 0xc2fc0000, v5
	v_cndmask_b32_e64 v5, 0, 0x42800000, vcc_lo
	v_cndmask_b32_e64 v6, 1.0, 0x1f800000, vcc_lo
	s_delay_alu instid0(VALU_DEP_2) | instskip(NEXT) | instid1(VALU_DEP_1)
	v_fmac_f32_e32 v5, 0x3fb8aa3b, v4
	v_exp_f32_e32 v5, v5
	s_waitcnt_depctr 0xfff
	v_fma_f32 v5, v5, v6, 1.0
	s_delay_alu instid0(VALU_DEP_1) | instskip(SKIP_1) | instid1(VALU_DEP_1)
	v_cmp_gt_f32_e32 vcc_lo, 0x800000, v5
	v_cndmask_b32_e64 v6, 1.0, 0x4f800000, vcc_lo
	v_mul_f32_e32 v5, v5, v6
	v_cndmask_b32_e64 v6, 0, 0x42000000, vcc_lo
	v_cmp_lt_f32_e32 vcc_lo, 0x41a00000, v4
	s_delay_alu instid0(VALU_DEP_3) | instskip(SKIP_2) | instid1(VALU_DEP_1)
	v_log_f32_e32 v5, v5
	s_waitcnt_depctr 0xfff
	v_sub_f32_e32 v5, v5, v6
	v_mul_f32_e32 v5, 0x3f317218, v5
	s_delay_alu instid0(VALU_DEP_1) | instskip(NEXT) | instid1(VALU_DEP_1)
	v_cndmask_b32_e32 v4, v5, v4, vcc_lo
	v_mul_f32_e32 v5, 0x4f800000, v4
	v_cmp_gt_f32_e32 vcc_lo, 0xf800000, v4
	s_delay_alu instid0(VALU_DEP_2) | instskip(NEXT) | instid1(VALU_DEP_1)
	v_cndmask_b32_e32 v5, v4, v5, vcc_lo
	v_sqrt_f32_e32 v4, v5
	s_waitcnt_depctr 0xfff
	v_add_nc_u32_e32 v6, -1, v4
	v_add_nc_u32_e32 v7, 1, v4
	s_delay_alu instid0(VALU_DEP_2) | instskip(NEXT) | instid1(VALU_DEP_2)
	v_fma_f32 v8, -v6, v4, v5
	v_fma_f32 v9, -v7, v4, v5
	s_delay_alu instid0(VALU_DEP_2) | instskip(NEXT) | instid1(VALU_DEP_1)
	v_cmp_ge_f32_e64 s2, 0, v8
	v_cndmask_b32_e64 v4, v4, v6, s2
	s_delay_alu instid0(VALU_DEP_3) | instskip(NEXT) | instid1(VALU_DEP_1)
	v_cmp_lt_f32_e64 s2, 0, v9
	v_cndmask_b32_e64 v4, v4, v7, s2
	s_delay_alu instid0(VALU_DEP_1) | instskip(NEXT) | instid1(VALU_DEP_1)
	v_mul_f32_e32 v6, 0x37800000, v4
	v_cndmask_b32_e32 v6, v4, v6, vcc_lo
	v_cmp_class_f32_e64 vcc_lo, v5, 0x260
	v_cndmask_b32_e64 v4, 0, 1, s3
	s_delay_alu instid0(VALU_DEP_3) | instskip(SKIP_1) | instid1(VALU_DEP_1)
	v_cndmask_b32_e32 v9, v6, v5, vcc_lo
	s_and_not1_b32 vcc_lo, exec_lo, s3
	v_mov_b32_e32 v25, v9
	s_cbranch_vccnz .LBB264_4
; %bb.3:
	global_load_u16 v5, v3, s[6:7] offset:64
	s_waitcnt vmcnt(0)
	v_cvt_f32_f16_e32 v5, v5
	s_delay_alu instid0(VALU_DEP_1)
	v_add_f32_e32 v25, v9, v5
.LBB264_4:
	global_load_u16 v5, v[1:2], off offset:128
	s_waitcnt vmcnt(0)
	v_lshlrev_b32_e32 v5, 16, v5
	s_delay_alu instid0(VALU_DEP_1) | instskip(NEXT) | instid1(VALU_DEP_1)
	v_mul_f32_e32 v6, 0x3fb8aa3b, v5
	v_cmp_gt_f32_e32 vcc_lo, 0xc2fc0000, v6
	v_cndmask_b32_e64 v6, 0, 0x42800000, vcc_lo
	v_cndmask_b32_e64 v7, 1.0, 0x1f800000, vcc_lo
	s_delay_alu instid0(VALU_DEP_2) | instskip(NEXT) | instid1(VALU_DEP_1)
	v_fmac_f32_e32 v6, 0x3fb8aa3b, v5
	v_exp_f32_e32 v6, v6
	s_waitcnt_depctr 0xfff
	v_fma_f32 v6, v6, v7, 1.0
	s_delay_alu instid0(VALU_DEP_1) | instskip(SKIP_1) | instid1(VALU_DEP_1)
	v_cmp_gt_f32_e32 vcc_lo, 0x800000, v6
	v_cndmask_b32_e64 v7, 1.0, 0x4f800000, vcc_lo
	v_mul_f32_e32 v6, v6, v7
	v_cndmask_b32_e64 v7, 0, 0x42000000, vcc_lo
	v_cmp_lt_f32_e32 vcc_lo, 0x41a00000, v5
	s_delay_alu instid0(VALU_DEP_3) | instskip(SKIP_2) | instid1(VALU_DEP_1)
	v_log_f32_e32 v6, v6
	s_waitcnt_depctr 0xfff
	v_sub_f32_e32 v6, v6, v7
	v_mul_f32_e32 v6, 0x3f317218, v6
	s_delay_alu instid0(VALU_DEP_1) | instskip(NEXT) | instid1(VALU_DEP_1)
	v_cndmask_b32_e32 v5, v6, v5, vcc_lo
	v_mul_f32_e32 v6, 0x4f800000, v5
	v_cmp_gt_f32_e32 vcc_lo, 0xf800000, v5
	s_delay_alu instid0(VALU_DEP_2) | instskip(NEXT) | instid1(VALU_DEP_1)
	v_cndmask_b32_e32 v5, v5, v6, vcc_lo
	v_sqrt_f32_e32 v6, v5
	s_waitcnt_depctr 0xfff
	v_add_nc_u32_e32 v7, -1, v6
	v_add_nc_u32_e32 v8, 1, v6
	s_delay_alu instid0(VALU_DEP_2) | instskip(NEXT) | instid1(VALU_DEP_2)
	v_fma_f32 v10, -v7, v6, v5
	v_fma_f32 v11, -v8, v6, v5
	s_delay_alu instid0(VALU_DEP_2) | instskip(NEXT) | instid1(VALU_DEP_1)
	v_cmp_ge_f32_e64 s2, 0, v10
	v_cndmask_b32_e64 v6, v6, v7, s2
	s_delay_alu instid0(VALU_DEP_3) | instskip(NEXT) | instid1(VALU_DEP_1)
	v_cmp_lt_f32_e64 s2, 0, v11
	v_cndmask_b32_e64 v6, v6, v8, s2
	s_delay_alu instid0(VALU_DEP_1) | instskip(NEXT) | instid1(VALU_DEP_1)
	v_mul_f32_e32 v7, 0x37800000, v6
	v_cndmask_b32_e32 v6, v6, v7, vcc_lo
	v_cmp_class_f32_e64 vcc_lo, v5, 0x260
	s_delay_alu instid0(VALU_DEP_2) | instskip(SKIP_1) | instid1(VALU_DEP_2)
	v_cndmask_b32_e32 v10, v6, v5, vcc_lo
	v_cmp_ne_u32_e32 vcc_lo, 1, v4
	v_mov_b32_e32 v26, v10
	s_cbranch_vccnz .LBB264_6
; %bb.5:
	global_load_u16 v5, v3, s[6:7] offset:128
	s_waitcnt vmcnt(0)
	v_cvt_f32_f16_e32 v5, v5
	s_delay_alu instid0(VALU_DEP_1)
	v_add_f32_e32 v26, v10, v5
.LBB264_6:
	global_load_u16 v5, v[1:2], off offset:192
	s_waitcnt vmcnt(0)
	v_lshlrev_b32_e32 v5, 16, v5
	s_delay_alu instid0(VALU_DEP_1) | instskip(NEXT) | instid1(VALU_DEP_1)
	v_mul_f32_e32 v6, 0x3fb8aa3b, v5
	v_cmp_gt_f32_e32 vcc_lo, 0xc2fc0000, v6
	v_cndmask_b32_e64 v6, 0, 0x42800000, vcc_lo
	v_cndmask_b32_e64 v7, 1.0, 0x1f800000, vcc_lo
	s_delay_alu instid0(VALU_DEP_2) | instskip(NEXT) | instid1(VALU_DEP_1)
	v_fmac_f32_e32 v6, 0x3fb8aa3b, v5
	v_exp_f32_e32 v6, v6
	s_waitcnt_depctr 0xfff
	v_fma_f32 v6, v6, v7, 1.0
	s_delay_alu instid0(VALU_DEP_1) | instskip(SKIP_1) | instid1(VALU_DEP_1)
	v_cmp_gt_f32_e32 vcc_lo, 0x800000, v6
	v_cndmask_b32_e64 v7, 1.0, 0x4f800000, vcc_lo
	v_mul_f32_e32 v6, v6, v7
	v_cndmask_b32_e64 v7, 0, 0x42000000, vcc_lo
	v_cmp_lt_f32_e32 vcc_lo, 0x41a00000, v5
	s_delay_alu instid0(VALU_DEP_3) | instskip(SKIP_2) | instid1(VALU_DEP_1)
	v_log_f32_e32 v6, v6
	s_waitcnt_depctr 0xfff
	v_sub_f32_e32 v6, v6, v7
	v_mul_f32_e32 v6, 0x3f317218, v6
	s_delay_alu instid0(VALU_DEP_1) | instskip(NEXT) | instid1(VALU_DEP_1)
	v_cndmask_b32_e32 v5, v6, v5, vcc_lo
	v_mul_f32_e32 v6, 0x4f800000, v5
	v_cmp_gt_f32_e32 vcc_lo, 0xf800000, v5
	s_delay_alu instid0(VALU_DEP_2) | instskip(NEXT) | instid1(VALU_DEP_1)
	v_cndmask_b32_e32 v5, v5, v6, vcc_lo
	v_sqrt_f32_e32 v6, v5
	s_waitcnt_depctr 0xfff
	v_add_nc_u32_e32 v7, -1, v6
	v_add_nc_u32_e32 v8, 1, v6
	s_delay_alu instid0(VALU_DEP_2) | instskip(NEXT) | instid1(VALU_DEP_2)
	v_fma_f32 v11, -v7, v6, v5
	v_fma_f32 v12, -v8, v6, v5
	s_delay_alu instid0(VALU_DEP_2) | instskip(NEXT) | instid1(VALU_DEP_1)
	v_cmp_ge_f32_e64 s2, 0, v11
	v_cndmask_b32_e64 v6, v6, v7, s2
	s_delay_alu instid0(VALU_DEP_3) | instskip(NEXT) | instid1(VALU_DEP_1)
	v_cmp_lt_f32_e64 s2, 0, v12
	v_cndmask_b32_e64 v6, v6, v8, s2
	s_delay_alu instid0(VALU_DEP_1) | instskip(NEXT) | instid1(VALU_DEP_1)
	v_mul_f32_e32 v7, 0x37800000, v6
	v_cndmask_b32_e32 v6, v6, v7, vcc_lo
	v_cmp_class_f32_e64 vcc_lo, v5, 0x260
	s_delay_alu instid0(VALU_DEP_2) | instskip(SKIP_1) | instid1(VALU_DEP_2)
	v_cndmask_b32_e32 v11, v6, v5, vcc_lo
	v_cmp_ne_u32_e32 vcc_lo, 1, v4
	;; [unrolled: 59-line block ×5, first 2 shown]
	v_mov_b32_e32 v30, v14
	s_cbranch_vccnz .LBB264_14
; %bb.13:
	global_load_u16 v5, v3, s[6:7] offset:384
	s_waitcnt vmcnt(0)
	v_cvt_f32_f16_e32 v5, v5
	s_delay_alu instid0(VALU_DEP_1)
	v_add_f32_e32 v30, v14, v5
.LBB264_14:
	global_load_u16 v1, v[1:2], off offset:448
	s_waitcnt vmcnt(0)
	v_lshlrev_b32_e32 v1, 16, v1
	s_delay_alu instid0(VALU_DEP_1) | instskip(NEXT) | instid1(VALU_DEP_1)
	v_mul_f32_e32 v2, 0x3fb8aa3b, v1
	v_cmp_gt_f32_e32 vcc_lo, 0xc2fc0000, v2
	v_cndmask_b32_e64 v2, 0, 0x42800000, vcc_lo
	v_cndmask_b32_e64 v5, 1.0, 0x1f800000, vcc_lo
	s_delay_alu instid0(VALU_DEP_2) | instskip(NEXT) | instid1(VALU_DEP_1)
	v_fmac_f32_e32 v2, 0x3fb8aa3b, v1
	v_exp_f32_e32 v2, v2
	s_waitcnt_depctr 0xfff
	v_fma_f32 v2, v2, v5, 1.0
	s_delay_alu instid0(VALU_DEP_1) | instskip(SKIP_1) | instid1(VALU_DEP_1)
	v_cmp_gt_f32_e32 vcc_lo, 0x800000, v2
	v_cndmask_b32_e64 v5, 1.0, 0x4f800000, vcc_lo
	v_mul_f32_e32 v2, v2, v5
	v_cndmask_b32_e64 v5, 0, 0x42000000, vcc_lo
	s_delay_alu instid0(VALU_DEP_2) | instskip(SKIP_2) | instid1(VALU_DEP_1)
	v_log_f32_e32 v2, v2
	s_waitcnt_depctr 0xfff
	v_sub_f32_e32 v2, v2, v5
	v_mul_f32_e32 v2, 0x3f317218, v2
	v_cmp_lt_f32_e32 vcc_lo, 0x41a00000, v1
	s_delay_alu instid0(VALU_DEP_2) | instskip(NEXT) | instid1(VALU_DEP_1)
	v_cndmask_b32_e32 v1, v2, v1, vcc_lo
	v_mul_f32_e32 v2, 0x4f800000, v1
	v_cmp_gt_f32_e32 vcc_lo, 0xf800000, v1
	s_delay_alu instid0(VALU_DEP_2) | instskip(NEXT) | instid1(VALU_DEP_1)
	v_cndmask_b32_e32 v1, v1, v2, vcc_lo
	v_sqrt_f32_e32 v2, v1
	s_waitcnt_depctr 0xfff
	v_add_nc_u32_e32 v5, -1, v2
	v_add_nc_u32_e32 v6, 1, v2
	s_delay_alu instid0(VALU_DEP_2) | instskip(NEXT) | instid1(VALU_DEP_2)
	v_fma_f32 v7, -v5, v2, v1
	v_fma_f32 v8, -v6, v2, v1
	s_delay_alu instid0(VALU_DEP_2) | instskip(NEXT) | instid1(VALU_DEP_1)
	v_cmp_ge_f32_e64 s2, 0, v7
	v_cndmask_b32_e64 v2, v2, v5, s2
	s_delay_alu instid0(VALU_DEP_3) | instskip(NEXT) | instid1(VALU_DEP_1)
	v_cmp_lt_f32_e64 s2, 0, v8
	v_cndmask_b32_e64 v2, v2, v6, s2
	s_delay_alu instid0(VALU_DEP_1) | instskip(NEXT) | instid1(VALU_DEP_1)
	v_mul_f32_e32 v5, 0x37800000, v2
	v_cndmask_b32_e32 v2, v2, v5, vcc_lo
	v_cmp_class_f32_e64 vcc_lo, v1, 0x260
	s_delay_alu instid0(VALU_DEP_2)
	v_cndmask_b32_e32 v15, v2, v1, vcc_lo
	v_cmp_ne_u32_e32 vcc_lo, 1, v4
	s_cbranch_vccnz .LBB264_16
; %bb.15:
	global_load_u16 v1, v3, s[6:7] offset:448
	s_waitcnt vmcnt(0)
	v_cvt_f32_f16_e32 v1, v1
	s_delay_alu instid0(VALU_DEP_1)
	v_add_f32_e32 v31, v15, v1
	s_branch .LBB264_17
.LBB264_16:
	s_delay_alu instid0(VALU_DEP_2)
	v_mov_b32_e32 v31, v15
.LBB264_17:
	v_add_nc_u32_e32 v7, 0xe0, v0
	v_dual_mov_b32 v16, v24 :: v_dual_add_nc_u32 v1, 32, v0
	v_dual_mov_b32 v17, v25 :: v_dual_add_nc_u32 v2, 64, v0
	;; [unrolled: 1-line block ×6, first 2 shown]
	v_dual_mov_b32 v22, v30 :: v_dual_mov_b32 v39, v7
	s_delay_alu instid0(VALU_DEP_2)
	v_dual_mov_b32 v47, v7 :: v_dual_mov_b32 v46, v6
	v_dual_mov_b32 v71, v7 :: v_dual_mov_b32 v70, v6
	;; [unrolled: 1-line block ×16, first 2 shown]
	v_mov_b32_e32 v8, v56
	s_mov_b32 s2, exec_lo
	v_cmpx_lt_f32_e32 v24, v25
	s_xor_b32 s2, exec_lo, s2
	s_cbranch_execz .LBB264_19
; %bb.18:
	v_dual_mov_b32 v38, v6 :: v_dual_mov_b32 v39, v7
	v_dual_mov_b32 v32, v1 :: v_dual_mov_b32 v33, v0
	;; [unrolled: 1-line block ×4, first 2 shown]
	s_delay_alu instid0(VALU_DEP_4)
	v_dual_mov_b32 v47, v39 :: v_dual_mov_b32 v46, v38
	v_dual_mov_b32 v71, v39 :: v_dual_mov_b32 v70, v38
	;; [unrolled: 1-line block ×17, first 2 shown]
	v_mov_b32_e32 v9, v56
	v_mov_b32_e32 v1, v0
.LBB264_19:
	s_or_b32 exec_lo, exec_lo, s2
	v_dual_mov_b32 v63, v15 :: v_dual_mov_b32 v62, v14
	v_dual_mov_b32 v79, v15 :: v_dual_mov_b32 v78, v14
	;; [unrolled: 1-line block ×16, first 2 shown]
	v_mov_b32_e32 v24, v18
	s_mov_b32 s2, exec_lo
	v_cmpx_lt_f32_e32 v25, v18
	s_cbranch_execz .LBB264_21
; %bb.20:
	v_dual_mov_b32 v55, v39 :: v_dual_mov_b32 v54, v38
	v_dual_mov_b32 v51, v35 :: v_dual_mov_b32 v50, v34
	;; [unrolled: 1-line block ×16, first 2 shown]
	v_mov_b32_e32 v83, v11
	v_dual_mov_b32 v85, v93 :: v_dual_mov_b32 v86, v94
	v_dual_mov_b32 v87, v95 :: v_dual_mov_b32 v40, v64
	v_dual_mov_b32 v81, v89 :: v_dual_mov_b32 v82, v90
	v_mov_b32_e32 v42, v66
	v_dual_mov_b32 v17, v18 :: v_dual_mov_b32 v72, v80
	v_dual_mov_b32 v41, v65 :: v_dual_mov_b32 v44, v68
	;; [unrolled: 1-line block ×10, first 2 shown]
	s_delay_alu instid0(VALU_DEP_2)
	v_dual_mov_b32 v56, v72 :: v_dual_mov_b32 v57, v73
	v_dual_mov_b32 v36, v44 :: v_dual_mov_b32 v37, v45
	;; [unrolled: 1-line block ×11, first 2 shown]
	v_mov_b32_e32 v2, v1
.LBB264_21:
	s_or_b32 exec_lo, exec_lo, s2
	v_mov_b32_e32 v1, v19
	s_mov_b32 s2, exec_lo
	v_cmpx_lt_f32_e32 v24, v19
	s_cbranch_execz .LBB264_23
; %bb.22:
	v_mov_b32_e32 v90, v11
	v_mov_b32_e32 v50, v3
	v_dual_mov_b32 v80, v88 :: v_dual_mov_b32 v81, v89
	v_dual_mov_b32 v71, v55 :: v_dual_mov_b32 v70, v54
	;; [unrolled: 1-line block ×3, first 2 shown]
	s_delay_alu instid0(VALU_DEP_4)
	v_dual_mov_b32 v83, v91 :: v_dual_mov_b32 v66, v50
	v_dual_mov_b32 v65, v49 :: v_dual_mov_b32 v68, v52
	;; [unrolled: 1-line block ×3, first 2 shown]
	v_mov_b32_e32 v67, v2
	v_dual_mov_b32 v82, v90 :: v_dual_mov_b32 v87, v95
	v_dual_mov_b32 v85, v93 :: v_dual_mov_b32 v86, v94
	;; [unrolled: 1-line block ×11, first 2 shown]
	v_mov_b32_e32 v44, v4
	v_dual_mov_b32 v56, v72 :: v_dual_mov_b32 v57, v73
	v_dual_mov_b32 v32, v40 :: v_dual_mov_b32 v35, v43
	v_dual_mov_b32 v33, v41 :: v_dual_mov_b32 v34, v42
	s_delay_alu instid0(VALU_DEP_4)
	v_dual_mov_b32 v37, v45 :: v_dual_mov_b32 v36, v44
	v_dual_mov_b32 v39, v47 :: v_dual_mov_b32 v38, v46
	;; [unrolled: 1-line block ×3, first 2 shown]
	v_mov_b32_e32 v63, v79
	v_dual_mov_b32 v61, v77 :: v_dual_mov_b32 v62, v78
	v_mov_b32_e32 v39, v7
	v_dual_mov_b32 v18, v19 :: v_dual_mov_b32 v19, v24
	v_dual_mov_b32 v60, v76 :: v_dual_mov_b32 v37, v5
	;; [unrolled: 1-line block ×4, first 2 shown]
	v_mov_b32_e32 v1, v24
	v_mov_b32_e32 v11, v10
	;; [unrolled: 1-line block ×3, first 2 shown]
.LBB264_23:
	s_or_b32 exec_lo, exec_lo, s2
	v_mov_b32_e32 v2, v20
	s_mov_b32 s2, exec_lo
	v_cmpx_lt_f32_e32 v1, v20
	s_cbranch_execz .LBB264_25
; %bb.24:
	v_mov_b32_e32 v91, v12
	v_mov_b32_e32 v51, v4
	;; [unrolled: 1-line block ×4, first 2 shown]
	v_dual_mov_b32 v40, v48 :: v_dual_mov_b32 v41, v49
	v_dual_mov_b32 v42, v50 :: v_dual_mov_b32 v47, v55
	v_dual_mov_b32 v76, v92 :: v_dual_mov_b32 v43, v51
	v_dual_mov_b32 v44, v52 :: v_dual_mov_b32 v77, v93
	v_mov_b32_e32 v44, v3
	v_dual_mov_b32 v76, v11 :: v_dual_mov_b32 v19, v20
	v_dual_mov_b32 v45, v53 :: v_dual_mov_b32 v46, v54
	;; [unrolled: 1-line block ×4, first 2 shown]
	v_mov_b32_e32 v73, v89
	v_mov_b32_e32 v56, v72
	v_dual_mov_b32 v32, v40 :: v_dual_mov_b32 v33, v41
	v_dual_mov_b32 v60, v76 :: v_dual_mov_b32 v61, v77
	;; [unrolled: 1-line block ×9, first 2 shown]
	v_mov_b32_e32 v59, v75
	v_dual_mov_b32 v37, v5 :: v_dual_mov_b32 v38, v6
	v_dual_mov_b32 v39, v7 :: v_dual_mov_b32 v62, v14
	v_dual_mov_b32 v63, v15 :: v_dual_mov_b32 v82, v90
	v_dual_mov_b32 v81, v89 :: v_dual_mov_b32 v84, v92
	v_dual_mov_b32 v83, v91 :: v_dual_mov_b32 v86, v94
	v_dual_mov_b32 v85, v93 :: v_dual_mov_b32 v70, v54
	v_dual_mov_b32 v87, v95 :: v_dual_mov_b32 v68, v52
	v_dual_mov_b32 v69, v53 :: v_dual_mov_b32 v64, v48
	v_dual_mov_b32 v67, v51 :: v_dual_mov_b32 v2, v1
	v_dual_mov_b32 v65, v49 :: v_dual_mov_b32 v12, v11
	v_mov_b32_e32 v4, v3
.LBB264_25:
	s_or_b32 exec_lo, exec_lo, s2
	v_mov_b32_e32 v1, v21
	s_mov_b32 s2, exec_lo
	v_cmpx_lt_f32_e32 v2, v21
	s_cbranch_execz .LBB264_27
; %bb.26:
	v_mov_b32_e32 v68, v5
	v_dual_mov_b32 v20, v21 :: v_dual_mov_b32 v21, v2
	v_mov_b32_e32 v84, v13
	v_dual_mov_b32 v32, v64 :: v_dual_mov_b32 v33, v65
	v_dual_mov_b32 v39, v71 :: v_dual_mov_b32 v56, v80
	;; [unrolled: 1-line block ×7, first 2 shown]
	v_mov_b32_e32 v61, v12
	v_dual_mov_b32 v72, v80 :: v_dual_mov_b32 v73, v81
	v_dual_mov_b32 v40, v64 :: v_dual_mov_b32 v41, v65
	;; [unrolled: 1-line block ×9, first 2 shown]
	v_mov_b32_e32 v45, v69
	v_mov_b32_e32 v1, v2
	;; [unrolled: 1-line block ×3, first 2 shown]
	v_dual_mov_b32 v5, v4 :: v_dual_mov_b32 v78, v86
	v_dual_mov_b32 v79, v87 :: v_dual_mov_b32 v46, v70
	v_mov_b32_e32 v47, v71
.LBB264_27:
	s_or_b32 exec_lo, exec_lo, s2
	v_mov_b32_e32 v2, v22
	s_mov_b32 s2, exec_lo
	v_cmpx_lt_f32_e32 v1, v22
	s_cbranch_execz .LBB264_29
; %bb.28:
	v_dual_mov_b32 v77, v14 :: v_dual_mov_b32 v78, v13
	v_dual_mov_b32 v45, v6 :: v_dual_mov_b32 v46, v5
	v_mov_b32_e32 v79, v15
	v_dual_mov_b32 v21, v22 :: v_dual_mov_b32 v22, v1
	v_dual_mov_b32 v47, v7 :: v_dual_mov_b32 v56, v72
	;; [unrolled: 1-line block ×10, first 2 shown]
.LBB264_29:
	s_or_b32 exec_lo, exec_lo, s2
	s_delay_alu instid0(VALU_DEP_1)
	v_cmp_lt_f32_e32 vcc_lo, v2, v23
	v_mov_b32_e32 v43, v59
	v_cmp_lt_f32_e64 s2, v16, v17
	v_dual_mov_b32 v41, v57 :: v_dual_mov_b32 v42, v58
	v_dual_cndmask_b32 v9, v23, v2 :: v_dual_mov_b32 v44, v60
	v_dual_cndmask_b32 v22, v22, v23 :: v_dual_cndmask_b32 v47, v63, v62
	s_delay_alu instid0(VALU_DEP_2)
	v_dual_mov_b32 v40, v56 :: v_dual_mov_b32 v23, v9
	v_dual_cndmask_b32 v46, v62, v63 :: v_dual_mov_b32 v1, v16
	v_dual_mov_b32 v4, v19 :: v_dual_mov_b32 v45, v61
	v_dual_cndmask_b32 v54, v38, v39 :: v_dual_cndmask_b32 v55, v39, v38
	v_dual_mov_b32 v2, v17 :: v_dual_mov_b32 v3, v18
	v_dual_mov_b32 v6, v21 :: v_dual_mov_b32 v5, v20
	;; [unrolled: 1-line block ×6, first 2 shown]
	s_and_saveexec_b32 s3, s2
	s_delay_alu instid0(SALU_CYCLE_1)
	s_xor_b32 s2, exec_lo, s3
	s_cbranch_execz .LBB264_31
; %bb.30:
	v_dual_mov_b32 v2, v17 :: v_dual_mov_b32 v3, v16
	v_dual_mov_b32 v4, v18 :: v_dual_mov_b32 v5, v19
	v_dual_mov_b32 v6, v20 :: v_dual_mov_b32 v7, v21
	v_dual_mov_b32 v8, v22 :: v_dual_mov_b32 v17, v16
	s_delay_alu instid0(VALU_DEP_4)
	v_dual_mov_b32 v1, v2 :: v_dual_mov_b32 v40, v57
	v_dual_mov_b32 v2, v3 :: v_dual_mov_b32 v41, v56
	;; [unrolled: 1-line block ×10, first 2 shown]
.LBB264_31:
	s_or_b32 exec_lo, exec_lo, s2
	v_dual_mov_b32 v26, v40 :: v_dual_mov_b32 v27, v41
	v_dual_mov_b32 v79, v47 :: v_dual_mov_b32 v78, v46
	;; [unrolled: 1-line block ×22, first 2 shown]
	v_mov_b32_e32 v34, v3
	s_mov_b32 s2, exec_lo
	v_dual_mov_b32 v77, v45 :: v_dual_mov_b32 v76, v44
	v_dual_mov_b32 v69, v53 :: v_dual_mov_b32 v68, v52
	v_cmpx_lt_f32_e32 v17, v3
	s_cbranch_execz .LBB264_33
; %bb.32:
	v_dual_mov_b32 v9, v48 :: v_dual_mov_b32 v10, v49
	v_dual_mov_b32 v15, v54 :: v_dual_mov_b32 v16, v55
	v_mov_b32_e32 v10, v50
	v_dual_mov_b32 v11, v50 :: v_dual_mov_b32 v12, v51
	v_dual_mov_b32 v13, v52 :: v_dual_mov_b32 v14, v53
	;; [unrolled: 1-line block ×3, first 2 shown]
	v_mov_b32_e32 v11, v49
	v_dual_mov_b32 v59, v43 :: v_dual_mov_b32 v58, v42
	v_dual_mov_b32 v57, v41 :: v_dual_mov_b32 v56, v40
	v_dual_mov_b32 v61, v45 :: v_dual_mov_b32 v60, v44
	v_dual_mov_b32 v57, v42 :: v_dual_mov_b32 v58, v41
	v_dual_mov_b32 v71, v16 :: v_dual_mov_b32 v70, v15
	v_dual_mov_b32 v65, v10 :: v_dual_mov_b32 v64, v9
	v_dual_mov_b32 v69, v14 :: v_dual_mov_b32 v68, v13
	v_dual_mov_b32 v79, v63 :: v_dual_mov_b32 v76, v60
	v_dual_mov_b32 v67, v12 :: v_dual_mov_b32 v66, v11
	v_dual_mov_b32 v75, v59 :: v_dual_mov_b32 v72, v56
	v_dual_mov_b32 v67, v51 :: v_dual_mov_b32 v78, v62
	v_dual_mov_b32 v77, v61 :: v_dual_mov_b32 v74, v58
	v_dual_mov_b32 v73, v57 :: v_dual_mov_b32 v18, v64
	v_dual_mov_b32 v75, v43 :: v_dual_mov_b32 v20, v66
	v_mov_b32_e32 v23, v69
	v_dual_mov_b32 v23, v53 :: v_dual_mov_b32 v26, v72
	v_dual_mov_b32 v19, v65 :: v_dual_mov_b32 v22, v68
	v_dual_mov_b32 v21, v67 :: v_dual_mov_b32 v24, v70
	v_dual_mov_b32 v25, v71 :: v_dual_mov_b32 v24, v54
	v_dual_mov_b32 v27, v73 :: v_dual_mov_b32 v30, v76
	v_dual_mov_b32 v29, v75 :: v_dual_mov_b32 v32, v78
	v_dual_mov_b32 v31, v77 :: v_dual_mov_b32 v30, v44
	v_dual_mov_b32 v33, v79 :: v_dual_mov_b32 v32, v46
	v_dual_mov_b32 v2, v3 :: v_dual_mov_b32 v3, v17
	v_dual_mov_b32 v22, v52 :: v_dual_mov_b32 v25, v55
	v_dual_mov_b32 v28, v74 :: v_dual_mov_b32 v31, v45
	v_dual_mov_b32 v33, v47 :: v_dual_mov_b32 v34, v17
	v_mov_b32_e32 v42, v41
	v_mov_b32_e32 v50, v49
.LBB264_33:
	s_or_b32 exec_lo, exec_lo, s2
	v_mov_b32_e32 v17, v4
	s_mov_b32 s2, exec_lo
	v_cmpx_lt_f32_e32 v34, v4
	s_cbranch_execz .LBB264_35
; %bb.34:
	v_mov_b32_e32 v11, v51
	v_dual_mov_b32 v3, v4 :: v_dual_mov_b32 v4, v34
	v_dual_mov_b32 v58, v43 :: v_dual_mov_b32 v71, v16
	v_mov_b32_e32 v64, v9
	v_dual_mov_b32 v70, v15 :: v_dual_mov_b32 v69, v14
	v_dual_mov_b32 v79, v63 :: v_dual_mov_b32 v76, v60
	;; [unrolled: 1-line block ×5, first 2 shown]
	v_mov_b32_e32 v67, v50
	v_dual_mov_b32 v78, v62 :: v_dual_mov_b32 v77, v61
	v_dual_mov_b32 v74, v58 :: v_dual_mov_b32 v73, v57
	;; [unrolled: 1-line block ×14, first 2 shown]
	v_mov_b32_e32 v33, v47
	v_mov_b32_e32 v17, v34
	;; [unrolled: 1-line block ×4, first 2 shown]
.LBB264_35:
	s_or_b32 exec_lo, exec_lo, s2
	v_mov_b32_e32 v12, v5
	s_mov_b32 s2, exec_lo
	v_cmpx_lt_f32_e32 v17, v5
	s_cbranch_execz .LBB264_37
; %bb.36:
	v_mov_b32_e32 v12, v52
	v_dual_mov_b32 v4, v5 :: v_dual_mov_b32 v59, v44
	v_mov_b32_e32 v5, v17
	v_dual_mov_b32 v25, v16 :: v_dual_mov_b32 v24, v15
	v_dual_mov_b32 v26, v56 :: v_dual_mov_b32 v27, v57
	;; [unrolled: 1-line block ×19, first 2 shown]
	v_mov_b32_e32 v12, v17
	v_mov_b32_e32 v44, v43
	v_dual_mov_b32 v52, v51 :: v_dual_mov_b32 v77, v61
	v_mov_b32_e32 v76, v60
.LBB264_37:
	s_or_b32 exec_lo, exec_lo, s2
	v_mov_b32_e32 v9, v6
	s_mov_b32 s2, exec_lo
	v_cmpx_lt_f32_e32 v12, v6
	s_cbranch_execz .LBB264_39
; %bb.38:
	v_dual_mov_b32 v68, v53 :: v_dual_mov_b32 v69, v52
	v_dual_mov_b32 v70, v54 :: v_dual_mov_b32 v77, v44
	;; [unrolled: 1-line block ×13, first 2 shown]
	v_mov_b32_e32 v9, v12
.LBB264_39:
	s_or_b32 exec_lo, exec_lo, s2
	s_delay_alu instid0(VALU_DEP_1)
	v_cmp_lt_f32_e32 vcc_lo, v9, v7
	v_mov_b32_e32 v11, v3
	v_mov_b32_e32 v13, v5
	s_mov_b32 s2, exec_lo
	v_dual_mov_b32 v10, v2 :: v_dual_cndmask_b32 v17, v32, v31
	v_dual_cndmask_b32 v31, v31, v32 :: v_dual_cndmask_b32 v66, v24, v23
	v_dual_cndmask_b32 v23, v23, v24 :: v_dual_cndmask_b32 v14, v6, v7
	v_dual_cndmask_b32 v15, v7, v9 :: v_dual_mov_b32 v12, v4
	v_dual_mov_b32 v9, v1 :: v_dual_mov_b32 v16, v8
	v_cmpx_lt_f32_e32 v1, v2
	s_cbranch_execz .LBB264_41
; %bb.40:
	s_delay_alu instid0(VALU_DEP_2) | instskip(NEXT) | instid1(VALU_DEP_3)
	v_dual_mov_b32 v2, v10 :: v_dual_mov_b32 v3, v9
	v_dual_mov_b32 v8, v15 :: v_dual_mov_b32 v9, v16
	v_dual_mov_b32 v4, v11 :: v_dual_mov_b32 v5, v12
	v_dual_mov_b32 v6, v13 :: v_dual_mov_b32 v7, v14
	s_delay_alu instid0(VALU_DEP_3) | instskip(NEXT) | instid1(VALU_DEP_4)
	v_mov_b32_e32 v16, v9
	v_dual_mov_b32 v24, v26 :: v_dual_mov_b32 v15, v8
	s_delay_alu instid0(VALU_DEP_4)
	v_dual_mov_b32 v32, v18 :: v_dual_mov_b32 v11, v4
	v_swap_b32 v26, v27
	v_swap_b32 v18, v19
	v_dual_mov_b32 v14, v7 :: v_dual_mov_b32 v13, v6
	v_mov_b32_e32 v12, v5
	v_dual_mov_b32 v10, v3 :: v_dual_mov_b32 v9, v2
	v_mov_b32_e32 v2, v1
.LBB264_41:
	s_or_b32 exec_lo, exec_lo, s2
	v_mov_b32_e32 v24, v66
	v_mov_b32_e32 v32, v17
	;; [unrolled: 1-line block ×4, first 2 shown]
	s_delay_alu instid0(VALU_DEP_4)
	v_dual_mov_b32 v41, v33 :: v_dual_mov_b32 v48, v24
	v_dual_mov_b32 v34, v26 :: v_dual_mov_b32 v65, v33
	;; [unrolled: 1-line block ×15, first 2 shown]
	v_mov_b32_e32 v50, v18
	s_mov_b32 s2, exec_lo
	v_cmpx_lt_f32_e32 v2, v11
	s_cbranch_execz .LBB264_43
; %bb.42:
	v_dual_mov_b32 v57, v25 :: v_dual_mov_b32 v56, v24
	v_dual_mov_b32 v53, v21 :: v_dual_mov_b32 v52, v20
	;; [unrolled: 1-line block ×7, first 2 shown]
	s_delay_alu instid0(VALU_DEP_4)
	v_dual_mov_b32 v42, v50 :: v_dual_mov_b32 v43, v51
	v_dual_mov_b32 v63, v31 :: v_dual_mov_b32 v62, v30
	;; [unrolled: 1-line block ×18, first 2 shown]
	v_mov_b32_e32 v1, v2
.LBB264_43:
	s_or_b32 exec_lo, exec_lo, s2
	v_mov_b32_e32 v2, v12
	s_mov_b32 s2, exec_lo
	s_delay_alu instid0(VALU_DEP_2)
	v_cmpx_lt_f32_e32 v1, v12
	s_cbranch_execz .LBB264_45
; %bb.44:
	v_dual_mov_b32 v52, v21 :: v_dual_mov_b32 v11, v12
	v_mov_b32_e32 v60, v29
	v_dual_mov_b32 v42, v50 :: v_dual_mov_b32 v45, v53
	v_dual_mov_b32 v47, v55 :: v_dual_mov_b32 v34, v58
	s_delay_alu instid0(VALU_DEP_4)
	v_dual_mov_b32 v37, v61 :: v_dual_mov_b32 v44, v52
	v_dual_mov_b32 v49, v57 :: v_dual_mov_b32 v46, v54
	v_mov_b32_e32 v45, v20
	v_dual_mov_b32 v48, v56 :: v_dual_mov_b32 v47, v23
	v_dual_mov_b32 v36, v60 :: v_dual_mov_b32 v39, v63
	;; [unrolled: 1-line block ×9, first 2 shown]
	v_mov_b32_e32 v41, v33
	v_dual_mov_b32 v2, v1 :: v_dual_mov_b32 v21, v20
.LBB264_45:
	s_or_b32 exec_lo, exec_lo, s2
	v_mov_b32_e32 v1, v13
	s_mov_b32 s2, exec_lo
	s_delay_alu instid0(VALU_DEP_2)
	v_cmpx_lt_f32_e32 v2, v13
	s_cbranch_execz .LBB264_47
; %bb.46:
	v_dual_mov_b32 v53, v22 :: v_dual_mov_b32 v54, v21
	v_dual_mov_b32 v55, v23 :: v_dual_mov_b32 v56, v66
	;; [unrolled: 1-line block ×4, first 2 shown]
	v_mov_b32_e32 v57, v25
	v_dual_mov_b32 v65, v33 :: v_dual_mov_b32 v42, v50
	v_mov_b32_e32 v34, v58
	v_dual_mov_b32 v12, v13 :: v_dual_mov_b32 v13, v2
	v_dual_mov_b32 v35, v59 :: v_dual_mov_b32 v36, v60
	;; [unrolled: 1-line block ×7, first 2 shown]
	v_mov_b32_e32 v47, v55
	v_mov_b32_e32 v49, v57
	;; [unrolled: 1-line block ×3, first 2 shown]
.LBB264_47:
	s_or_b32 exec_lo, exec_lo, s2
	s_delay_alu instid0(VALU_DEP_1)
	v_cmp_lt_f32_e32 vcc_lo, v1, v14
	v_dual_mov_b32 v20, v10 :: v_dual_mov_b32 v25, v15
	v_mov_b32_e32 v22, v12
	v_dual_mov_b32 v26, v16 :: v_dual_cndmask_b32 v27, v39, v38
	v_cndmask_b32_e32 v38, v38, v39, vcc_lo
	v_dual_cndmask_b32 v28, v47, v46 :: v_dual_mov_b32 v19, v9
	v_dual_cndmask_b32 v46, v46, v47 :: v_dual_cndmask_b32 v23, v13, v14
	v_dual_cndmask_b32 v24, v14, v1 :: v_dual_mov_b32 v21, v11
	s_mov_b32 s2, exec_lo
	v_cmpx_lt_f32_e32 v9, v10
	s_cbranch_execz .LBB264_49
; %bb.48:
	v_dual_mov_b32 v7, v25 :: v_dual_mov_b32 v8, v26
	v_dual_mov_b32 v1, v20 :: v_dual_mov_b32 v2, v19
	;; [unrolled: 1-line block ×4, first 2 shown]
	s_delay_alu instid0(VALU_DEP_4)
	v_dual_mov_b32 v11, v34 :: v_dual_mov_b32 v26, v8
	v_dual_mov_b32 v12, v42 :: v_dual_mov_b32 v25, v7
	v_swap_b32 v34, v35
	v_swap_b32 v42, v43
	v_dual_mov_b32 v24, v6 :: v_dual_mov_b32 v23, v5
	v_dual_mov_b32 v22, v4 :: v_dual_mov_b32 v21, v3
	;; [unrolled: 1-line block ×3, first 2 shown]
	v_mov_b32_e32 v10, v9
.LBB264_49:
	s_or_b32 exec_lo, exec_lo, s2
	v_mov_b32_e32 v47, v28
	v_mov_b32_e32 v39, v27
	v_dual_mov_b32 v1, v42 :: v_dual_mov_b32 v4, v45
	v_dual_mov_b32 v11, v34 :: v_dual_mov_b32 v14, v37
	;; [unrolled: 1-line block ×3, first 2 shown]
	s_delay_alu instid0(VALU_DEP_4)
	v_dual_mov_b32 v16, v39 :: v_dual_mov_b32 v15, v38
	v_dual_mov_b32 v18, v41 :: v_dual_mov_b32 v17, v40
	;; [unrolled: 1-line block ×5, first 2 shown]
	v_mov_b32_e32 v9, v21
	s_mov_b32 s2, exec_lo
	v_cmpx_lt_f32_e32 v10, v21
	s_cbranch_execz .LBB264_51
; %bb.50:
	v_dual_mov_b32 v1, v42 :: v_dual_mov_b32 v2, v43
	v_dual_mov_b32 v5, v46 :: v_dual_mov_b32 v6, v47
	;; [unrolled: 1-line block ×16, first 2 shown]
	v_mov_b32_e32 v18, v41
	v_mov_b32_e32 v36, v35
	;; [unrolled: 1-line block ×3, first 2 shown]
.LBB264_51:
	s_or_b32 exec_lo, exec_lo, s2
	v_mov_b32_e32 v29, v22
	s_mov_b32 s2, exec_lo
	v_cmpx_lt_f32_e32 v9, v22
; %bb.52:
	v_dual_mov_b32 v21, v22 :: v_dual_mov_b32 v22, v9
	v_dual_mov_b32 v3, v45 :: v_dual_mov_b32 v4, v44
	;; [unrolled: 1-line block ×7, first 2 shown]
	v_mov_b32_e32 v29, v9
; %bb.53:
	s_or_b32 exec_lo, exec_lo, s2
	s_delay_alu instid0(VALU_DEP_1)
	v_cmp_lt_f32_e32 vcc_lo, v29, v23
	v_dual_mov_b32 v28, v20 :: v_dual_mov_b32 v33, v25
	v_mov_b32_e32 v32, v24
	v_dual_mov_b32 v34, v26 :: v_dual_cndmask_b32 v9, v15, v14
	v_cndmask_b32_e32 v14, v14, v15, vcc_lo
	v_dual_cndmask_b32 v10, v5, v4 :: v_dual_cndmask_b32 v31, v23, v29
	v_dual_cndmask_b32 v4, v4, v5 :: v_dual_mov_b32 v27, v19
	v_dual_cndmask_b32 v30, v22, v23 :: v_dual_mov_b32 v29, v21
	s_mov_b32 s2, exec_lo
	v_cmpx_lt_f32_e32 v19, v20
	s_cbranch_execz .LBB264_55
; %bb.54:
	v_dual_mov_b32 v20, v28 :: v_dual_mov_b32 v21, v27
	v_dual_mov_b32 v26, v33 :: v_dual_mov_b32 v27, v34
	;; [unrolled: 1-line block ×4, first 2 shown]
	s_delay_alu instid0(VALU_DEP_3) | instskip(SKIP_2) | instid1(VALU_DEP_4)
	v_dual_mov_b32 v15, v1 :: v_dual_mov_b32 v34, v27
	v_mov_b32_e32 v5, v11
	v_swap_b32 v11, v12
	v_mov_b32_e32 v32, v25
	v_swap_b32 v1, v2
	v_dual_mov_b32 v33, v26 :: v_dual_mov_b32 v30, v23
	v_dual_mov_b32 v31, v24 :: v_dual_mov_b32 v28, v21
	v_mov_b32_e32 v29, v22
	v_dual_mov_b32 v27, v20 :: v_dual_mov_b32 v20, v19
.LBB264_55:
	s_or_b32 exec_lo, exec_lo, s2
	v_mov_b32_e32 v5, v10
	v_mov_b32_e32 v15, v9
	;; [unrolled: 1-line block ×3, first 2 shown]
	s_mov_b32 s2, exec_lo
	v_cmpx_lt_f32_e32 v20, v29
	s_cbranch_execz .LBB264_57
; %bb.56:
	v_dual_mov_b32 v50, v18 :: v_dual_mov_b32 v49, v17
	v_dual_mov_b32 v42, v8 :: v_dual_mov_b32 v41, v7
	;; [unrolled: 1-line block ×14, first 2 shown]
	v_mov_b32_e32 v50, v18
	v_dual_mov_b32 v28, v29 :: v_dual_mov_b32 v29, v20
	v_dual_mov_b32 v42, v8 :: v_dual_mov_b32 v11, v43
	;; [unrolled: 1-line block ×10, first 2 shown]
.LBB264_57:
	s_or_b32 exec_lo, exec_lo, s2
	s_delay_alu instid0(VALU_DEP_1) | instskip(NEXT) | instid1(VALU_DEP_3)
	v_cmp_lt_f32_e32 vcc_lo, v19, v30
	v_dual_mov_b32 v20, v5 :: v_dual_mov_b32 v21, v6
	s_delay_alu instid0(VALU_DEP_3)
	v_dual_mov_b32 v22, v7 :: v_dual_mov_b32 v23, v8
	v_dual_cndmask_b32 v9, v14, v13 :: v_dual_cndmask_b32 v10, v4, v3
	v_dual_cndmask_b32 v35, v13, v14 :: v_dual_cndmask_b32 v36, v3, v4
	;; [unrolled: 1-line block ×3, first 2 shown]
	v_dual_mov_b32 v4, v15 :: v_dual_mov_b32 v13, v16
	v_dual_mov_b32 v14, v17 :: v_dual_mov_b32 v19, v18
	;; [unrolled: 1-line block ×4, first 2 shown]
	v_mov_b32_e32 v29, v34
	s_mov_b32 s2, exec_lo
	v_cmpx_lt_f32_e32 v27, v28
	s_cbranch_execz .LBB264_59
; %bb.58:
	v_dual_mov_b32 v24, v28 :: v_dual_mov_b32 v19, v18
	v_dual_mov_b32 v4, v11 :: v_dual_mov_b32 v13, v16
	;; [unrolled: 1-line block ×3, first 2 shown]
	v_swap_b32 v11, v12
	v_swap_b32 v1, v2
	v_dual_mov_b32 v28, v27 :: v_dual_mov_b32 v21, v6
	v_dual_mov_b32 v4, v15 :: v_dual_mov_b32 v23, v8
	;; [unrolled: 1-line block ×5, first 2 shown]
	v_mov_b32_e32 v24, v31
	v_mov_b32_e32 v26, v33
.LBB264_59:
	s_or_b32 exec_lo, exec_lo, s2
	s_clause 0x1
	s_load_b32 s8, s[0:1], 0x28
	s_load_b128 s[4:7], s[0:1], 0x10
	s_waitcnt lgkmcnt(0)
	s_cmp_lt_i32 s8, 1
	s_cbranch_scc1 .LBB264_65
; %bb.60:
	v_cmp_lt_f32_e32 vcc_lo, v28, v30
	v_mov_b32_e32 v7, 0
	s_mov_b32 s9, 0x76543210
	s_mov_b32 s10, s8
	v_mov_b32_e32 v6, 0
	v_dual_cndmask_b32 v8, v35, v12 :: v_dual_cndmask_b32 v17, v37, v30
	v_cndmask_b32_e32 v5, v36, v2, vcc_lo
	v_cndmask_b32_e32 v15, v2, v36, vcc_lo
	;; [unrolled: 1-line block ×4, first 2 shown]
	v_cmp_lt_f32_e64 s2, v27, v17
	s_delay_alu instid0(VALU_DEP_1)
	v_cndmask_b32_e64 v12, v15, v1, s2
	v_cndmask_b32_e64 v15, v1, v15, s2
	;; [unrolled: 1-line block ×6, first 2 shown]
	v_mov_b32_e32 v27, v0
	v_mov_b32_e32 v1, 0
.LBB264_61:                             ; =>This Inner Loop Header: Depth=1
	v_cmp_eq_u32_e32 vcc_lo, 1, v7
	v_cmp_eq_u32_e64 s2, 2, v7
	v_cmp_gt_u32_e64 s3, 8, v7
	v_dual_cndmask_b32 v28, v17, v16 :: v_dual_cndmask_b32 v31, v11, v18
	v_cndmask_b32_e32 v30, v15, v12, vcc_lo
	v_cmp_eq_u32_e32 vcc_lo, 3, v7
	s_delay_alu instid0(VALU_DEP_3) | instskip(NEXT) | instid1(VALU_DEP_4)
	v_cndmask_b32_e64 v28, v28, v2, s2
	v_cndmask_b32_e64 v31, v31, v8, s2
	s_delay_alu instid0(VALU_DEP_4) | instskip(SKIP_1) | instid1(VALU_DEP_3)
	v_cndmask_b32_e64 v30, v30, v5, s2
	v_cmp_eq_u32_e64 s2, 4, v7
	v_dual_cndmask_b32 v28, v28, v3 :: v_dual_cndmask_b32 v31, v31, v9
	s_delay_alu instid0(VALU_DEP_1) | instskip(NEXT) | instid1(VALU_DEP_2)
	v_cndmask_b32_e64 v28, v28, v24, s2
	v_cndmask_b32_e64 v31, v31, v4, s2
	v_cndmask_b32_e32 v30, v30, v10, vcc_lo
	v_cmp_eq_u32_e32 vcc_lo, 5, v7
	s_delay_alu instid0(VALU_DEP_3) | instskip(SKIP_1) | instid1(VALU_DEP_4)
	v_cndmask_b32_e32 v31, v31, v13, vcc_lo
	v_cndmask_b32_e32 v28, v28, v25, vcc_lo
	v_cndmask_b32_e64 v30, v30, v20, s2
	v_cmp_eq_u32_e64 s2, 6, v7
	s_delay_alu instid0(VALU_DEP_2) | instskip(NEXT) | instid1(VALU_DEP_2)
	v_cndmask_b32_e32 v30, v30, v21, vcc_lo
	v_cndmask_b32_e64 v28, v28, v26, s2
	v_cmp_eq_u32_e32 vcc_lo, 7, v7
	v_cndmask_b32_e64 v31, v31, v14, s2
	s_delay_alu instid0(VALU_DEP_4) | instskip(NEXT) | instid1(VALU_DEP_4)
	v_cndmask_b32_e64 v30, v30, v22, s2
	v_cndmask_b32_e32 v28, v28, v29, vcc_lo
	s_delay_alu instid0(VALU_DEP_2) | instskip(NEXT) | instid1(VALU_DEP_2)
	v_cndmask_b32_e32 v30, v30, v23, vcc_lo
	v_cndmask_b32_e64 v28, 0xff800000, v28, s3
	;;#ASMSTART
	v_max_f32 v32, v28, v28 quad_perm:[1,0,3,2] row_mask:0xf bank_mask:0xf bound_ctrl:1
	;;#ASMEND
	;;#ASMSTART
	v_max_f32 v33, v32, v32 quad_perm:[2,3,0,1] row_mask:0xf bank_mask:0xf bound_ctrl:1
	;;#ASMEND
	;;#ASMSTART
	v_max_f32 v32, v33, v33 row_half_mirror row_mask:0xf bank_mask:0xf bound_ctrl:1
	;;#ASMEND
	;;#ASMSTART
	v_max_f32 v33, v32, v32 row_mirror row_mask:0xf bank_mask:0xf bound_ctrl:1
	;;#ASMEND
	v_permlanex16_b32 v32, v33, s9, 0xfedcba98 op_sel:[1,1]
	s_delay_alu instid0(VALU_DEP_1) | instskip(NEXT) | instid1(VALU_DEP_1)
	v_dual_max_f32 v33, v33, v33 :: v_dual_max_f32 v32, v32, v32
	v_max_f32_e32 v32, v33, v32
	s_delay_alu instid0(VALU_DEP_1) | instskip(SKIP_1) | instid1(VALU_DEP_2)
	v_cmp_eq_f32_e64 s2, v28, v32
	v_cndmask_b32_e64 v28, 0, v30, s3
	s_ctz_i32_b32 s11, s2
	s_cmp_lg_u32 s2, 0
	s_cselect_b32 s2, s11, 0
	s_add_i32 s10, s10, -1
	v_readlane_b32 s11, v28, s2
	v_cndmask_b32_e32 v28, v31, v19, vcc_lo
	s_delay_alu instid0(VALU_DEP_2)
	v_cmp_eq_u32_e32 vcc_lo, s11, v30
	s_and_b32 s2, s11, 31
	s_and_b32 vcc_lo, s3, vcc_lo
	s_cmp_eq_u32 s10, 0
	v_cndmask_b32_e32 v28, 0, v28, vcc_lo
	v_add_co_ci_u32_e32 v7, vcc_lo, 0, v7, vcc_lo
	s_delay_alu instid0(VALU_DEP_2) | instskip(SKIP_2) | instid1(VALU_DEP_2)
	v_readlane_b32 s3, v28, s2
	v_cmp_eq_u32_e64 s2, 0, v27
	v_add_nc_u32_e32 v27, -1, v27
	v_cndmask_b32_e64 v6, v6, s3, s2
	v_cndmask_b32_e64 v1, v1, s11, s2
	s_cbranch_scc0 .LBB264_61
; %bb.62:
	s_mov_b32 s2, exec_lo
	v_cmpx_gt_i32_e64 s8, v0
	s_cbranch_execz .LBB264_64
.LBB264_63:
	s_clause 0x1
	s_load_b64 s[2:3], s[0:1], 0x20
	s_load_b32 s8, s[0:1], 0x30
	s_ashr_i32 s0, s15, 31
	v_lshlrev_b32_e32 v0, 2, v0
	s_waitcnt lgkmcnt(0)
	s_mul_i32 s1, s15, s3
	s_mul_hi_u32 s3, s15, s2
	s_mul_i32 s0, s0, s2
	s_add_i32 s1, s3, s1
	v_mul_f32_e32 v2, s8, v6
	s_add_i32 s1, s1, s0
	s_mul_i32 s0, s15, s2
	s_delay_alu instid0(SALU_CYCLE_1) | instskip(NEXT) | instid1(SALU_CYCLE_1)
	s_lshl_b64 s[0:1], s[0:1], 2
	s_add_u32 s2, s4, s0
	s_addc_u32 s3, s5, s1
	s_add_u32 s0, s6, s0
	s_addc_u32 s1, s7, s1
	s_clause 0x1
	global_store_b32 v0, v2, s[2:3]
	global_store_b32 v0, v1, s[0:1]
.LBB264_64:
	s_nop 0
	s_sendmsg sendmsg(MSG_DEALLOC_VGPRS)
	s_endpgm
.LBB264_65:
	v_dual_mov_b32 v1, 0 :: v_dual_mov_b32 v6, 0
	s_mov_b32 s2, exec_lo
	v_cmpx_gt_i32_e64 s8, v0
	s_cbranch_execnz .LBB264_63
	s_branch .LBB264_64
	.section	.rodata,"a",@progbits
	.p2align	6, 0x0
	.amdhsa_kernel _ZN5aiter24topk_softplus_kernel_optI12hip_bfloat166__halfLi256ELb0ELi0EEEvPKT_PKT0_PfPimiif
		.amdhsa_group_segment_fixed_size 0
		.amdhsa_private_segment_fixed_size 0
		.amdhsa_kernarg_size 52
		.amdhsa_user_sgpr_count 15
		.amdhsa_user_sgpr_dispatch_ptr 0
		.amdhsa_user_sgpr_queue_ptr 0
		.amdhsa_user_sgpr_kernarg_segment_ptr 1
		.amdhsa_user_sgpr_dispatch_id 0
		.amdhsa_user_sgpr_private_segment_size 0
		.amdhsa_wavefront_size32 1
		.amdhsa_uses_dynamic_stack 0
		.amdhsa_enable_private_segment 0
		.amdhsa_system_sgpr_workgroup_id_x 1
		.amdhsa_system_sgpr_workgroup_id_y 0
		.amdhsa_system_sgpr_workgroup_id_z 0
		.amdhsa_system_sgpr_workgroup_info 0
		.amdhsa_system_vgpr_workitem_id 0
		.amdhsa_next_free_vgpr 96
		.amdhsa_next_free_sgpr 16
		.amdhsa_reserve_vcc 1
		.amdhsa_float_round_mode_32 0
		.amdhsa_float_round_mode_16_64 0
		.amdhsa_float_denorm_mode_32 3
		.amdhsa_float_denorm_mode_16_64 3
		.amdhsa_dx10_clamp 1
		.amdhsa_ieee_mode 1
		.amdhsa_fp16_overflow 0
		.amdhsa_workgroup_processor_mode 1
		.amdhsa_memory_ordered 1
		.amdhsa_forward_progress 0
		.amdhsa_shared_vgpr_count 0
		.amdhsa_exception_fp_ieee_invalid_op 0
		.amdhsa_exception_fp_denorm_src 0
		.amdhsa_exception_fp_ieee_div_zero 0
		.amdhsa_exception_fp_ieee_overflow 0
		.amdhsa_exception_fp_ieee_underflow 0
		.amdhsa_exception_fp_ieee_inexact 0
		.amdhsa_exception_int_div_zero 0
	.end_amdhsa_kernel
	.section	.text._ZN5aiter24topk_softplus_kernel_optI12hip_bfloat166__halfLi256ELb0ELi0EEEvPKT_PKT0_PfPimiif,"axG",@progbits,_ZN5aiter24topk_softplus_kernel_optI12hip_bfloat166__halfLi256ELb0ELi0EEEvPKT_PKT0_PfPimiif,comdat
.Lfunc_end264:
	.size	_ZN5aiter24topk_softplus_kernel_optI12hip_bfloat166__halfLi256ELb0ELi0EEEvPKT_PKT0_PfPimiif, .Lfunc_end264-_ZN5aiter24topk_softplus_kernel_optI12hip_bfloat166__halfLi256ELb0ELi0EEEvPKT_PKT0_PfPimiif
                                        ; -- End function
	.section	.AMDGPU.csdata,"",@progbits
; Kernel info:
; codeLenInByte = 8496
; NumSgprs: 18
; NumVgprs: 96
; ScratchSize: 0
; MemoryBound: 0
; FloatMode: 240
; IeeeMode: 1
; LDSByteSize: 0 bytes/workgroup (compile time only)
; SGPRBlocks: 2
; VGPRBlocks: 11
; NumSGPRsForWavesPerEU: 18
; NumVGPRsForWavesPerEU: 96
; Occupancy: 16
; WaveLimiterHint : 0
; COMPUTE_PGM_RSRC2:SCRATCH_EN: 0
; COMPUTE_PGM_RSRC2:USER_SGPR: 15
; COMPUTE_PGM_RSRC2:TRAP_HANDLER: 0
; COMPUTE_PGM_RSRC2:TGID_X_EN: 1
; COMPUTE_PGM_RSRC2:TGID_Y_EN: 0
; COMPUTE_PGM_RSRC2:TGID_Z_EN: 0
; COMPUTE_PGM_RSRC2:TIDIG_COMP_CNT: 0
	.section	.text._ZN5aiter24topk_softplus_kernel_optI12hip_bfloat166__halfLi384ELb1ELi0EEEvPKT_PKT0_PfPimiif,"axG",@progbits,_ZN5aiter24topk_softplus_kernel_optI12hip_bfloat166__halfLi384ELb1ELi0EEEvPKT_PKT0_PfPimiif,comdat
	.protected	_ZN5aiter24topk_softplus_kernel_optI12hip_bfloat166__halfLi384ELb1ELi0EEEvPKT_PKT0_PfPimiif ; -- Begin function _ZN5aiter24topk_softplus_kernel_optI12hip_bfloat166__halfLi384ELb1ELi0EEEvPKT_PKT0_PfPimiif
	.globl	_ZN5aiter24topk_softplus_kernel_optI12hip_bfloat166__halfLi384ELb1ELi0EEEvPKT_PKT0_PfPimiif
	.p2align	8
	.type	_ZN5aiter24topk_softplus_kernel_optI12hip_bfloat166__halfLi384ELb1ELi0EEEvPKT_PKT0_PfPimiif,@function
_ZN5aiter24topk_softplus_kernel_optI12hip_bfloat166__halfLi384ELb1ELi0EEEvPKT_PKT0_PfPimiif: ; @_ZN5aiter24topk_softplus_kernel_optI12hip_bfloat166__halfLi384ELb1ELi0EEEvPKT_PKT0_PfPimiif
; %bb.0:
	s_load_b128 s[4:7], s[0:1], 0x0
	s_mul_i32 s2, s15, 0x180
	v_lshlrev_b32_e32 v1, 1, v0
	s_ashr_i32 s3, s2, 31
	s_delay_alu instid0(SALU_CYCLE_1)
	s_lshl_b64 s[2:3], s[2:3], 1
	s_waitcnt lgkmcnt(0)
	s_add_u32 s4, s4, s2
	s_addc_u32 s5, s5, s3
	s_cmp_lg_u64 s[6:7], 0
	global_load_u16 v2, v1, s[4:5]
	s_cselect_b32 s3, -1, 0
	s_waitcnt vmcnt(0)
	v_lshlrev_b32_e32 v2, 16, v2
	s_delay_alu instid0(VALU_DEP_1) | instskip(NEXT) | instid1(VALU_DEP_1)
	v_mul_f32_e32 v3, 0x3fb8aa3b, v2
	v_cmp_gt_f32_e32 vcc_lo, 0xc2fc0000, v3
	v_cndmask_b32_e64 v3, 0, 0x42800000, vcc_lo
	v_cndmask_b32_e64 v4, 1.0, 0x1f800000, vcc_lo
	s_delay_alu instid0(VALU_DEP_2) | instskip(NEXT) | instid1(VALU_DEP_1)
	v_fmac_f32_e32 v3, 0x3fb8aa3b, v2
	v_exp_f32_e32 v3, v3
	s_waitcnt_depctr 0xfff
	v_fma_f32 v3, v3, v4, 1.0
	s_delay_alu instid0(VALU_DEP_1) | instskip(SKIP_1) | instid1(VALU_DEP_1)
	v_cmp_gt_f32_e32 vcc_lo, 0x800000, v3
	v_cndmask_b32_e64 v4, 1.0, 0x4f800000, vcc_lo
	v_mul_f32_e32 v3, v3, v4
	v_cndmask_b32_e64 v4, 0, 0x42000000, vcc_lo
	v_cmp_lt_f32_e32 vcc_lo, 0x41a00000, v2
	s_delay_alu instid0(VALU_DEP_3) | instskip(SKIP_2) | instid1(VALU_DEP_1)
	v_log_f32_e32 v3, v3
	s_waitcnt_depctr 0xfff
	v_sub_f32_e32 v3, v3, v4
	v_mul_f32_e32 v3, 0x3f317218, v3
	s_delay_alu instid0(VALU_DEP_1) | instskip(NEXT) | instid1(VALU_DEP_1)
	v_cndmask_b32_e32 v2, v3, v2, vcc_lo
	v_mul_f32_e32 v3, 0x4f800000, v2
	v_cmp_gt_f32_e32 vcc_lo, 0xf800000, v2
	s_delay_alu instid0(VALU_DEP_2) | instskip(NEXT) | instid1(VALU_DEP_1)
	v_cndmask_b32_e32 v2, v2, v3, vcc_lo
	v_sqrt_f32_e32 v3, v2
	s_waitcnt_depctr 0xfff
	v_add_nc_u32_e32 v4, -1, v3
	v_add_nc_u32_e32 v5, 1, v3
	s_delay_alu instid0(VALU_DEP_2) | instskip(NEXT) | instid1(VALU_DEP_2)
	v_fma_f32 v6, -v4, v3, v2
	v_fma_f32 v7, -v5, v3, v2
	s_delay_alu instid0(VALU_DEP_2) | instskip(NEXT) | instid1(VALU_DEP_1)
	v_cmp_ge_f32_e64 s2, 0, v6
	v_cndmask_b32_e64 v3, v3, v4, s2
	s_delay_alu instid0(VALU_DEP_3) | instskip(NEXT) | instid1(VALU_DEP_1)
	v_cmp_lt_f32_e64 s2, 0, v7
	v_cndmask_b32_e64 v3, v3, v5, s2
	v_add_co_u32 v12, s2, s4, v1
	s_delay_alu instid0(VALU_DEP_1) | instskip(NEXT) | instid1(VALU_DEP_3)
	v_add_co_ci_u32_e64 v13, null, s5, 0, s2
	v_mul_f32_e32 v4, 0x37800000, v3
	s_delay_alu instid0(VALU_DEP_1) | instskip(SKIP_1) | instid1(VALU_DEP_2)
	v_cndmask_b32_e32 v3, v3, v4, vcc_lo
	v_cmp_class_f32_e64 vcc_lo, v2, 0x260
	v_cndmask_b32_e32 v49, v3, v2, vcc_lo
	s_and_b32 vcc_lo, exec_lo, s3
	s_delay_alu instid0(VALU_DEP_1)
	v_mov_b32_e32 v37, v49
	s_cbranch_vccz .LBB265_2
; %bb.1:
	global_load_u16 v2, v1, s[6:7]
	s_waitcnt vmcnt(0)
	v_cvt_f32_f16_e32 v2, v2
	s_delay_alu instid0(VALU_DEP_1)
	v_add_f32_e32 v37, v49, v2
.LBB265_2:
	global_load_u16 v2, v[12:13], off offset:64
	v_cndmask_b32_e64 v14, 0, 1, s3
	s_waitcnt vmcnt(0)
	v_lshlrev_b32_e32 v2, 16, v2
	s_delay_alu instid0(VALU_DEP_1) | instskip(NEXT) | instid1(VALU_DEP_1)
	v_mul_f32_e32 v3, 0x3fb8aa3b, v2
	v_cmp_gt_f32_e32 vcc_lo, 0xc2fc0000, v3
	v_cndmask_b32_e64 v3, 0, 0x42800000, vcc_lo
	v_cndmask_b32_e64 v4, 1.0, 0x1f800000, vcc_lo
	s_delay_alu instid0(VALU_DEP_2) | instskip(NEXT) | instid1(VALU_DEP_1)
	v_fmac_f32_e32 v3, 0x3fb8aa3b, v2
	v_exp_f32_e32 v3, v3
	s_waitcnt_depctr 0xfff
	v_fma_f32 v3, v3, v4, 1.0
	s_delay_alu instid0(VALU_DEP_1) | instskip(SKIP_1) | instid1(VALU_DEP_1)
	v_cmp_gt_f32_e32 vcc_lo, 0x800000, v3
	v_cndmask_b32_e64 v4, 1.0, 0x4f800000, vcc_lo
	v_mul_f32_e32 v3, v3, v4
	v_cndmask_b32_e64 v4, 0, 0x42000000, vcc_lo
	v_cmp_lt_f32_e32 vcc_lo, 0x41a00000, v2
	s_delay_alu instid0(VALU_DEP_3) | instskip(SKIP_2) | instid1(VALU_DEP_1)
	v_log_f32_e32 v3, v3
	s_waitcnt_depctr 0xfff
	v_sub_f32_e32 v3, v3, v4
	v_mul_f32_e32 v3, 0x3f317218, v3
	s_delay_alu instid0(VALU_DEP_1) | instskip(NEXT) | instid1(VALU_DEP_1)
	v_cndmask_b32_e32 v2, v3, v2, vcc_lo
	v_mul_f32_e32 v3, 0x4f800000, v2
	v_cmp_gt_f32_e32 vcc_lo, 0xf800000, v2
	s_delay_alu instid0(VALU_DEP_2) | instskip(NEXT) | instid1(VALU_DEP_1)
	v_cndmask_b32_e32 v2, v2, v3, vcc_lo
	v_sqrt_f32_e32 v3, v2
	s_waitcnt_depctr 0xfff
	v_add_nc_u32_e32 v4, -1, v3
	v_add_nc_u32_e32 v5, 1, v3
	s_delay_alu instid0(VALU_DEP_2) | instskip(NEXT) | instid1(VALU_DEP_2)
	v_fma_f32 v6, -v4, v3, v2
	v_fma_f32 v7, -v5, v3, v2
	s_delay_alu instid0(VALU_DEP_2) | instskip(NEXT) | instid1(VALU_DEP_1)
	v_cmp_ge_f32_e64 s2, 0, v6
	v_cndmask_b32_e64 v3, v3, v4, s2
	s_delay_alu instid0(VALU_DEP_3) | instskip(NEXT) | instid1(VALU_DEP_1)
	v_cmp_lt_f32_e64 s2, 0, v7
	v_cndmask_b32_e64 v3, v3, v5, s2
	s_delay_alu instid0(VALU_DEP_1) | instskip(NEXT) | instid1(VALU_DEP_1)
	v_mul_f32_e32 v4, 0x37800000, v3
	v_cndmask_b32_e32 v3, v3, v4, vcc_lo
	v_cmp_class_f32_e64 vcc_lo, v2, 0x260
	s_delay_alu instid0(VALU_DEP_2) | instskip(SKIP_1) | instid1(VALU_DEP_1)
	v_cndmask_b32_e32 v2, v3, v2, vcc_lo
	s_and_not1_b32 vcc_lo, exec_lo, s3
	v_mov_b32_e32 v38, v2
	s_cbranch_vccnz .LBB265_4
; %bb.3:
	global_load_u16 v3, v1, s[6:7] offset:64
	s_waitcnt vmcnt(0)
	v_cvt_f32_f16_e32 v3, v3
	s_delay_alu instid0(VALU_DEP_1)
	v_add_f32_e32 v38, v2, v3
.LBB265_4:
	global_load_u16 v3, v[12:13], off offset:128
	s_waitcnt vmcnt(0)
	v_lshlrev_b32_e32 v3, 16, v3
	s_delay_alu instid0(VALU_DEP_1) | instskip(NEXT) | instid1(VALU_DEP_1)
	v_mul_f32_e32 v4, 0x3fb8aa3b, v3
	v_cmp_gt_f32_e32 vcc_lo, 0xc2fc0000, v4
	v_cndmask_b32_e64 v4, 0, 0x42800000, vcc_lo
	v_cndmask_b32_e64 v5, 1.0, 0x1f800000, vcc_lo
	s_delay_alu instid0(VALU_DEP_2) | instskip(NEXT) | instid1(VALU_DEP_1)
	v_fmac_f32_e32 v4, 0x3fb8aa3b, v3
	v_exp_f32_e32 v4, v4
	s_waitcnt_depctr 0xfff
	v_fma_f32 v4, v4, v5, 1.0
	s_delay_alu instid0(VALU_DEP_1) | instskip(SKIP_1) | instid1(VALU_DEP_1)
	v_cmp_gt_f32_e32 vcc_lo, 0x800000, v4
	v_cndmask_b32_e64 v5, 1.0, 0x4f800000, vcc_lo
	v_mul_f32_e32 v4, v4, v5
	v_cndmask_b32_e64 v5, 0, 0x42000000, vcc_lo
	v_cmp_lt_f32_e32 vcc_lo, 0x41a00000, v3
	s_delay_alu instid0(VALU_DEP_3) | instskip(SKIP_2) | instid1(VALU_DEP_1)
	v_log_f32_e32 v4, v4
	s_waitcnt_depctr 0xfff
	v_sub_f32_e32 v4, v4, v5
	v_mul_f32_e32 v4, 0x3f317218, v4
	s_delay_alu instid0(VALU_DEP_1) | instskip(NEXT) | instid1(VALU_DEP_1)
	v_cndmask_b32_e32 v3, v4, v3, vcc_lo
	v_mul_f32_e32 v4, 0x4f800000, v3
	v_cmp_gt_f32_e32 vcc_lo, 0xf800000, v3
	s_delay_alu instid0(VALU_DEP_2) | instskip(NEXT) | instid1(VALU_DEP_1)
	v_cndmask_b32_e32 v3, v3, v4, vcc_lo
	v_sqrt_f32_e32 v4, v3
	s_waitcnt_depctr 0xfff
	v_add_nc_u32_e32 v5, -1, v4
	v_add_nc_u32_e32 v6, 1, v4
	s_delay_alu instid0(VALU_DEP_2) | instskip(NEXT) | instid1(VALU_DEP_2)
	v_fma_f32 v7, -v5, v4, v3
	v_fma_f32 v8, -v6, v4, v3
	s_delay_alu instid0(VALU_DEP_2) | instskip(NEXT) | instid1(VALU_DEP_1)
	v_cmp_ge_f32_e64 s2, 0, v7
	v_cndmask_b32_e64 v4, v4, v5, s2
	s_delay_alu instid0(VALU_DEP_3) | instskip(NEXT) | instid1(VALU_DEP_1)
	v_cmp_lt_f32_e64 s2, 0, v8
	v_cndmask_b32_e64 v4, v4, v6, s2
	s_delay_alu instid0(VALU_DEP_1) | instskip(NEXT) | instid1(VALU_DEP_1)
	v_mul_f32_e32 v5, 0x37800000, v4
	v_cndmask_b32_e32 v4, v4, v5, vcc_lo
	v_cmp_class_f32_e64 vcc_lo, v3, 0x260
	s_delay_alu instid0(VALU_DEP_2) | instskip(SKIP_1) | instid1(VALU_DEP_2)
	v_cndmask_b32_e32 v3, v4, v3, vcc_lo
	v_cmp_ne_u32_e32 vcc_lo, 1, v14
	v_mov_b32_e32 v39, v3
	s_cbranch_vccnz .LBB265_6
; %bb.5:
	global_load_u16 v4, v1, s[6:7] offset:128
	s_waitcnt vmcnt(0)
	v_cvt_f32_f16_e32 v4, v4
	s_delay_alu instid0(VALU_DEP_1)
	v_add_f32_e32 v39, v3, v4
.LBB265_6:
	global_load_u16 v4, v[12:13], off offset:192
	s_waitcnt vmcnt(0)
	v_lshlrev_b32_e32 v4, 16, v4
	s_delay_alu instid0(VALU_DEP_1) | instskip(NEXT) | instid1(VALU_DEP_1)
	v_mul_f32_e32 v5, 0x3fb8aa3b, v4
	v_cmp_gt_f32_e32 vcc_lo, 0xc2fc0000, v5
	v_cndmask_b32_e64 v5, 0, 0x42800000, vcc_lo
	v_cndmask_b32_e64 v6, 1.0, 0x1f800000, vcc_lo
	s_delay_alu instid0(VALU_DEP_2) | instskip(NEXT) | instid1(VALU_DEP_1)
	v_fmac_f32_e32 v5, 0x3fb8aa3b, v4
	v_exp_f32_e32 v5, v5
	s_waitcnt_depctr 0xfff
	v_fma_f32 v5, v5, v6, 1.0
	s_delay_alu instid0(VALU_DEP_1) | instskip(SKIP_1) | instid1(VALU_DEP_1)
	v_cmp_gt_f32_e32 vcc_lo, 0x800000, v5
	v_cndmask_b32_e64 v6, 1.0, 0x4f800000, vcc_lo
	v_mul_f32_e32 v5, v5, v6
	v_cndmask_b32_e64 v6, 0, 0x42000000, vcc_lo
	v_cmp_lt_f32_e32 vcc_lo, 0x41a00000, v4
	s_delay_alu instid0(VALU_DEP_3) | instskip(SKIP_2) | instid1(VALU_DEP_1)
	v_log_f32_e32 v5, v5
	s_waitcnt_depctr 0xfff
	v_sub_f32_e32 v5, v5, v6
	v_mul_f32_e32 v5, 0x3f317218, v5
	s_delay_alu instid0(VALU_DEP_1) | instskip(NEXT) | instid1(VALU_DEP_1)
	v_cndmask_b32_e32 v4, v5, v4, vcc_lo
	v_mul_f32_e32 v5, 0x4f800000, v4
	v_cmp_gt_f32_e32 vcc_lo, 0xf800000, v4
	s_delay_alu instid0(VALU_DEP_2) | instskip(NEXT) | instid1(VALU_DEP_1)
	v_cndmask_b32_e32 v4, v4, v5, vcc_lo
	v_sqrt_f32_e32 v5, v4
	s_waitcnt_depctr 0xfff
	v_add_nc_u32_e32 v6, -1, v5
	v_add_nc_u32_e32 v7, 1, v5
	s_delay_alu instid0(VALU_DEP_2) | instskip(NEXT) | instid1(VALU_DEP_2)
	v_fma_f32 v8, -v6, v5, v4
	v_fma_f32 v9, -v7, v5, v4
	s_delay_alu instid0(VALU_DEP_2) | instskip(NEXT) | instid1(VALU_DEP_1)
	v_cmp_ge_f32_e64 s2, 0, v8
	v_cndmask_b32_e64 v5, v5, v6, s2
	s_delay_alu instid0(VALU_DEP_3) | instskip(NEXT) | instid1(VALU_DEP_1)
	v_cmp_lt_f32_e64 s2, 0, v9
	v_cndmask_b32_e64 v5, v5, v7, s2
	s_delay_alu instid0(VALU_DEP_1) | instskip(NEXT) | instid1(VALU_DEP_1)
	v_mul_f32_e32 v6, 0x37800000, v5
	v_cndmask_b32_e32 v5, v5, v6, vcc_lo
	v_cmp_class_f32_e64 vcc_lo, v4, 0x260
	s_delay_alu instid0(VALU_DEP_2) | instskip(SKIP_1) | instid1(VALU_DEP_2)
	v_cndmask_b32_e32 v4, v5, v4, vcc_lo
	v_cmp_ne_u32_e32 vcc_lo, 1, v14
	;; [unrolled: 59-line block ×9, first 2 shown]
	v_mov_b32_e32 v47, v11
	s_cbranch_vccnz .LBB265_22
; %bb.21:
	global_load_u16 v15, v1, s[6:7] offset:640
	s_waitcnt vmcnt(0)
	v_cvt_f32_f16_e32 v15, v15
	s_delay_alu instid0(VALU_DEP_1)
	v_add_f32_e32 v47, v11, v15
.LBB265_22:
	global_load_u16 v12, v[12:13], off offset:704
	s_waitcnt vmcnt(0)
	v_lshlrev_b32_e32 v12, 16, v12
	s_delay_alu instid0(VALU_DEP_1) | instskip(NEXT) | instid1(VALU_DEP_1)
	v_mul_f32_e32 v13, 0x3fb8aa3b, v12
	v_cmp_gt_f32_e32 vcc_lo, 0xc2fc0000, v13
	v_cndmask_b32_e64 v13, 0, 0x42800000, vcc_lo
	v_cndmask_b32_e64 v15, 1.0, 0x1f800000, vcc_lo
	s_delay_alu instid0(VALU_DEP_2) | instskip(NEXT) | instid1(VALU_DEP_1)
	v_fmac_f32_e32 v13, 0x3fb8aa3b, v12
	v_exp_f32_e32 v13, v13
	s_waitcnt_depctr 0xfff
	v_fma_f32 v13, v13, v15, 1.0
	s_delay_alu instid0(VALU_DEP_1) | instskip(SKIP_1) | instid1(VALU_DEP_1)
	v_cmp_gt_f32_e32 vcc_lo, 0x800000, v13
	v_cndmask_b32_e64 v15, 1.0, 0x4f800000, vcc_lo
	v_mul_f32_e32 v13, v13, v15
	v_cndmask_b32_e64 v15, 0, 0x42000000, vcc_lo
	v_cmp_lt_f32_e32 vcc_lo, 0x41a00000, v12
	s_delay_alu instid0(VALU_DEP_3) | instskip(SKIP_2) | instid1(VALU_DEP_1)
	v_log_f32_e32 v13, v13
	s_waitcnt_depctr 0xfff
	v_sub_f32_e32 v13, v13, v15
	v_mul_f32_e32 v13, 0x3f317218, v13
	s_delay_alu instid0(VALU_DEP_1) | instskip(NEXT) | instid1(VALU_DEP_1)
	v_cndmask_b32_e32 v12, v13, v12, vcc_lo
	v_mul_f32_e32 v13, 0x4f800000, v12
	v_cmp_gt_f32_e32 vcc_lo, 0xf800000, v12
	s_delay_alu instid0(VALU_DEP_2) | instskip(NEXT) | instid1(VALU_DEP_1)
	v_cndmask_b32_e32 v12, v12, v13, vcc_lo
	v_sqrt_f32_e32 v13, v12
	s_waitcnt_depctr 0xfff
	v_add_nc_u32_e32 v15, -1, v13
	v_add_nc_u32_e32 v16, 1, v13
	s_delay_alu instid0(VALU_DEP_2) | instskip(NEXT) | instid1(VALU_DEP_2)
	v_fma_f32 v17, -v15, v13, v12
	v_fma_f32 v18, -v16, v13, v12
	s_delay_alu instid0(VALU_DEP_2) | instskip(NEXT) | instid1(VALU_DEP_1)
	v_cmp_ge_f32_e64 s2, 0, v17
	v_cndmask_b32_e64 v13, v13, v15, s2
	s_delay_alu instid0(VALU_DEP_3) | instskip(NEXT) | instid1(VALU_DEP_1)
	v_cmp_lt_f32_e64 s2, 0, v18
	v_cndmask_b32_e64 v13, v13, v16, s2
	s_delay_alu instid0(VALU_DEP_1) | instskip(NEXT) | instid1(VALU_DEP_1)
	v_mul_f32_e32 v15, 0x37800000, v13
	v_cndmask_b32_e32 v13, v13, v15, vcc_lo
	v_cmp_class_f32_e64 vcc_lo, v12, 0x260
	s_delay_alu instid0(VALU_DEP_2)
	v_cndmask_b32_e32 v12, v13, v12, vcc_lo
	v_cmp_ne_u32_e32 vcc_lo, 1, v14
	s_cbranch_vccnz .LBB265_24
; %bb.23:
	global_load_u16 v1, v1, s[6:7] offset:704
	s_waitcnt vmcnt(0)
	v_cvt_f32_f16_e32 v1, v1
	s_delay_alu instid0(VALU_DEP_1)
	v_add_f32_e32 v48, v12, v1
	s_branch .LBB265_25
.LBB265_24:
	s_delay_alu instid0(VALU_DEP_2)
	v_mov_b32_e32 v48, v12
.LBB265_25:
	v_dual_mov_b32 v13, v37 :: v_dual_add_nc_u32 v26, 32, v0
	v_dual_mov_b32 v14, v38 :: v_dual_add_nc_u32 v27, 64, v0
	;; [unrolled: 1-line block ×11, first 2 shown]
	v_dual_mov_b32 v24, v48 :: v_dual_mov_b32 v1, v49
	v_mov_b32_e32 v25, v0
	s_mov_b32 s2, exec_lo
	v_cmpx_lt_f32_e32 v37, v38
	s_xor_b32 s2, exec_lo, s2
; %bb.26:
	v_dual_mov_b32 v13, v38 :: v_dual_mov_b32 v14, v37
	v_dual_mov_b32 v15, v39 :: v_dual_mov_b32 v16, v40
	;; [unrolled: 1-line block ×8, first 2 shown]
	v_mov_b32_e32 v26, v0
; %bb.27:
	s_or_b32 exec_lo, exec_lo, s2
	v_dual_mov_b32 v37, v15 :: v_dual_mov_b32 v86, v12
	v_dual_mov_b32 v75, v1 :: v_dual_mov_b32 v146, v12
	;; [unrolled: 1-line block ×36, first 2 shown]
	s_clause 0x8
	scratch_store_b128 off, v[1:4], off
	scratch_store_b128 off, v[5:8], off offset:16
	scratch_store_b128 off, v[9:12], off offset:32
	;; [unrolled: 1-line block ×8, first 2 shown]
	v_dual_mov_b32 v73, v35 :: v_dual_mov_b32 v72, v34
	v_dual_mov_b32 v71, v33 :: v_dual_mov_b32 v70, v32
	;; [unrolled: 1-line block ×30, first 2 shown]
	v_mov_b32_e32 v159, v25
	s_clause 0x2
	scratch_store_b128 off, v[25:28], off offset:144
	scratch_store_b128 off, v[29:32], off offset:160
	;; [unrolled: 1-line block ×3, first 2 shown]
	s_mov_b32 s2, exec_lo
	v_dual_mov_b32 v182, v36 :: v_dual_mov_b32 v181, v35
	v_dual_mov_b32 v180, v34 :: v_dual_mov_b32 v179, v33
	;; [unrolled: 1-line block ×6, first 2 shown]
	v_cmpx_lt_f32_e32 v38, v15
	s_cbranch_execz .LBB265_29
; %bb.28:
	v_dual_mov_b32 v37, v38 :: v_dual_mov_b32 v182, v36
	v_dual_mov_b32 v173, v27 :: v_dual_mov_b32 v172, v26
	;; [unrolled: 1-line block ×14, first 2 shown]
	v_mov_b32_e32 v125, v2
	v_dual_mov_b32 v159, v171 :: v_dual_mov_b32 v162, v174
	v_dual_mov_b32 v161, v173 :: v_dual_mov_b32 v164, v176
	;; [unrolled: 1-line block ×6, first 2 shown]
	v_mov_b32_e32 v162, v28
	s_clause 0x2
	scratch_store_b128 off, v[123:126], off offset:96
	scratch_store_b128 off, v[127:130], off offset:112
	scratch_store_b128 off, v[131:134], off offset:128
	v_dual_mov_b32 v14, v15 :: v_dual_mov_b32 v15, v38
	v_dual_mov_b32 v43, v164 :: v_dual_mov_b32 v44, v165
	v_dual_mov_b32 v38, v159 :: v_dual_mov_b32 v39, v160
	v_dual_mov_b32 v126, v4 :: v_dual_mov_b32 v45, v166
	v_dual_mov_b32 v46, v167 :: v_dual_mov_b32 v47, v168
	v_dual_mov_b32 v48, v169 :: v_dual_mov_b32 v49, v170
	v_dual_mov_b32 v40, v161 :: v_dual_mov_b32 v41, v162
	s_clause 0x2
	scratch_store_b128 off, v[38:41], off offset:144
	scratch_store_b128 off, v[42:45], off offset:160
	;; [unrolled: 1-line block ×3, first 2 shown]
	v_mov_b32_e32 v163, v29
	v_mov_b32_e32 v27, v26
	v_dual_mov_b32 v43, v128 :: v_dual_mov_b32 v44, v129
	v_dual_mov_b32 v47, v132 :: v_dual_mov_b32 v38, v123
	;; [unrolled: 1-line block ×5, first 2 shown]
	v_mov_b32_e32 v41, v126
	v_dual_mov_b32 v147, v159 :: v_dual_mov_b32 v154, v166
	v_mov_b32_e32 v148, v160
	v_mov_b32_e32 v150, v162
	s_clause 0x2
	scratch_store_b128 off, v[38:41], off offset:48
	scratch_store_b128 off, v[42:45], off offset:64
	;; [unrolled: 1-line block ×3, first 2 shown]
	v_dual_mov_b32 v127, v5 :: v_dual_mov_b32 v152, v164
	v_dual_mov_b32 v153, v165 :: v_dual_mov_b32 v152, v30
	;; [unrolled: 1-line block ×7, first 2 shown]
	v_mov_b32_e32 v41, v126
	v_dual_mov_b32 v128, v6 :: v_dual_mov_b32 v99, v147
	v_dual_mov_b32 v105, v153 :: v_dual_mov_b32 v106, v154
	;; [unrolled: 1-line block ×3, first 2 shown]
	v_mov_b32_e32 v105, v31
	v_dual_mov_b32 v103, v151 :: v_dual_mov_b32 v104, v152
	v_dual_mov_b32 v107, v155 :: v_dual_mov_b32 v108, v156
	;; [unrolled: 1-line block ×6, first 2 shown]
	v_mov_b32_e32 v60, v132
	v_dual_mov_b32 v52, v124 :: v_dual_mov_b32 v55, v127
	v_dual_mov_b32 v58, v130 :: v_dual_mov_b32 v61, v133
	v_mov_b32_e32 v57, v7
	v_dual_mov_b32 v53, v125 :: v_dual_mov_b32 v56, v128
	s_clause 0x2
	scratch_store_b128 off, v[38:41], off
	scratch_store_b128 off, v[42:45], off offset:16
	scratch_store_b128 off, v[46:49], off offset:32
	v_dual_mov_b32 v39, v99 :: v_dual_mov_b32 v44, v104
	v_dual_mov_b32 v45, v105 :: v_dual_mov_b32 v50, v110
	;; [unrolled: 1-line block ×6, first 2 shown]
	v_mov_b32_e32 v122, v62
	v_dual_mov_b32 v46, v32 :: v_dual_mov_b32 v111, v51
	v_dual_mov_b32 v121, v61 :: v_dual_mov_b32 v120, v60
	;; [unrolled: 1-line block ×6, first 2 shown]
	v_mov_b32_e32 v118, v8
	v_dual_mov_b32 v98, v50 :: v_dual_mov_b32 v97, v49
	v_dual_mov_b32 v96, v48 :: v_dual_mov_b32 v95, v47
	;; [unrolled: 1-line block ×7, first 2 shown]
	v_mov_b32_e32 v135, v111
	v_dual_mov_b32 v3, v2 :: v_dual_mov_b32 v144, v120
	v_dual_mov_b32 v145, v121 :: v_dual_mov_b32 v142, v118
	;; [unrolled: 1-line block ×5, first 2 shown]
	v_mov_b32_e32 v137, v113
	v_mov_b32_e32 v143, v9
	v_dual_mov_b32 v63, v87 :: v_dual_mov_b32 v70, v94
	v_mov_b32_e32 v64, v88
	v_mov_b32_e32 v66, v90
	v_dual_mov_b32 v68, v92 :: v_dual_mov_b32 v75, v135
	v_dual_mov_b32 v80, v140 :: v_dual_mov_b32 v65, v89
	;; [unrolled: 1-line block ×13, first 2 shown]
.LBB265_29:
	s_or_b32 exec_lo, exec_lo, s2
	v_mov_b32_e32 v1, v16
	s_mov_b32 s2, exec_lo
	v_cmpx_lt_f32_e32 v37, v16
	s_cbranch_execz .LBB265_31
; %bb.30:
	s_clause 0x2
	scratch_load_b128 v[38:41], off, off offset:96
	scratch_load_b128 v[42:45], off, off offset:112
	;; [unrolled: 1-line block ×3, first 2 shown]
	v_mov_b32_e32 v173, v28
	v_dual_mov_b32 v15, v16 :: v_dual_mov_b32 v16, v37
	v_dual_mov_b32 v1, v37 :: v_dual_mov_b32 v28, v27
	s_waitcnt vmcnt(2)
	v_dual_mov_b32 v124, v39 :: v_dual_mov_b32 v123, v38
	s_waitcnt vmcnt(0)
	v_dual_mov_b32 v134, v49 :: v_dual_mov_b32 v125, v4
	v_dual_mov_b32 v159, v171 :: v_dual_mov_b32 v160, v172
	v_mov_b32_e32 v162, v174
	v_dual_mov_b32 v38, v123 :: v_dual_mov_b32 v39, v124
	v_dual_mov_b32 v161, v173 :: v_dual_mov_b32 v164, v176
	;; [unrolled: 1-line block ×10, first 2 shown]
	v_mov_b32_e32 v126, v41
	s_clause 0x2
	scratch_store_b128 off, v[38:41], off offset:96
	scratch_store_b128 off, v[42:45], off offset:112
	;; [unrolled: 1-line block ×3, first 2 shown]
	v_dual_mov_b32 v43, v164 :: v_dual_mov_b32 v38, v159
	v_dual_mov_b32 v41, v162 :: v_dual_mov_b32 v126, v3
	v_dual_mov_b32 v45, v166 :: v_dual_mov_b32 v44, v165
	v_dual_mov_b32 v47, v168 :: v_dual_mov_b32 v46, v167
	v_dual_mov_b32 v49, v170 :: v_dual_mov_b32 v48, v169
	v_dual_mov_b32 v39, v160 :: v_dual_mov_b32 v40, v161
	v_dual_mov_b32 v163, v29 :: v_dual_mov_b32 v4, v3
	s_clause 0x2
	scratch_store_b128 off, v[38:41], off offset:144
	scratch_store_b128 off, v[42:45], off offset:160
	;; [unrolled: 1-line block ×3, first 2 shown]
	v_dual_mov_b32 v43, v128 :: v_dual_mov_b32 v46, v131
	v_dual_mov_b32 v49, v134 :: v_dual_mov_b32 v38, v123
	;; [unrolled: 1-line block ×5, first 2 shown]
	v_mov_b32_e32 v41, v126
	v_dual_mov_b32 v147, v159 :: v_dual_mov_b32 v152, v164
	v_dual_mov_b32 v148, v160 :: v_dual_mov_b32 v127, v5
	v_dual_mov_b32 v150, v162 :: v_dual_mov_b32 v149, v161
	v_dual_mov_b32 v154, v166 :: v_dual_mov_b32 v153, v165
	v_dual_mov_b32 v158, v170 :: v_dual_mov_b32 v155, v167
	v_dual_mov_b32 v152, v30 :: v_dual_mov_b32 v151, v163
	v_dual_mov_b32 v156, v168 :: v_dual_mov_b32 v157, v169
	s_clause 0x2
	scratch_store_b128 off, v[38:41], off offset:48
	scratch_store_b128 off, v[42:45], off offset:64
	;; [unrolled: 1-line block ×3, first 2 shown]
	v_dual_mov_b32 v38, v123 :: v_dual_mov_b32 v39, v124
	v_dual_mov_b32 v40, v125 :: v_dual_mov_b32 v41, v126
	v_mov_b32_e32 v42, v127
	v_dual_mov_b32 v128, v6 :: v_dual_mov_b32 v99, v147
	v_dual_mov_b32 v106, v154 :: v_dual_mov_b32 v107, v155
	;; [unrolled: 1-line block ×3, first 2 shown]
	v_mov_b32_e32 v52, v124
	v_dual_mov_b32 v100, v148 :: v_dual_mov_b32 v101, v149
	v_dual_mov_b32 v102, v150 :: v_dual_mov_b32 v103, v151
	;; [unrolled: 1-line block ×6, first 2 shown]
	v_mov_b32_e32 v105, v31
	v_dual_mov_b32 v57, v129 :: v_dual_mov_b32 v58, v130
	v_dual_mov_b32 v53, v125 :: v_dual_mov_b32 v54, v126
	v_dual_mov_b32 v55, v127 :: v_dual_mov_b32 v56, v128
	v_mov_b32_e32 v57, v7
	s_clause 0x2
	scratch_store_b128 off, v[38:41], off
	scratch_store_b128 off, v[42:45], off offset:16
	scratch_store_b128 off, v[46:49], off offset:32
	v_dual_mov_b32 v39, v99 :: v_dual_mov_b32 v42, v102
	v_dual_mov_b32 v47, v107 :: v_dual_mov_b32 v50, v110
	;; [unrolled: 1-line block ×9, first 2 shown]
	v_mov_b32_e32 v46, v32
	v_dual_mov_b32 v118, v58 :: v_dual_mov_b32 v117, v57
	v_dual_mov_b32 v116, v56 :: v_dual_mov_b32 v115, v55
	;; [unrolled: 1-line block ×3, first 2 shown]
	v_mov_b32_e32 v118, v8
	v_dual_mov_b32 v98, v50 :: v_dual_mov_b32 v95, v47
	v_dual_mov_b32 v97, v49 :: v_dual_mov_b32 v90, v42
	;; [unrolled: 1-line block ×9, first 2 shown]
	v_mov_b32_e32 v89, v41
	v_dual_mov_b32 v143, v9 :: v_dual_mov_b32 v142, v118
	v_dual_mov_b32 v141, v117 :: v_dual_mov_b32 v140, v116
	;; [unrolled: 1-line block ×3, first 2 shown]
	v_mov_b32_e32 v137, v113
	v_dual_mov_b32 v63, v87 :: v_dual_mov_b32 v66, v90
	v_dual_mov_b32 v64, v88 :: v_dual_mov_b32 v75, v135
	;; [unrolled: 1-line block ×13, first 2 shown]
	v_mov_b32_e32 v82, v142
	v_dual_mov_b32 v84, v10 :: v_dual_mov_b32 v85, v11
	v_mov_b32_e32 v86, v12
.LBB265_31:
	s_or_b32 exec_lo, exec_lo, s2
	v_mov_b32_e32 v2, v17
	s_mov_b32 s2, exec_lo
	v_cmpx_lt_f32_e32 v1, v17
	s_cbranch_execz .LBB265_33
; %bb.32:
	s_clause 0x2
	scratch_load_b128 v[37:40], off, off offset:96
	scratch_load_b128 v[41:44], off, off offset:112
	;; [unrolled: 1-line block ×3, first 2 shown]
	v_mov_b32_e32 v174, v29
	v_dual_mov_b32 v2, v1 :: v_dual_mov_b32 v29, v28
	v_mov_b32_e32 v16, v17
	s_waitcnt vmcnt(0)
	v_dual_mov_b32 v74, v48 :: v_dual_mov_b32 v71, v45
	v_dual_mov_b32 v68, v42 :: v_dual_mov_b32 v65, v39
	;; [unrolled: 1-line block ×18, first 2 shown]
	v_mov_b32_e32 v125, v65
	v_mov_b32_e32 v127, v4
	v_dual_mov_b32 v147, v159 :: v_dual_mov_b32 v148, v160
	v_dual_mov_b32 v153, v165 :: v_dual_mov_b32 v156, v168
	;; [unrolled: 1-line block ×3, first 2 shown]
	v_mov_b32_e32 v157, v169
	v_dual_mov_b32 v151, v163 :: v_dual_mov_b32 v154, v166
	v_dual_mov_b32 v149, v161 :: v_dual_mov_b32 v152, v164
	;; [unrolled: 1-line block ×4, first 2 shown]
	v_mov_b32_e32 v38, v124
	v_dual_mov_b32 v152, v30 :: v_dual_mov_b32 v45, v131
	v_dual_mov_b32 v46, v132 :: v_dual_mov_b32 v47, v133
	;; [unrolled: 1-line block ×13, first 2 shown]
	s_clause 0x2
	scratch_store_b128 off, v[37:40], off
	scratch_store_b128 off, v[41:44], off offset:16
	scratch_store_b128 off, v[45:48], off offset:32
	v_dual_mov_b32 v57, v129 :: v_dual_mov_b32 v60, v132
	v_dual_mov_b32 v55, v127 :: v_dual_mov_b32 v58, v130
	v_mov_b32_e32 v61, v133
	v_mov_b32_e32 v57, v7
	v_dual_mov_b32 v39, v99 :: v_dual_mov_b32 v44, v104
	v_dual_mov_b32 v17, v1 :: v_dual_mov_b32 v52, v124
	;; [unrolled: 1-line block ×8, first 2 shown]
	v_mov_b32_e32 v122, v62
	v_dual_mov_b32 v46, v32 :: v_dual_mov_b32 v119, v59
	v_dual_mov_b32 v118, v58 :: v_dual_mov_b32 v111, v51
	;; [unrolled: 1-line block ×6, first 2 shown]
	v_mov_b32_e32 v112, v52
	v_dual_mov_b32 v98, v50 :: v_dual_mov_b32 v97, v49
	v_dual_mov_b32 v96, v48 :: v_dual_mov_b32 v95, v47
	;; [unrolled: 1-line block ×8, first 2 shown]
	v_mov_b32_e32 v135, v111
	v_dual_mov_b32 v145, v121 :: v_dual_mov_b32 v144, v120
	v_dual_mov_b32 v141, v117 :: v_dual_mov_b32 v140, v116
	v_mov_b32_e32 v143, v9
	v_dual_mov_b32 v139, v115 :: v_dual_mov_b32 v138, v114
	v_dual_mov_b32 v137, v113 :: v_dual_mov_b32 v136, v112
	s_clause 0x5
	scratch_store_b128 off, v[63:66], off offset:48
	scratch_store_b128 off, v[67:70], off offset:64
	;; [unrolled: 1-line block ×6, first 2 shown]
	v_dual_mov_b32 v63, v87 :: v_dual_mov_b32 v68, v92
	v_mov_b32_e32 v64, v88
	v_dual_mov_b32 v66, v90 :: v_dual_mov_b32 v75, v135
	v_dual_mov_b32 v78, v138 :: v_dual_mov_b32 v67, v91
	;; [unrolled: 1-line block ×14, first 2 shown]
.LBB265_33:
	s_or_b32 exec_lo, exec_lo, s2
	v_mov_b32_e32 v1, v18
	s_mov_b32 s2, exec_lo
	v_cmpx_lt_f32_e32 v2, v18
	s_cbranch_execz .LBB265_35
; %bb.34:
	s_clause 0x2
	scratch_load_b128 v[37:40], off, off offset:144
	scratch_load_b128 v[41:44], off, off offset:160
	scratch_load_b128 v[45:48], off, off offset:176
	s_waitcnt vmcnt(0)
	v_dual_mov_b32 v17, v18 :: v_dual_mov_b32 v170, v48
	v_dual_mov_b32 v169, v47 :: v_dual_mov_b32 v162, v40
	;; [unrolled: 1-line block ×6, first 2 shown]
	s_clause 0x2
	scratch_load_b128 v[37:40], off, off offset:48
	scratch_load_b128 v[41:44], off, off offset:64
	scratch_load_b128 v[45:48], off, off offset:80
	v_dual_mov_b32 v163, v30 :: v_dual_mov_b32 v30, v29
	s_waitcnt vmcnt(0)
	v_mov_b32_e32 v74, v48
	v_dual_mov_b32 v66, v40 :: v_dual_mov_b32 v63, v37
	v_dual_mov_b32 v73, v47 :: v_dual_mov_b32 v64, v38
	;; [unrolled: 1-line block ×5, first 2 shown]
	v_mov_b32_e32 v69, v43
	v_dual_mov_b32 v67, v6 :: v_dual_mov_b32 v148, v160
	v_dual_mov_b32 v134, v74 :: v_dual_mov_b32 v133, v73
	;; [unrolled: 1-line block ×12, first 2 shown]
	v_mov_b32_e32 v128, v5
	v_dual_mov_b32 v152, v29 :: v_dual_mov_b32 v51, v123
	v_dual_mov_b32 v99, v147 :: v_dual_mov_b32 v108, v156
	;; [unrolled: 1-line block ×13, first 2 shown]
	v_mov_b32_e32 v57, v7
	v_dual_mov_b32 v39, v99 :: v_dual_mov_b32 v40, v100
	v_dual_mov_b32 v49, v109 :: v_dual_mov_b32 v50, v110
	s_delay_alu instid0(VALU_DEP_4)
	v_dual_mov_b32 v122, v62 :: v_dual_mov_b32 v121, v61
	v_dual_mov_b32 v43, v103 :: v_dual_mov_b32 v44, v104
	;; [unrolled: 1-line block ×10, first 2 shown]
	v_mov_b32_e32 v46, v32
	v_mov_b32_e32 v118, v8
	v_dual_mov_b32 v98, v50 :: v_dual_mov_b32 v93, v45
	v_dual_mov_b32 v97, v49 :: v_dual_mov_b32 v146, v122
	;; [unrolled: 1-line block ×13, first 2 shown]
	v_mov_b32_e32 v137, v113
	s_clause 0x2
	scratch_store_b128 off, v[63:66], off
	scratch_store_b128 off, v[67:70], off offset:16
	scratch_store_b128 off, v[71:74], off offset:32
	v_dual_mov_b32 v63, v87 :: v_dual_mov_b32 v66, v90
	v_dual_mov_b32 v75, v135 :: v_dual_mov_b32 v78, v138
	;; [unrolled: 1-line block ×15, first 2 shown]
	v_mov_b32_e32 v86, v12
	v_mov_b32_e32 v6, v5
.LBB265_35:
	s_or_b32 exec_lo, exec_lo, s2
	v_mov_b32_e32 v2, v19
	s_mov_b32 s2, exec_lo
	v_cmpx_lt_f32_e32 v1, v19
	s_cbranch_execz .LBB265_37
; %bb.36:
	s_clause 0x2
	scratch_load_b128 v[37:40], off, off
	scratch_load_b128 v[41:44], off, off offset:16
	scratch_load_b128 v[45:48], off, off offset:32
	v_mov_b32_e32 v164, v31
	v_dual_mov_b32 v2, v1 :: v_dual_mov_b32 v31, v30
	v_mov_b32_e32 v18, v19
	s_waitcnt vmcnt(0)
	v_dual_mov_b32 v134, v48 :: v_dual_mov_b32 v133, v47
	v_dual_mov_b32 v130, v44 :: v_dual_mov_b32 v127, v41
	;; [unrolled: 1-line block ×17, first 2 shown]
	v_mov_b32_e32 v61, v133
	v_mov_b32_e32 v57, v6
	;; [unrolled: 1-line block ×3, first 2 shown]
	v_dual_mov_b32 v62, v134 :: v_dual_mov_b32 v39, v99
	v_dual_mov_b32 v147, v159 :: v_dual_mov_b32 v148, v160
	s_delay_alu instid0(VALU_DEP_2)
	v_dual_mov_b32 v149, v161 :: v_dual_mov_b32 v122, v62
	v_dual_mov_b32 v120, v60 :: v_dual_mov_b32 v49, v109
	v_mov_b32_e32 v50, v110
	v_dual_mov_b32 v40, v100 :: v_dual_mov_b32 v119, v59
	v_dual_mov_b32 v118, v58 :: v_dual_mov_b32 v115, v55
	;; [unrolled: 1-line block ×6, first 2 shown]
	v_mov_b32_e32 v121, v61
	v_dual_mov_b32 v117, v57 :: v_dual_mov_b32 v116, v56
	v_dual_mov_b32 v113, v53 :: v_dual_mov_b32 v112, v52
	;; [unrolled: 1-line block ×3, first 2 shown]
	v_mov_b32_e32 v46, v32
	v_mov_b32_e32 v118, v8
	v_dual_mov_b32 v98, v50 :: v_dual_mov_b32 v95, v47
	v_dual_mov_b32 v97, v49 :: v_dual_mov_b32 v146, v122
	;; [unrolled: 1-line block ×4, first 2 shown]
	v_mov_b32_e32 v87, v39
	v_dual_mov_b32 v143, v9 :: v_dual_mov_b32 v96, v48
	v_dual_mov_b32 v93, v45 :: v_dual_mov_b32 v88, v40
	;; [unrolled: 1-line block ×8, first 2 shown]
	v_mov_b32_e32 v137, v113
	v_dual_mov_b32 v75, v135 :: v_dual_mov_b32 v78, v138
	v_dual_mov_b32 v63, v87 :: v_dual_mov_b32 v66, v90
	;; [unrolled: 1-line block ×14, first 2 shown]
	v_mov_b32_e32 v74, v36
	v_dual_mov_b32 v84, v10 :: v_dual_mov_b32 v85, v11
	v_dual_mov_b32 v150, v162 :: v_dual_mov_b32 v151, v163
	;; [unrolled: 1-line block ×5, first 2 shown]
	v_mov_b32_e32 v158, v170
	v_mov_b32_e32 v7, v6
.LBB265_37:
	s_or_b32 exec_lo, exec_lo, s2
	v_mov_b32_e32 v1, v20
	s_mov_b32 s2, exec_lo
	v_cmpx_lt_f32_e32 v2, v20
	s_cbranch_execz .LBB265_39
; %bb.38:
	v_mov_b32_e32 v129, v8
	v_mov_b32_e32 v153, v32
	v_dual_mov_b32 v111, v123 :: v_dual_mov_b32 v114, v126
	v_dual_mov_b32 v39, v147 :: v_dual_mov_b32 v40, v148
	;; [unrolled: 1-line block ×10, first 2 shown]
	v_mov_b32_e32 v120, v132
	v_dual_mov_b32 v116, v128 :: v_dual_mov_b32 v121, v133
	v_mov_b32_e32 v46, v31
	v_dual_mov_b32 v119, v131 :: v_dual_mov_b32 v98, v50
	v_dual_mov_b32 v118, v7 :: v_dual_mov_b32 v97, v49
	;; [unrolled: 1-line block ×13, first 2 shown]
	v_mov_b32_e32 v95, v33
	v_dual_mov_b32 v19, v20 :: v_dual_mov_b32 v20, v2
	v_mov_b32_e32 v143, v9
	v_dual_mov_b32 v63, v87 :: v_dual_mov_b32 v68, v92
	v_dual_mov_b32 v64, v88 :: v_dual_mov_b32 v75, v135
	;; [unrolled: 1-line block ×11, first 2 shown]
	v_mov_b32_e32 v70, v94
	v_dual_mov_b32 v66, v90 :: v_dual_mov_b32 v71, v95
	v_dual_mov_b32 v76, v136 :: v_dual_mov_b32 v77, v137
	;; [unrolled: 1-line block ×15, first 2 shown]
	v_mov_b32_e32 v110, v158
	v_dual_mov_b32 v1, v2 :: v_dual_mov_b32 v8, v7
	v_mov_b32_e32 v32, v31
.LBB265_39:
	s_or_b32 exec_lo, exec_lo, s2
	v_mov_b32_e32 v2, v21
	s_mov_b32 s2, exec_lo
	v_cmpx_lt_f32_e32 v1, v21
	s_cbranch_execz .LBB265_41
; %bb.40:
	v_mov_b32_e32 v58, v9
	v_mov_b32_e32 v106, v33
	v_dual_mov_b32 v146, v62 :: v_dual_mov_b32 v143, v59
	v_mov_b32_e32 v87, v99
	s_delay_alu instid0(VALU_DEP_3)
	v_dual_mov_b32 v141, v57 :: v_dual_mov_b32 v94, v106
	v_dual_mov_b32 v95, v107 :: v_dual_mov_b32 v140, v56
	v_dual_mov_b32 v135, v51 :: v_dual_mov_b32 v96, v108
	v_dual_mov_b32 v97, v109 :: v_dual_mov_b32 v98, v110
	v_dual_mov_b32 v145, v61 :: v_dual_mov_b32 v144, v60
	v_dual_mov_b32 v139, v55 :: v_dual_mov_b32 v138, v54
	v_mov_b32_e32 v95, v32
	v_dual_mov_b32 v143, v8 :: v_dual_mov_b32 v20, v21
	v_dual_mov_b32 v88, v100 :: v_dual_mov_b32 v89, v101
	;; [unrolled: 1-line block ×7, first 2 shown]
	s_delay_alu instid0(VALU_DEP_2)
	v_dual_mov_b32 v75, v135 :: v_dual_mov_b32 v76, v136
	v_dual_mov_b32 v122, v62 :: v_dual_mov_b32 v117, v57
	;; [unrolled: 1-line block ×25, first 2 shown]
	v_mov_b32_e32 v48, v108
	v_dual_mov_b32 v50, v110 :: v_dual_mov_b32 v9, v8
	v_dual_mov_b32 v2, v1 :: v_dual_mov_b32 v33, v32
.LBB265_41:
	s_or_b32 exec_lo, exec_lo, s2
	v_mov_b32_e32 v3, v22
	s_mov_b32 s2, exec_lo
	s_delay_alu instid0(VALU_DEP_2)
	v_cmpx_lt_f32_e32 v2, v22
	s_cbranch_execz .LBB265_43
; %bb.42:
	v_mov_b32_e32 v47, v34
	v_mov_b32_e32 v74, v50
	v_dual_mov_b32 v21, v22 :: v_dual_mov_b32 v72, v48
	v_dual_mov_b32 v72, v33 :: v_dual_mov_b32 v119, v10
	;; [unrolled: 1-line block ×3, first 2 shown]
	v_mov_b32_e32 v78, v114
	v_dual_mov_b32 v22, v2 :: v_dual_mov_b32 v73, v49
	v_dual_mov_b32 v81, v117 :: v_dual_mov_b32 v84, v120
	;; [unrolled: 1-line block ×7, first 2 shown]
	v_mov_b32_e32 v69, v45
	v_dual_mov_b32 v67, v43 :: v_dual_mov_b32 v66, v42
	v_dual_mov_b32 v65, v41 :: v_dual_mov_b32 v64, v40
	;; [unrolled: 1-line block ×18, first 2 shown]
	v_mov_b32_e32 v34, v33
.LBB265_43:
	s_or_b32 exec_lo, exec_lo, s2
	v_mov_b32_e32 v1, v23
	s_mov_b32 s2, exec_lo
	v_cmpx_lt_f32_e32 v3, v23
	s_cbranch_execz .LBB265_45
; %bb.44:
	v_dual_mov_b32 v144, v11 :: v_dual_mov_b32 v145, v10
	v_dual_mov_b32 v96, v35 :: v_dual_mov_b32 v97, v34
	v_mov_b32_e32 v146, v12
	v_mov_b32_e32 v22, v23
	v_dual_mov_b32 v23, v3 :: v_dual_mov_b32 v98, v36
	v_dual_mov_b32 v75, v135 :: v_dual_mov_b32 v84, v144
	;; [unrolled: 1-line block ×3, first 2 shown]
	v_mov_b32_e32 v79, v139
	v_dual_mov_b32 v77, v137 :: v_dual_mov_b32 v78, v138
	v_dual_mov_b32 v81, v141 :: v_dual_mov_b32 v80, v140
	;; [unrolled: 1-line block ×10, first 2 shown]
.LBB265_45:
	s_or_b32 exec_lo, exec_lo, s2
	s_delay_alu instid0(VALU_DEP_1)
	v_cmp_lt_f32_e32 vcc_lo, v1, v24
	v_mov_b32_e32 v42, v78
	v_cmp_lt_f32_e64 s2, v13, v14
	v_dual_mov_b32 v40, v76 :: v_dual_mov_b32 v41, v77
	v_dual_cndmask_b32 v12, v24, v1 :: v_dual_mov_b32 v43, v79
	v_dual_cndmask_b32 v23, v23, v24 :: v_dual_cndmask_b32 v50, v86, v85
	s_delay_alu instid0(VALU_DEP_2) | instskip(SKIP_2) | instid1(VALU_DEP_3)
	v_dual_mov_b32 v39, v75 :: v_dual_mov_b32 v24, v12
	v_dual_cndmask_b32 v49, v85, v86 :: v_dual_mov_b32 v44, v80
	v_dual_cndmask_b32 v61, v73, v74 :: v_dual_cndmask_b32 v62, v74, v73
	v_dual_mov_b32 v38, v24 :: v_dual_mov_b32 v35, v21
	v_dual_mov_b32 v37, v23 :: v_dual_mov_b32 v36, v22
	;; [unrolled: 1-line block ×13, first 2 shown]
	s_and_saveexec_b32 s3, s2
	s_delay_alu instid0(SALU_CYCLE_1)
	s_xor_b32 s2, exec_lo, s3
	s_cbranch_execz .LBB265_47
; %bb.46:
	v_dual_mov_b32 v1, v14 :: v_dual_mov_b32 v2, v13
	v_dual_mov_b32 v3, v15 :: v_dual_mov_b32 v4, v16
	;; [unrolled: 1-line block ×6, first 2 shown]
	s_delay_alu instid0(VALU_DEP_2) | instskip(NEXT) | instid1(VALU_DEP_2)
	v_dual_mov_b32 v38, v12 :: v_dual_mov_b32 v35, v9
	v_dual_mov_b32 v36, v10 :: v_dual_mov_b32 v37, v11
	;; [unrolled: 1-line block ×16, first 2 shown]
.LBB265_47:
	s_or_b32 exec_lo, exec_lo, s2
	v_dual_mov_b32 v13, v29 :: v_dual_mov_b32 v122, v50
	v_dual_mov_b32 v15, v39 :: v_dual_mov_b32 v16, v40
	;; [unrolled: 1-line block ×30, first 2 shown]
	v_mov_b32_e32 v135, v39
	s_clause 0x2
	scratch_store_b128 off, v[39:42], off offset:48
	scratch_store_b128 off, v[43:46], off offset:64
	;; [unrolled: 1-line block ×3, first 2 shown]
	v_dual_mov_b32 v1, v51 :: v_dual_mov_b32 v4, v54
	v_dual_mov_b32 v11, v61 :: v_dual_mov_b32 v74, v62
	;; [unrolled: 1-line block ×34, first 2 shown]
	v_mov_b32_e32 v159, v51
	s_mov_b32 s2, exec_lo
	v_dual_mov_b32 v73, v61 :: v_dual_mov_b32 v72, v60
	v_mov_b32_e32 v2, v52
	s_clause 0x2
	scratch_store_b128 off, v[51:54], off
	scratch_store_b128 off, v[55:58], off offset:16
	scratch_store_b128 off, v[59:62], off offset:32
	v_dual_mov_b32 v182, v50 :: v_dual_mov_b32 v181, v49
	v_dual_mov_b32 v180, v48 :: v_dual_mov_b32 v179, v47
	;; [unrolled: 1-line block ×6, first 2 shown]
	v_cmpx_lt_f32_e32 v14, v29
	s_cbranch_execz .LBB265_49
; %bb.48:
	v_dual_mov_b32 v170, v62 :: v_dual_mov_b32 v169, v61
	v_dual_mov_b32 v162, v54 :: v_dual_mov_b32 v161, v53
	;; [unrolled: 1-line block ×7, first 2 shown]
	s_clause 0x2
	scratch_store_b128 off, v[159:162], off
	scratch_store_b128 off, v[163:166], off offset:16
	scratch_store_b128 off, v[167:170], off offset:32
	v_dual_mov_b32 v182, v50 :: v_dual_mov_b32 v181, v49
	v_dual_mov_b32 v172, v40 :: v_dual_mov_b32 v171, v39
	;; [unrolled: 1-line block ×8, first 2 shown]
	s_delay_alu instid0(VALU_DEP_3)
	v_dual_mov_b32 v140, v176 :: v_dual_mov_b32 v141, v177
	v_dual_mov_b32 v138, v174 :: v_dual_mov_b32 v139, v175
	;; [unrolled: 1-line block ×3, first 2 shown]
	v_mov_b32_e32 v146, v182
	v_dual_mov_b32 v136, v172 :: v_dual_mov_b32 v137, v173
	v_mov_b32_e32 v138, v42
	v_dual_mov_b32 v142, v178 :: v_dual_mov_b32 v143, v179
	v_mov_b32_e32 v53, v52
	v_mov_b32_e32 v139, v43
	;; [unrolled: 1-line block ×3, first 2 shown]
	v_dual_mov_b32 v147, v159 :: v_dual_mov_b32 v148, v160
	v_mov_b32_e32 v151, v163
	v_dual_mov_b32 v149, v161 :: v_dual_mov_b32 v150, v162
	v_dual_mov_b32 v153, v165 :: v_dual_mov_b32 v152, v164
	;; [unrolled: 1-line block ×16, first 2 shown]
	v_mov_b32_e32 v122, v146
	v_dual_mov_b32 v114, v138 :: v_dual_mov_b32 v117, v141
	v_dual_mov_b32 v116, v140 :: v_dual_mov_b32 v119, v143
	;; [unrolled: 1-line block ×14, first 2 shown]
	v_mov_b32_e32 v82, v118
	v_dual_mov_b32 v76, v112 :: v_dual_mov_b32 v81, v117
	v_dual_mov_b32 v80, v116 :: v_dual_mov_b32 v85, v121
	;; [unrolled: 1-line block ×6, first 2 shown]
	v_mov_b32_e32 v81, v45
	v_dual_mov_b32 v65, v89 :: v_dual_mov_b32 v72, v96
	v_mov_b32_e32 v29, v14
	s_delay_alu instid0(VALU_DEP_3)
	v_dual_mov_b32 v110, v86 :: v_dual_mov_b32 v105, v81
	v_dual_mov_b32 v70, v94 :: v_dual_mov_b32 v73, v97
	;; [unrolled: 1-line block ×11, first 2 shown]
	v_mov_b32_e32 v106, v46
	s_clause 0x2
	scratch_store_b128 off, v[1:4], off offset:48
	scratch_store_b128 off, v[5:8], off offset:64
	;; [unrolled: 1-line block ×3, first 2 shown]
	v_dual_mov_b32 v100, v76 :: v_dual_mov_b32 v1, v63
	v_dual_mov_b32 v10, v72 :: v_dual_mov_b32 v3, v65
	v_dual_mov_b32 v10, v60 :: v_dual_mov_b32 v15, v99
	v_dual_mov_b32 v6, v68 :: v_dual_mov_b32 v9, v71
	v_dual_mov_b32 v8, v70 :: v_dual_mov_b32 v11, v73
	v_dual_mov_b32 v12, v74 :: v_dual_mov_b32 v11, v61
	v_dual_mov_b32 v20, v104 :: v_dual_mov_b32 v23, v107
	v_dual_mov_b32 v22, v106 :: v_dual_mov_b32 v25, v109
	v_dual_mov_b32 v24, v108 :: v_dual_mov_b32 v23, v47
	v_dual_mov_b32 v26, v110 :: v_dual_mov_b32 v25, v49
	v_dual_mov_b32 v2, v64 :: v_dual_mov_b32 v5, v67
	v_dual_mov_b32 v4, v66 :: v_dual_mov_b32 v7, v69
	v_dual_mov_b32 v9, v59 :: v_dual_mov_b32 v12, v62
	v_dual_mov_b32 v17, v101 :: v_dual_mov_b32 v16, v100
	v_dual_mov_b32 v19, v103 :: v_dual_mov_b32 v18, v102
	v_dual_mov_b32 v21, v105 :: v_dual_mov_b32 v24, v48
	v_mov_b32_e32 v26, v50
.LBB265_49:
	s_or_b32 exec_lo, exec_lo, s2
	v_mov_b32_e32 v14, v30
	s_mov_b32 s2, exec_lo
	v_cmpx_lt_f32_e32 v13, v30
	s_cbranch_execz .LBB265_51
; %bb.50:
	s_clause 0x2
	scratch_load_b128 v[1:4], off, off
	scratch_load_b128 v[5:8], off, off offset:16
	scratch_load_b128 v[9:12], off, off offset:32
	v_mov_b32_e32 v161, v54
	v_dual_mov_b32 v29, v30 :: v_dual_mov_b32 v30, v13
	v_mov_b32_e32 v54, v53
	s_waitcnt vmcnt(0)
	v_dual_mov_b32 v170, v12 :: v_dual_mov_b32 v169, v11
	v_mov_b32_e32 v162, v4
	v_dual_mov_b32 v162, v53 :: v_dual_mov_b32 v173, v42
	v_dual_mov_b32 v160, v2 :: v_dual_mov_b32 v135, v171
	;; [unrolled: 1-line block ×4, first 2 shown]
	v_mov_b32_e32 v165, v7
	s_delay_alu instid0(VALU_DEP_3)
	v_dual_mov_b32 v1, v159 :: v_dual_mov_b32 v2, v160
	v_dual_mov_b32 v136, v172 :: v_dual_mov_b32 v3, v161
	v_mov_b32_e32 v138, v174
	v_dual_mov_b32 v164, v6 :: v_dual_mov_b32 v163, v5
	s_clause 0x2
	scratch_store_b128 off, v[1:4], off
	scratch_store_b128 off, v[5:8], off offset:16
	scratch_store_b128 off, v[9:12], off offset:32
	v_dual_mov_b32 v137, v173 :: v_dual_mov_b32 v140, v176
	v_dual_mov_b32 v138, v41 :: v_dual_mov_b32 v147, v159
	;; [unrolled: 1-line block ×12, first 2 shown]
	v_mov_b32_e32 v139, v43
	v_dual_mov_b32 v123, v147 :: v_dual_mov_b32 v126, v150
	v_dual_mov_b32 v124, v148 :: v_dual_mov_b32 v111, v135
	;; [unrolled: 1-line block ×3, first 2 shown]
	s_delay_alu instid0(VALU_DEP_4)
	v_dual_mov_b32 v128, v152 :: v_dual_mov_b32 v115, v139
	v_dual_mov_b32 v116, v140 :: v_dual_mov_b32 v121, v145
	;; [unrolled: 1-line block ×6, first 2 shown]
	v_mov_b32_e32 v128, v56
	v_dual_mov_b32 v116, v44 :: v_dual_mov_b32 v87, v123
	v_dual_mov_b32 v113, v137 :: v_dual_mov_b32 v114, v138
	;; [unrolled: 1-line block ×17, first 2 shown]
	v_mov_b32_e32 v81, v45
	v_dual_mov_b32 v7, v141 :: v_dual_mov_b32 v8, v142
	v_dual_mov_b32 v9, v143 :: v_dual_mov_b32 v10, v144
	;; [unrolled: 1-line block ×5, first 2 shown]
	v_mov_b32_e32 v64, v88
	v_dual_mov_b32 v110, v86 :: v_dual_mov_b32 v109, v85
	v_dual_mov_b32 v65, v89 :: v_dual_mov_b32 v68, v92
	;; [unrolled: 1-line block ×10, first 2 shown]
	v_mov_b32_e32 v102, v78
	v_dual_mov_b32 v42, v41 :: v_dual_mov_b32 v103, v79
	v_mov_b32_e32 v100, v76
	v_mov_b32_e32 v106, v46
	s_clause 0x2
	scratch_store_b128 off, v[1:4], off offset:48
	scratch_store_b128 off, v[5:8], off offset:64
	;; [unrolled: 1-line block ×3, first 2 shown]
	v_mov_b32_e32 v1, v63
	v_mov_b32_e32 v5, v67
	v_dual_mov_b32 v3, v65 :: v_dual_mov_b32 v12, v74
	v_dual_mov_b32 v15, v99 :: v_dual_mov_b32 v4, v66
	;; [unrolled: 1-line block ×14, first 2 shown]
	v_mov_b32_e32 v24, v48
	v_mov_b32_e32 v26, v50
.LBB265_51:
	s_or_b32 exec_lo, exec_lo, s2
	v_mov_b32_e32 v13, v31
	s_mov_b32 s2, exec_lo
	v_cmpx_lt_f32_e32 v14, v31
	s_cbranch_execz .LBB265_53
; %bb.52:
	s_clause 0x2
	scratch_load_b128 v[1:4], off, off
	scratch_load_b128 v[5:8], off, off offset:16
	scratch_load_b128 v[9:12], off, off offset:32
	v_dual_mov_b32 v30, v31 :: v_dual_mov_b32 v31, v14
	v_dual_mov_b32 v13, v14 :: v_dual_mov_b32 v162, v55
	v_mov_b32_e32 v55, v54
	s_waitcnt vmcnt(2)
	v_dual_mov_b32 v161, v3 :: v_dual_mov_b32 v160, v2
	s_waitcnt vmcnt(0)
	v_dual_mov_b32 v159, v1 :: v_dual_mov_b32 v170, v12
	v_dual_mov_b32 v169, v11 :: v_dual_mov_b32 v168, v10
	;; [unrolled: 1-line block ×8, first 2 shown]
	s_delay_alu instid0(VALU_DEP_4)
	v_dual_mov_b32 v151, v163 :: v_dual_mov_b32 v156, v168
	v_dual_mov_b32 v157, v169 :: v_dual_mov_b32 v136, v172
	;; [unrolled: 1-line block ×8, first 2 shown]
	v_mov_b32_e32 v145, v181
	v_mov_b32_e32 v139, v42
	;; [unrolled: 1-line block ×3, first 2 shown]
	v_dual_mov_b32 v146, v182 :: v_dual_mov_b32 v123, v147
	v_dual_mov_b32 v111, v135 :: v_dual_mov_b32 v112, v136
	;; [unrolled: 1-line block ×3, first 2 shown]
	s_delay_alu instid0(VALU_DEP_4)
	v_dual_mov_b32 v124, v148 :: v_dual_mov_b32 v127, v151
	v_dual_mov_b32 v128, v152 :: v_dual_mov_b32 v131, v155
	;; [unrolled: 1-line block ×9, first 2 shown]
	v_mov_b32_e32 v120, v144
	v_dual_mov_b32 v116, v44 :: v_dual_mov_b32 v87, v123
	v_mov_b32_e32 v114, v138
	v_dual_mov_b32 v98, v134 :: v_dual_mov_b32 v75, v111
	v_dual_mov_b32 v88, v124 :: v_dual_mov_b32 v89, v125
	;; [unrolled: 1-line block ×3, first 2 shown]
	v_mov_b32_e32 v86, v122
	v_dual_mov_b32 v90, v126 :: v_dual_mov_b32 v91, v127
	v_dual_mov_b32 v92, v128 :: v_dual_mov_b32 v93, v129
	;; [unrolled: 1-line block ×8, first 2 shown]
	v_mov_b32_e32 v79, v115
	v_mov_b32_e32 v81, v45
	v_dual_mov_b32 v63, v87 :: v_dual_mov_b32 v66, v90
	v_dual_mov_b32 v64, v88 :: v_dual_mov_b32 v73, v97
	;; [unrolled: 1-line block ×9, first 2 shown]
	v_mov_b32_e32 v108, v84
	v_dual_mov_b32 v106, v46 :: v_dual_mov_b32 v1, v63
	v_dual_mov_b32 v105, v81 :: v_dual_mov_b32 v104, v80
	;; [unrolled: 1-line block ×19, first 2 shown]
	v_mov_b32_e32 v26, v50
	v_mov_b32_e32 v43, v42
	s_clause 0x2
	scratch_store_b128 off, v[171:174], off offset:48
	scratch_store_b128 off, v[175:178], off offset:64
	;; [unrolled: 1-line block ×3, first 2 shown]
.LBB265_53:
	s_or_b32 exec_lo, exec_lo, s2
	v_mov_b32_e32 v14, v32
	s_mov_b32 s2, exec_lo
	v_cmpx_lt_f32_e32 v13, v32
	s_cbranch_execz .LBB265_55
; %bb.54:
	s_clause 0x2
	scratch_load_b128 v[1:4], off, off offset:48
	scratch_load_b128 v[5:8], off, off offset:64
	;; [unrolled: 1-line block ×3, first 2 shown]
	v_dual_mov_b32 v163, v56 :: v_dual_mov_b32 v14, v13
	v_dual_mov_b32 v56, v55 :: v_dual_mov_b32 v31, v32
	s_waitcnt vmcnt(2)
	v_dual_mov_b32 v138, v4 :: v_dual_mov_b32 v137, v3
	s_waitcnt vmcnt(0)
	v_dual_mov_b32 v146, v12 :: v_dual_mov_b32 v145, v11
	v_dual_mov_b32 v136, v2 :: v_dual_mov_b32 v135, v1
	;; [unrolled: 1-line block ×17, first 2 shown]
	v_mov_b32_e32 v120, v144
	v_mov_b32_e32 v116, v43
	v_dual_mov_b32 v87, v123 :: v_dual_mov_b32 v88, v124
	v_dual_mov_b32 v89, v125 :: v_dual_mov_b32 v98, v134
	;; [unrolled: 1-line block ×12, first 2 shown]
	v_mov_b32_e32 v79, v115
	v_mov_b32_e32 v81, v45
	v_dual_mov_b32 v63, v87 :: v_dual_mov_b32 v66, v90
	v_dual_mov_b32 v64, v88 :: v_dual_mov_b32 v73, v97
	;; [unrolled: 1-line block ×8, first 2 shown]
	v_mov_b32_e32 v70, v58
	v_dual_mov_b32 v106, v46 :: v_dual_mov_b32 v65, v89
	v_dual_mov_b32 v68, v92 :: v_dual_mov_b32 v105, v81
	;; [unrolled: 1-line block ×4, first 2 shown]
	v_mov_b32_e32 v100, v76
	v_dual_mov_b32 v32, v13 :: v_dual_mov_b32 v1, v63
	v_dual_mov_b32 v12, v74 :: v_dual_mov_b32 v15, v99
	v_mov_b32_e32 v26, v110
	v_dual_mov_b32 v8, v70 :: v_dual_mov_b32 v9, v71
	v_dual_mov_b32 v10, v72 :: v_dual_mov_b32 v11, v73
	;; [unrolled: 1-line block ×20, first 2 shown]
	v_mov_b32_e32 v44, v43
.LBB265_55:
	s_or_b32 exec_lo, exec_lo, s2
	v_mov_b32_e32 v13, v33
	s_mov_b32 s2, exec_lo
	v_cmpx_lt_f32_e32 v14, v33
	s_cbranch_execz .LBB265_57
; %bb.56:
	v_mov_b32_e32 v140, v45
	v_dual_mov_b32 v152, v57 :: v_dual_mov_b32 v75, v135
	v_dual_mov_b32 v87, v147 :: v_dual_mov_b32 v90, v150
	;; [unrolled: 1-line block ×3, first 2 shown]
	s_delay_alu instid0(VALU_DEP_3)
	v_dual_mov_b32 v92, v152 :: v_dual_mov_b32 v93, v153
	v_dual_mov_b32 v76, v136 :: v_dual_mov_b32 v79, v139
	;; [unrolled: 1-line block ×6, first 2 shown]
	v_mov_b32_e32 v93, v56
	v_dual_mov_b32 v84, v144 :: v_dual_mov_b32 v63, v87
	v_dual_mov_b32 v78, v138 :: v_dual_mov_b32 v81, v141
	v_dual_mov_b32 v82, v142 :: v_dual_mov_b32 v85, v145
	v_dual_mov_b32 v80, v140 :: v_dual_mov_b32 v83, v143
	v_dual_mov_b32 v81, v44 :: v_dual_mov_b32 v66, v90
	s_delay_alu instid0(VALU_DEP_3) | instskip(SKIP_1) | instid1(VALU_DEP_4)
	v_dual_mov_b32 v110, v86 :: v_dual_mov_b32 v109, v85
	v_dual_mov_b32 v100, v76 :: v_dual_mov_b32 v99, v75
	;; [unrolled: 1-line block ×11, first 2 shown]
	v_mov_b32_e32 v106, v46
	v_dual_mov_b32 v70, v58 :: v_dual_mov_b32 v15, v99
	v_dual_mov_b32 v1, v63 :: v_dual_mov_b32 v24, v108
	;; [unrolled: 1-line block ×3, first 2 shown]
	s_delay_alu instid0(VALU_DEP_3)
	v_dual_mov_b32 v8, v70 :: v_dual_mov_b32 v9, v71
	v_dual_mov_b32 v10, v72 :: v_dual_mov_b32 v11, v73
	;; [unrolled: 1-line block ×26, first 2 shown]
	v_mov_b32_e32 v13, v14
	v_dual_mov_b32 v134, v158 :: v_dual_mov_b32 v45, v44
	v_mov_b32_e32 v57, v56
.LBB265_57:
	s_or_b32 exec_lo, exec_lo, s2
	v_mov_b32_e32 v14, v34
	s_mov_b32 s2, exec_lo
	v_cmpx_lt_f32_e32 v13, v34
	s_cbranch_execz .LBB265_59
; %bb.58:
	v_mov_b32_e32 v129, v58
	v_dual_mov_b32 v63, v123 :: v_dual_mov_b32 v70, v130
	v_dual_mov_b32 v70, v57 :: v_dual_mov_b32 v71, v131
	;; [unrolled: 1-line block ×22, first 2 shown]
	v_mov_b32_e32 v34, v13
	v_dual_mov_b32 v3, v65 :: v_dual_mov_b32 v4, v66
	v_dual_mov_b32 v5, v67 :: v_dual_mov_b32 v6, v68
	;; [unrolled: 1-line block ×20, first 2 shown]
	v_mov_b32_e32 v14, v13
	v_mov_b32_e32 v46, v45
	;; [unrolled: 1-line block ×3, first 2 shown]
.LBB265_59:
	s_or_b32 exec_lo, exec_lo, s2
	v_mov_b32_e32 v13, v35
	s_mov_b32 s2, exec_lo
	v_cmpx_lt_f32_e32 v14, v35
	s_cbranch_execz .LBB265_61
; %bb.60:
	v_mov_b32_e32 v94, v59
	v_dual_mov_b32 v34, v35 :: v_dual_mov_b32 v35, v14
	v_mov_b32_e32 v82, v47
	v_dual_mov_b32 v1, v87 :: v_dual_mov_b32 v2, v88
	v_dual_mov_b32 v10, v96 :: v_dual_mov_b32 v7, v93
	;; [unrolled: 1-line block ×13, first 2 shown]
	v_mov_b32_e32 v5, v91
	v_mov_b32_e32 v9, v58
	v_dual_mov_b32 v12, v62 :: v_dual_mov_b32 v17, v77
	v_dual_mov_b32 v16, v76 :: v_dual_mov_b32 v19, v79
	v_dual_mov_b32 v18, v78 :: v_dual_mov_b32 v21, v81
	v_dual_mov_b32 v24, v48 :: v_dual_mov_b32 v109, v85
	v_dual_mov_b32 v26, v50 :: v_dual_mov_b32 v107, v83
	v_dual_mov_b32 v108, v84 :: v_dual_mov_b32 v103, v79
	v_dual_mov_b32 v106, v82 :: v_dual_mov_b32 v101, v77
	v_dual_mov_b32 v104, v80 :: v_dual_mov_b32 v99, v75
	v_dual_mov_b32 v100, v76 :: v_dual_mov_b32 v65, v89
	v_dual_mov_b32 v64, v88 :: v_dual_mov_b32 v67, v91
	v_dual_mov_b32 v66, v90 :: v_dual_mov_b32 v69, v93
	v_dual_mov_b32 v68, v92 :: v_dual_mov_b32 v71, v95
	v_dual_mov_b32 v70, v94 :: v_dual_mov_b32 v73, v97
	v_dual_mov_b32 v72, v96 :: v_dual_mov_b32 v13, v14
	v_mov_b32_e32 v47, v46
	v_mov_b32_e32 v59, v58
	;; [unrolled: 1-line block ×3, first 2 shown]
.LBB265_61:
	s_or_b32 exec_lo, exec_lo, s2
	v_mov_b32_e32 v39, v36
	s_mov_b32 s2, exec_lo
	v_cmpx_lt_f32_e32 v13, v36
	s_cbranch_execz .LBB265_63
; %bb.62:
	v_dual_mov_b32 v71, v60 :: v_dual_mov_b32 v72, v59
	v_dual_mov_b32 v73, v61 :: v_dual_mov_b32 v108, v47
	;; [unrolled: 1-line block ×17, first 2 shown]
	v_mov_b32_e32 v39, v13
.LBB265_63:
	s_or_b32 exec_lo, exec_lo, s2
	s_delay_alu instid0(VALU_DEP_1)
	v_cmp_lt_f32_e32 vcc_lo, v39, v37
	v_dual_mov_b32 v40, v28 :: v_dual_mov_b32 v43, v31
	v_dual_mov_b32 v42, v30 :: v_dual_mov_b32 v45, v33
	v_dual_cndmask_b32 v13, v25, v24 :: v_dual_cndmask_b32 v24, v24, v25
	v_dual_cndmask_b32 v14, v11, v10 :: v_dual_cndmask_b32 v49, v37, v39
	v_dual_cndmask_b32 v10, v10, v11 :: v_dual_mov_b32 v39, v27
	v_dual_cndmask_b32 v48, v36, v37 :: v_dual_mov_b32 v41, v29
	v_dual_mov_b32 v44, v32 :: v_dual_mov_b32 v47, v35
	v_mov_b32_e32 v46, v34
	v_mov_b32_e32 v50, v38
	s_mov_b32 s2, exec_lo
	v_cmpx_lt_f32_e32 v27, v28
	s_cbranch_execz .LBB265_65
; %bb.64:
	v_dual_mov_b32 v28, v40 :: v_dual_mov_b32 v29, v39
	v_dual_mov_b32 v38, v49 :: v_dual_mov_b32 v39, v50
	;; [unrolled: 1-line block ×7, first 2 shown]
	v_mov_b32_e32 v11, v15
	v_swap_b32 v15, v16
	s_delay_alu instid0(VALU_DEP_4)
	v_mov_b32_e32 v48, v37
	v_swap_b32 v1, v2
	v_dual_mov_b32 v49, v38 :: v_dual_mov_b32 v46, v35
	v_dual_mov_b32 v47, v36 :: v_dual_mov_b32 v44, v33
	;; [unrolled: 1-line block ×4, first 2 shown]
	v_mov_b32_e32 v41, v30
	v_dual_mov_b32 v39, v28 :: v_dual_mov_b32 v28, v27
.LBB265_65:
	s_or_b32 exec_lo, exec_lo, s2
	v_mov_b32_e32 v11, v14
	v_dual_mov_b32 v25, v13 :: v_dual_mov_b32 v62, v12
	v_dual_mov_b32 v74, v26 :: v_dual_mov_b32 v63, v15
	v_mov_b32_e32 v86, v26
	v_dual_mov_b32 v72, v24 :: v_dual_mov_b32 v75, v15
	v_dual_mov_b32 v110, v26 :: v_dual_mov_b32 v53, v3
	;; [unrolled: 1-line block ×61, first 2 shown]
	v_mov_b32_e32 v149, v3
	v_mov_b32_e32 v147, v1
	;; [unrolled: 1-line block ×3, first 2 shown]
	s_mov_b32 s2, exec_lo
	v_dual_mov_b32 v85, v25 :: v_dual_mov_b32 v84, v24
	v_dual_mov_b32 v83, v23 :: v_dual_mov_b32 v82, v22
	s_clause 0x2
	scratch_store_b128 off, v[1:4], off
	scratch_store_b128 off, v[5:8], off offset:16
	scratch_store_b128 off, v[9:12], off offset:32
	v_cmpx_lt_f32_e32 v28, v41
	s_cbranch_execz .LBB265_67
; %bb.66:
	v_dual_mov_b32 v158, v12 :: v_dual_mov_b32 v157, v11
	v_dual_mov_b32 v150, v4 :: v_dual_mov_b32 v149, v3
	;; [unrolled: 1-line block ×7, first 2 shown]
	s_clause 0x2
	scratch_store_b128 off, v[147:150], off
	scratch_store_b128 off, v[151:154], off offset:16
	scratch_store_b128 off, v[155:158], off offset:32
	v_dual_mov_b32 v182, v26 :: v_dual_mov_b32 v181, v25
	v_dual_mov_b32 v172, v16 :: v_dual_mov_b32 v171, v15
	;; [unrolled: 1-line block ×8, first 2 shown]
	s_delay_alu instid0(VALU_DEP_4) | instskip(SKIP_1) | instid1(VALU_DEP_4)
	v_dual_mov_b32 v160, v172 :: v_dual_mov_b32 v161, v173
	v_dual_mov_b32 v162, v174 :: v_dual_mov_b32 v163, v175
	v_dual_mov_b32 v164, v176 :: v_dual_mov_b32 v165, v177
	v_dual_mov_b32 v168, v180 :: v_dual_mov_b32 v169, v181
	v_mov_b32_e32 v170, v182
	v_dual_mov_b32 v166, v178 :: v_dual_mov_b32 v167, v179
	v_mov_b32_e32 v162, v18
	v_dual_mov_b32 v40, v41 :: v_dual_mov_b32 v41, v28
	v_mov_b32_e32 v3, v2
	v_mov_b32_e32 v17, v16
	;; [unrolled: 1-line block ×3, first 2 shown]
	v_dual_mov_b32 v137, v149 :: v_dual_mov_b32 v144, v156
	v_dual_mov_b32 v123, v159 :: v_dual_mov_b32 v136, v148
	;; [unrolled: 1-line block ×12, first 2 shown]
	v_mov_b32_e32 v133, v169
	v_dual_mov_b32 v111, v135 :: v_dual_mov_b32 v112, v136
	v_dual_mov_b32 v99, v123 :: v_dual_mov_b32 v100, v124
	;; [unrolled: 1-line block ×12, first 2 shown]
	v_mov_b32_e32 v104, v20
	v_dual_mov_b32 v116, v6 :: v_dual_mov_b32 v75, v99
	v_mov_b32_e32 v87, v111
	v_dual_mov_b32 v93, v117 :: v_dual_mov_b32 v78, v102
	s_delay_alu instid0(VALU_DEP_3)
	v_dual_mov_b32 v81, v105 :: v_dual_mov_b32 v92, v116
	v_dual_mov_b32 v90, v114 :: v_dual_mov_b32 v91, v115
	;; [unrolled: 1-line block ×11, first 2 shown]
	v_mov_b32_e32 v51, v87
	v_dual_mov_b32 v63, v75 :: v_dual_mov_b32 v66, v78
	v_dual_mov_b32 v55, v91 :: v_dual_mov_b32 v58, v94
	;; [unrolled: 1-line block ×13, first 2 shown]
	v_mov_b32_e32 v60, v10
	v_dual_mov_b32 v61, v14 :: v_dual_mov_b32 v62, v12
	v_dual_mov_b32 v70, v22 :: v_dual_mov_b32 v71, v23
	;; [unrolled: 1-line block ×3, first 2 shown]
	v_mov_b32_e32 v74, v26
.LBB265_67:
	s_or_b32 exec_lo, exec_lo, s2
	v_mov_b32_e32 v1, v42
	v_cmp_lt_f32_e32 vcc_lo, v11, v42
	s_mov_b32 s2, exec_lo
	s_clause 0x2
	scratch_load_b128 v[27:30], off, off
	scratch_load_b128 v[31:34], off, off offset:16
	scratch_load_b128 v[35:38], off, off offset:32
	s_and_b32 s3, s2, vcc_lo
	s_delay_alu instid0(SALU_CYCLE_1)
	s_mov_b32 exec_lo, s3
	s_cbranch_execz .LBB265_69
; %bb.68:
	v_mov_b32_e32 v173, v18
	s_waitcnt vmcnt(2)
	v_mov_b32_e32 v29, v4
	v_dual_mov_b32 v159, v171 :: v_dual_mov_b32 v162, v174
	s_waitcnt vmcnt(0)
	v_dual_mov_b32 v158, v38 :: v_dual_mov_b32 v157, v37
	v_dual_mov_b32 v156, v36 :: v_dual_mov_b32 v147, v27
	;; [unrolled: 1-line block ×6, first 2 shown]
	v_mov_b32_e32 v168, v180
	v_dual_mov_b32 v164, v176 :: v_dual_mov_b32 v165, v177
	v_dual_mov_b32 v170, v182 :: v_dual_mov_b32 v155, v35
	;; [unrolled: 1-line block ×4, first 2 shown]
	v_mov_b32_e32 v162, v17
	v_dual_mov_b32 v169, v181 :: v_dual_mov_b32 v150, v3
	v_dual_mov_b32 v123, v159 :: v_dual_mov_b32 v124, v160
	;; [unrolled: 1-line block ×3, first 2 shown]
	s_delay_alu instid0(VALU_DEP_3)
	v_dual_mov_b32 v137, v149 :: v_dual_mov_b32 v138, v150
	v_dual_mov_b32 v139, v151 :: v_dual_mov_b32 v140, v152
	;; [unrolled: 1-line block ×10, first 2 shown]
	v_mov_b32_e32 v127, v19
	v_mov_b32_e32 v139, v5
	v_dual_mov_b32 v99, v123 :: v_dual_mov_b32 v100, v124
	v_dual_mov_b32 v111, v135 :: v_dual_mov_b32 v114, v138
	;; [unrolled: 1-line block ×4, first 2 shown]
	v_mov_b32_e32 v120, v144
	v_dual_mov_b32 v104, v128 :: v_dual_mov_b32 v105, v129
	v_dual_mov_b32 v110, v134 :: v_dual_mov_b32 v115, v139
	;; [unrolled: 1-line block ×22, first 2 shown]
	v_mov_b32_e32 v93, v7
	v_dual_mov_b32 v63, v75 :: v_dual_mov_b32 v68, v80
	v_dual_mov_b32 v64, v76 :: v_dual_mov_b32 v51, v87
	;; [unrolled: 1-line block ×3, first 2 shown]
	s_delay_alu instid0(VALU_DEP_4)
	v_dual_mov_b32 v58, v94 :: v_dual_mov_b32 v57, v93
	v_dual_mov_b32 v60, v96 :: v_dual_mov_b32 v59, v95
	;; [unrolled: 1-line block ×8, first 2 shown]
	v_mov_b32_e32 v60, v10
	v_dual_mov_b32 v52, v88 :: v_dual_mov_b32 v53, v89
	v_dual_mov_b32 v56, v92 :: v_dual_mov_b32 v59, v9
	;; [unrolled: 1-line block ×3, first 2 shown]
	v_mov_b32_e32 v72, v24
	v_dual_mov_b32 v70, v22 :: v_dual_mov_b32 v71, v23
	v_dual_mov_b32 v73, v13 :: v_dual_mov_b32 v74, v26
	;; [unrolled: 1-line block ×3, first 2 shown]
	v_mov_b32_e32 v4, v3
.LBB265_69:
	s_or_b32 exec_lo, exec_lo, s2
	v_mov_b32_e32 v2, v43
	s_mov_b32 s2, exec_lo
	v_cmpx_lt_f32_e32 v1, v43
	s_cbranch_execz .LBB265_71
; %bb.70:
	v_mov_b32_e32 v174, v19
	s_waitcnt vmcnt(2)
	v_dual_mov_b32 v30, v5 :: v_dual_mov_b32 v123, v171
	s_waitcnt vmcnt(0)
	v_dual_mov_b32 v146, v38 :: v_dual_mov_b32 v143, v35
	v_dual_mov_b32 v145, v37 :: v_dual_mov_b32 v142, v34
	s_delay_alu instid0(VALU_DEP_3)
	v_dual_mov_b32 v139, v31 :: v_dual_mov_b32 v138, v30
	v_dual_mov_b32 v135, v27 :: v_dual_mov_b32 v124, v172
	v_dual_mov_b32 v127, v175 :: v_dual_mov_b32 v140, v32
	v_dual_mov_b32 v137, v29 :: v_dual_mov_b32 v128, v176
	v_dual_mov_b32 v131, v179 :: v_dual_mov_b32 v132, v180
	v_mov_b32_e32 v127, v18
	v_dual_mov_b32 v134, v182 :: v_dual_mov_b32 v139, v4
	v_dual_mov_b32 v144, v36 :: v_dual_mov_b32 v141, v33
	;; [unrolled: 1-line block ×5, first 2 shown]
	s_delay_alu instid0(VALU_DEP_3)
	v_dual_mov_b32 v111, v135 :: v_dual_mov_b32 v112, v136
	v_dual_mov_b32 v99, v123 :: v_dual_mov_b32 v100, v124
	;; [unrolled: 1-line block ×12, first 2 shown]
	v_mov_b32_e32 v104, v20
	v_dual_mov_b32 v116, v6 :: v_dual_mov_b32 v75, v99
	v_mov_b32_e32 v87, v111
	v_dual_mov_b32 v93, v117 :: v_dual_mov_b32 v78, v102
	s_delay_alu instid0(VALU_DEP_3)
	v_dual_mov_b32 v81, v105 :: v_dual_mov_b32 v92, v116
	v_dual_mov_b32 v80, v104 :: v_dual_mov_b32 v83, v107
	;; [unrolled: 1-line block ×11, first 2 shown]
	v_mov_b32_e32 v63, v75
	s_delay_alu instid0(VALU_DEP_4)
	v_dual_mov_b32 v51, v87 :: v_dual_mov_b32 v52, v88
	v_dual_mov_b32 v71, v83 :: v_dual_mov_b32 v72, v84
	;; [unrolled: 1-line block ×14, first 2 shown]
	v_mov_b32_e32 v68, v80
	v_dual_mov_b32 v58, v8 :: v_dual_mov_b32 v59, v9
	v_dual_mov_b32 v60, v10 :: v_dual_mov_b32 v71, v23
	;; [unrolled: 1-line block ×16, first 2 shown]
	v_mov_b32_e32 v2, v1
.LBB265_71:
	s_or_b32 exec_lo, exec_lo, s2
	v_mov_b32_e32 v1, v44
	s_mov_b32 s2, exec_lo
	s_delay_alu instid0(VALU_DEP_2)
	v_cmpx_lt_f32_e32 v2, v44
	s_cbranch_execz .LBB265_73
; %bb.72:
	v_mov_b32_e32 v163, v20
	v_mov_b32_e32 v151, v6
	v_dual_mov_b32 v99, v159 :: v_dual_mov_b32 v100, v160
	v_dual_mov_b32 v111, v147 :: v_dual_mov_b32 v112, v148
	;; [unrolled: 1-line block ×10, first 2 shown]
	v_mov_b32_e32 v108, v168
	v_dual_mov_b32 v104, v164 :: v_dual_mov_b32 v107, v167
	v_mov_b32_e32 v116, v5
	v_dual_mov_b32 v109, v169 :: v_dual_mov_b32 v104, v19
	v_dual_mov_b32 v87, v111 :: v_dual_mov_b32 v88, v112
	;; [unrolled: 1-line block ×13, first 2 shown]
	v_mov_b32_e32 v93, v7
	v_dual_mov_b32 v43, v44 :: v_dual_mov_b32 v44, v2
	v_mov_b32_e32 v81, v21
	v_dual_mov_b32 v51, v87 :: v_dual_mov_b32 v56, v92
	v_dual_mov_b32 v52, v88 :: v_dual_mov_b32 v63, v75
	;; [unrolled: 1-line block ×14, first 2 shown]
	v_mov_b32_e32 v136, v148
	v_dual_mov_b32 v54, v90 :: v_dual_mov_b32 v59, v9
	v_dual_mov_b32 v62, v12 :: v_dual_mov_b32 v61, v14
	v_mov_b32_e32 v72, v24
	v_dual_mov_b32 v70, v22 :: v_dual_mov_b32 v71, v23
	v_dual_mov_b32 v73, v13 :: v_dual_mov_b32 v74, v26
	;; [unrolled: 1-line block ×13, first 2 shown]
	v_mov_b32_e32 v6, v5
.LBB265_73:
	s_or_b32 exec_lo, exec_lo, s2
	v_mov_b32_e32 v2, v45
	s_mov_b32 s2, exec_lo
	v_cmpx_lt_f32_e32 v1, v45
	s_cbranch_execz .LBB265_75
; %bb.74:
	v_mov_b32_e32 v140, v7
	v_dual_mov_b32 v128, v21 :: v_dual_mov_b32 v87, v135
	v_mov_b32_e32 v93, v141
	v_mov_b32_e32 v93, v6
	;; [unrolled: 1-line block ×3, first 2 shown]
	v_dual_mov_b32 v92, v140 :: v_dual_mov_b32 v95, v143
	v_dual_mov_b32 v96, v144 :: v_dual_mov_b32 v97, v145
	;; [unrolled: 1-line block ×42, first 2 shown]
	v_mov_b32_e32 v2, v1
.LBB265_75:
	s_or_b32 exec_lo, exec_lo, s2
	v_mov_b32_e32 v1, v46
	s_mov_b32 s2, exec_lo
	s_delay_alu instid0(VALU_DEP_2)
	v_cmpx_lt_f32_e32 v2, v46
	s_cbranch_execz .LBB265_77
; %bb.76:
	v_mov_b32_e32 v117, v8
	v_mov_b32_e32 v45, v46
	;; [unrolled: 1-line block ×4, first 2 shown]
	v_dual_mov_b32 v51, v111 :: v_dual_mov_b32 v54, v114
	v_dual_mov_b32 v56, v116 :: v_dual_mov_b32 v63, v99
	v_dual_mov_b32 v66, v102 :: v_dual_mov_b32 v53, v113
	v_dual_mov_b32 v58, v118 :: v_dual_mov_b32 v55, v115
	v_dual_mov_b32 v60, v120 :: v_dual_mov_b32 v57, v117
	v_dual_mov_b32 v62, v122 :: v_dual_mov_b32 v59, v119
	v_dual_mov_b32 v60, v10 :: v_dual_mov_b32 v61, v121
	v_mov_b32_e32 v58, v7
	v_dual_mov_b32 v67, v103 :: v_dual_mov_b32 v70, v106
	v_dual_mov_b32 v69, v105 :: v_dual_mov_b32 v72, v108
	v_dual_mov_b32 v71, v107 :: v_dual_mov_b32 v74, v110
	v_dual_mov_b32 v73, v109 :: v_dual_mov_b32 v72, v24
	v_dual_mov_b32 v75, v99 :: v_dual_mov_b32 v76, v100
	v_dual_mov_b32 v87, v111 :: v_dual_mov_b32 v88, v112
	v_dual_mov_b32 v52, v112 :: v_dual_mov_b32 v59, v9
	v_dual_mov_b32 v62, v12 :: v_dual_mov_b32 v61, v14
	v_dual_mov_b32 v64, v100 :: v_dual_mov_b32 v65, v101
	v_mov_b32_e32 v68, v104
	v_dual_mov_b32 v70, v21 :: v_dual_mov_b32 v71, v23
	v_dual_mov_b32 v73, v13 :: v_dual_mov_b32 v74, v26
	;; [unrolled: 10-line block ×3, first 2 shown]
	v_dual_mov_b32 v95, v119 :: v_dual_mov_b32 v96, v120
	v_dual_mov_b32 v97, v121 :: v_dual_mov_b32 v98, v122
.LBB265_77:
	s_or_b32 exec_lo, exec_lo, s2
	v_mov_b32_e32 v2, v47
	s_mov_b32 s2, exec_lo
	v_cmpx_lt_f32_e32 v1, v47
	s_cbranch_execz .LBB265_79
; %bb.78:
	v_dual_mov_b32 v83, v22 :: v_dual_mov_b32 v84, v24
	v_dual_mov_b32 v94, v9 :: v_dual_mov_b32 v95, v8
	v_dual_mov_b32 v96, v10 :: v_dual_mov_b32 v85, v13
	v_dual_mov_b32 v97, v14 :: v_dual_mov_b32 v82, v23
	v_mov_b32_e32 v86, v26
	v_dual_mov_b32 v46, v47 :: v_dual_mov_b32 v47, v1
	v_dual_mov_b32 v98, v12 :: v_dual_mov_b32 v63, v75
	;; [unrolled: 1-line block ×13, first 2 shown]
	v_mov_b32_e32 v62, v98
	v_mov_b32_e32 v2, v1
.LBB265_79:
	s_or_b32 exec_lo, exec_lo, s2
	s_delay_alu instid0(VALU_DEP_1)
	v_cmp_lt_f32_e32 vcc_lo, v2, v48
	v_dual_mov_b32 v1, v39 :: v_dual_mov_b32 v6, v44
	v_dual_mov_b32 v3, v41 :: v_dual_mov_b32 v8, v46
	s_waitcnt vmcnt(0)
	v_dual_cndmask_b32 v37, v72, v71 :: v_dual_mov_b32 v4, v42
	v_dual_cndmask_b32 v71, v71, v72 :: v_dual_cndmask_b32 v38, v60, v59
	v_dual_cndmask_b32 v59, v59, v60 :: v_dual_cndmask_b32 v10, v48, v2
	v_dual_cndmask_b32 v9, v47, v48 :: v_dual_mov_b32 v2, v40
	v_dual_mov_b32 v5, v43 :: v_dual_mov_b32 v12, v50
	v_mov_b32_e32 v7, v45
	v_mov_b32_e32 v11, v49
	s_mov_b32 s2, exec_lo
	v_cmpx_lt_f32_e32 v39, v40
	s_cbranch_execz .LBB265_81
; %bb.80:
	v_dual_mov_b32 v13, v2 :: v_dual_mov_b32 v14, v1
	v_dual_mov_b32 v15, v3 :: v_dual_mov_b32 v16, v4
	v_dual_mov_b32 v17, v5 :: v_dual_mov_b32 v18, v6
	v_dual_mov_b32 v19, v7 :: v_dual_mov_b32 v20, v8
	v_dual_mov_b32 v21, v9 :: v_dual_mov_b32 v22, v10
	v_dual_mov_b32 v23, v11 :: v_dual_mov_b32 v24, v12
	v_mov_b32_e32 v25, v63
	v_dual_mov_b32 v26, v51 :: v_dual_mov_b32 v1, v13
	v_swap_b32 v63, v64
	v_swap_b32 v51, v52
	v_dual_mov_b32 v2, v14 :: v_dual_mov_b32 v3, v15
	v_dual_mov_b32 v4, v16 :: v_dual_mov_b32 v5, v17
	;; [unrolled: 1-line block ×5, first 2 shown]
	v_mov_b32_e32 v12, v24
	v_mov_b32_e32 v40, v39
.LBB265_81:
	s_or_b32 exec_lo, exec_lo, s2
	v_mov_b32_e32 v60, v38
	v_dual_mov_b32 v72, v37 :: v_dual_mov_b32 v13, v51
	v_dual_mov_b32 v25, v63 :: v_dual_mov_b32 v98, v74
	;; [unrolled: 1-line block ×60, first 2 shown]
	s_mov_b32 s2, exec_lo
	v_dual_mov_b32 v96, v72 :: v_dual_mov_b32 v93, v69
	v_cmpx_lt_f32_e32 v40, v3
	s_cbranch_execz .LBB265_83
; %bb.82:
	v_dual_mov_b32 v134, v62 :: v_dual_mov_b32 v133, v61
	v_dual_mov_b32 v124, v52 :: v_dual_mov_b32 v123, v51
	v_mov_b32_e32 v124, v53
	v_dual_mov_b32 v128, v56 :: v_dual_mov_b32 v127, v55
	v_dual_mov_b32 v132, v60 :: v_dual_mov_b32 v131, v59
	;; [unrolled: 1-line block ×11, first 2 shown]
	v_mov_b32_e32 v141, v69
	v_dual_mov_b32 v136, v65 :: v_dual_mov_b32 v137, v64
	v_dual_mov_b32 v160, v124 :: v_dual_mov_b32 v159, v123
	;; [unrolled: 1-line block ×40, first 2 shown]
	v_mov_b32_e32 v22, v84
	v_dual_mov_b32 v22, v38 :: v_dual_mov_b32 v25, v87
	v_dual_mov_b32 v16, v78 :: v_dual_mov_b32 v19, v81
	;; [unrolled: 1-line block ×16, first 2 shown]
	v_mov_b32_e32 v35, v73
	v_dual_mov_b32 v34, v37 :: v_dual_mov_b32 v39, v40
	v_dual_mov_b32 v36, v74 :: v_dual_mov_b32 v65, v64
	v_mov_b32_e32 v53, v52
.LBB265_83:
	s_or_b32 exec_lo, exec_lo, s2
	v_mov_b32_e32 v40, v4
	s_mov_b32 s2, exec_lo
	v_cmpx_lt_f32_e32 v39, v4
	s_cbranch_execz .LBB265_85
; %bb.84:
	v_mov_b32_e32 v137, v66
	v_mov_b32_e32 v125, v54
	;; [unrolled: 1-line block ×4, first 2 shown]
	v_dual_mov_b32 v170, v134 :: v_dual_mov_b32 v169, v133
	v_dual_mov_b32 v168, v132 :: v_dual_mov_b32 v159, v123
	;; [unrolled: 1-line block ×9, first 2 shown]
	v_mov_b32_e32 v157, v145
	v_dual_mov_b32 v155, v143 :: v_dual_mov_b32 v152, v140
	v_mov_b32_e32 v162, v53
	v_mov_b32_e32 v149, v137
	v_dual_mov_b32 v150, v65 :: v_dual_mov_b32 v111, v159
	v_dual_mov_b32 v112, v160 :: v_dual_mov_b32 v99, v147
	;; [unrolled: 1-line block ×13, first 2 shown]
	v_mov_b32_e32 v115, v55
	v_dual_mov_b32 v87, v99 :: v_dual_mov_b32 v88, v100
	v_dual_mov_b32 v75, v111 :: v_dual_mov_b32 v78, v114
	;; [unrolled: 1-line block ×3, first 2 shown]
	s_delay_alu instid0(VALU_DEP_4)
	v_dual_mov_b32 v80, v116 :: v_dual_mov_b32 v79, v115
	v_dual_mov_b32 v82, v118 :: v_dual_mov_b32 v81, v117
	v_dual_mov_b32 v84, v120 :: v_dual_mov_b32 v83, v119
	v_dual_mov_b32 v86, v122 :: v_dual_mov_b32 v85, v121
	v_dual_mov_b32 v90, v102 :: v_dual_mov_b32 v89, v101
	v_dual_mov_b32 v94, v106 :: v_dual_mov_b32 v91, v103
	v_mov_b32_e32 v96, v108
	v_dual_mov_b32 v92, v104 :: v_dual_mov_b32 v93, v105
	v_dual_mov_b32 v98, v110 :: v_dual_mov_b32 v95, v107
	;; [unrolled: 1-line block ×21, first 2 shown]
	v_mov_b32_e32 v34, v37
	v_dual_mov_b32 v35, v73 :: v_dual_mov_b32 v36, v74
	v_mov_b32_e32 v40, v39
	v_mov_b32_e32 v66, v65
	;; [unrolled: 1-line block ×3, first 2 shown]
.LBB265_85:
	s_or_b32 exec_lo, exec_lo, s2
	v_mov_b32_e32 v39, v5
	s_mov_b32 s2, exec_lo
	v_cmpx_lt_f32_e32 v40, v5
	s_cbranch_execz .LBB265_87
; %bb.86:
	v_mov_b32_e32 v126, v55
	v_mov_b32_e32 v111, v123
	;; [unrolled: 1-line block ×3, first 2 shown]
	v_dual_mov_b32 v115, v54 :: v_dual_mov_b32 v116, v128
	v_dual_mov_b32 v138, v67 :: v_dual_mov_b32 v113, v125
	v_mov_b32_e32 v112, v124
	v_dual_mov_b32 v118, v130 :: v_dual_mov_b32 v119, v131
	v_dual_mov_b32 v120, v132 :: v_dual_mov_b32 v121, v133
	;; [unrolled: 1-line block ×24, first 2 shown]
	v_mov_b32_e32 v22, v84
	v_dual_mov_b32 v22, v38 :: v_dual_mov_b32 v25, v87
	v_dual_mov_b32 v16, v78 :: v_dual_mov_b32 v19, v81
	;; [unrolled: 1-line block ×18, first 2 shown]
	v_mov_b32_e32 v35, v73
	v_dual_mov_b32 v34, v37 :: v_dual_mov_b32 v155, v143
	v_dual_mov_b32 v36, v74 :: v_dual_mov_b32 v157, v145
	;; [unrolled: 1-line block ×12, first 2 shown]
	v_mov_b32_e32 v55, v54
.LBB265_87:
	s_or_b32 exec_lo, exec_lo, s2
	v_mov_b32_e32 v40, v6
	s_mov_b32 s2, exec_lo
	v_cmpx_lt_f32_e32 v39, v6
	s_cbranch_execz .LBB265_89
; %bb.88:
	v_mov_b32_e32 v163, v56
	v_dual_mov_b32 v75, v159 :: v_dual_mov_b32 v80, v164
	v_dual_mov_b32 v80, v55 :: v_dual_mov_b32 v81, v165
	;; [unrolled: 1-line block ×7, first 2 shown]
	v_mov_b32_e32 v85, v169
	v_dual_mov_b32 v89, v149 :: v_dual_mov_b32 v92, v152
	v_dual_mov_b32 v91, v151 :: v_dual_mov_b32 v94, v154
	;; [unrolled: 1-line block ×6, first 2 shown]
	v_mov_b32_e32 v88, v148
	v_mov_b32_e32 v6, v39
	s_delay_alu instid0(VALU_DEP_3) | instskip(NEXT) | instid1(VALU_DEP_3)
	v_dual_mov_b32 v13, v75 :: v_dual_mov_b32 v14, v76
	v_dual_mov_b32 v25, v87 :: v_dual_mov_b32 v26, v88
	;; [unrolled: 1-line block ×30, first 2 shown]
	v_mov_b32_e32 v40, v39
	v_mov_b32_e32 v68, v67
	;; [unrolled: 1-line block ×3, first 2 shown]
.LBB265_89:
	s_or_b32 exec_lo, exec_lo, s2
	v_mov_b32_e32 v39, v7
	s_mov_b32 s2, exec_lo
	v_cmpx_lt_f32_e32 v40, v7
	s_cbranch_execz .LBB265_91
; %bb.90:
	v_mov_b32_e32 v116, v57
	v_dual_mov_b32 v6, v7 :: v_dual_mov_b32 v7, v40
	v_dual_mov_b32 v104, v69 :: v_dual_mov_b32 v13, v111
	v_mov_b32_e32 v22, v120
	v_dual_mov_b32 v22, v38 :: v_dual_mov_b32 v25, v99
	v_mov_b32_e32 v34, v108
	v_dual_mov_b32 v34, v37 :: v_dual_mov_b32 v87, v99
	v_dual_mov_b32 v16, v114 :: v_dual_mov_b32 v19, v117
	;; [unrolled: 1-line block ×12, first 2 shown]
	v_mov_b32_e32 v23, v61
	v_dual_mov_b32 v21, v59 :: v_dual_mov_b32 v24, v62
	v_dual_mov_b32 v27, v101 :: v_dual_mov_b32 v26, v100
	;; [unrolled: 1-line block ×3, first 2 shown]
	v_mov_b32_e32 v35, v73
	v_dual_mov_b32 v33, v71 :: v_dual_mov_b32 v36, v74
	v_dual_mov_b32 v89, v101 :: v_dual_mov_b32 v88, v100
	;; [unrolled: 1-line block ×9, first 2 shown]
	v_mov_b32_e32 v39, v40
	v_mov_b32_e32 v69, v68
	v_dual_mov_b32 v57, v56 :: v_dual_mov_b32 v94, v106
	v_dual_mov_b32 v97, v109 :: v_dual_mov_b32 v82, v118
	;; [unrolled: 1-line block ×3, first 2 shown]
.LBB265_91:
	s_or_b32 exec_lo, exec_lo, s2
	v_mov_b32_e32 v40, v8
	s_mov_b32 s2, exec_lo
	v_cmpx_lt_f32_e32 v39, v8
	s_cbranch_execz .LBB265_93
; %bb.92:
	v_dual_mov_b32 v81, v58 :: v_dual_mov_b32 v82, v57
	v_dual_mov_b32 v83, v59 :: v_dual_mov_b32 v84, v38
	;; [unrolled: 1-line block ×19, first 2 shown]
	v_mov_b32_e32 v40, v39
.LBB265_93:
	s_or_b32 exec_lo, exec_lo, s2
	s_delay_alu instid0(VALU_DEP_1)
	v_cmp_lt_f32_e32 vcc_lo, v40, v9
	v_dual_mov_b32 v38, v2 :: v_dual_mov_b32 v41, v5
	v_dual_mov_b32 v42, v6 :: v_dual_mov_b32 v47, v11
	v_dual_cndmask_b32 v145, v33, v32 :: v_dual_cndmask_b32 v32, v32, v33
	v_dual_cndmask_b32 v146, v21, v20 :: v_dual_mov_b32 v39, v3
	v_dual_cndmask_b32 v20, v20, v21 :: v_dual_cndmask_b32 v45, v9, v40
	v_dual_cndmask_b32 v44, v8, v9 :: v_dual_mov_b32 v37, v1
	v_dual_mov_b32 v40, v4 :: v_dual_mov_b32 v43, v7
	v_mov_b32_e32 v46, v10
	v_mov_b32_e32 v48, v12
	s_mov_b32 s2, exec_lo
	v_cmpx_lt_f32_e32 v1, v2
	s_cbranch_execz .LBB265_95
; %bb.94:
	v_dual_mov_b32 v49, v38 :: v_dual_mov_b32 v50, v37
	v_dual_mov_b32 v51, v39 :: v_dual_mov_b32 v52, v40
	;; [unrolled: 1-line block ×6, first 2 shown]
	v_mov_b32_e32 v3, v25
	v_mov_b32_e32 v4, v13
	v_dual_mov_b32 v37, v49 :: v_dual_mov_b32 v40, v52
	v_swap_b32 v25, v26
	v_swap_b32 v13, v14
	v_dual_mov_b32 v38, v50 :: v_dual_mov_b32 v39, v51
	v_dual_mov_b32 v41, v53 :: v_dual_mov_b32 v42, v54
	;; [unrolled: 1-line block ×5, first 2 shown]
	v_mov_b32_e32 v2, v1
.LBB265_95:
	s_or_b32 exec_lo, exec_lo, s2
	v_mov_b32_e32 v21, v146
	v_dual_mov_b32 v33, v145 :: v_dual_mov_b32 v60, v24
	v_dual_mov_b32 v72, v36 :: v_dual_mov_b32 v61, v25
	;; [unrolled: 1-line block ×43, first 2 shown]
	v_mov_b32_e32 v97, v13
	v_mov_b32_e32 v1, v39
	s_mov_b32 s2, exec_lo
	v_dual_mov_b32 v95, v35 :: v_dual_mov_b32 v94, v34
	v_dual_mov_b32 v93, v33 :: v_dual_mov_b32 v92, v32
	;; [unrolled: 1-line block ×5, first 2 shown]
	v_cmpx_lt_f32_e32 v2, v39
	s_cbranch_execz .LBB265_97
; %bb.96:
	v_dual_mov_b32 v108, v24 :: v_dual_mov_b32 v107, v23
	v_dual_mov_b32 v98, v14 :: v_dual_mov_b32 v97, v13
	v_mov_b32_e32 v98, v15
	v_dual_mov_b32 v104, v20 :: v_dual_mov_b32 v103, v19
	v_dual_mov_b32 v100, v16 :: v_dual_mov_b32 v99, v15
	;; [unrolled: 1-line block ×26, first 2 shown]
	v_mov_b32_e32 v84, v144
	v_dual_mov_b32 v74, v134 :: v_dual_mov_b32 v77, v137
	v_mov_b32_e32 v75, v135
	v_dual_mov_b32 v38, v39 :: v_dual_mov_b32 v85, v121
	v_dual_mov_b32 v76, v136 :: v_dual_mov_b32 v79, v139
	;; [unrolled: 1-line block ×10, first 2 shown]
	v_mov_b32_e32 v39, v2
	v_dual_mov_b32 v49, v73 :: v_dual_mov_b32 v50, v74
	v_dual_mov_b32 v59, v83 :: v_dual_mov_b32 v60, v84
	;; [unrolled: 1-line block ×18, first 2 shown]
	v_mov_b32_e32 v70, v34
	v_dual_mov_b32 v72, v36 :: v_dual_mov_b32 v1, v2
	v_mov_b32_e32 v27, v26
	v_mov_b32_e32 v15, v14
.LBB265_97:
	s_or_b32 exec_lo, exec_lo, s2
	v_mov_b32_e32 v2, v40
	s_mov_b32 s2, exec_lo
	v_cmpx_lt_f32_e32 v1, v40
	s_cbranch_execz .LBB265_99
; %bb.98:
	v_mov_b32_e32 v99, v16
	v_mov_b32_e32 v144, v108
	;; [unrolled: 1-line block ×3, first 2 shown]
	v_dual_mov_b32 v136, v15 :: v_dual_mov_b32 v111, v28
	v_dual_mov_b32 v142, v106 :: v_dual_mov_b32 v133, v97
	;; [unrolled: 1-line block ×4, first 2 shown]
	v_mov_b32_e32 v135, v99
	v_dual_mov_b32 v125, v113 :: v_dual_mov_b32 v124, v112
	v_mov_b32_e32 v143, v107
	v_dual_mov_b32 v141, v105 :: v_dual_mov_b32 v140, v104
	v_dual_mov_b32 v139, v103 :: v_dual_mov_b32 v138, v102
	;; [unrolled: 1-line block ×18, first 2 shown]
	v_mov_b32_e32 v95, v131
	v_dual_mov_b32 v89, v29 :: v_dual_mov_b32 v88, v124
	v_dual_mov_b32 v49, v73 :: v_dual_mov_b32 v54, v78
	v_mov_b32_e32 v50, v74
	v_dual_mov_b32 v52, v76 :: v_dual_mov_b32 v61, v85
	s_delay_alu instid0(VALU_DEP_4)
	v_dual_mov_b32 v64, v88 :: v_dual_mov_b32 v51, v75
	v_dual_mov_b32 v56, v80 :: v_dual_mov_b32 v53, v77
	;; [unrolled: 1-line block ×12, first 2 shown]
	v_mov_b32_e32 v58, v22
	v_dual_mov_b32 v57, v146 :: v_dual_mov_b32 v60, v24
	v_dual_mov_b32 v59, v23 :: v_dual_mov_b32 v62, v86
	;; [unrolled: 1-line block ×5, first 2 shown]
	v_mov_b32_e32 v2, v1
	v_mov_b32_e32 v28, v27
	;; [unrolled: 1-line block ×3, first 2 shown]
.LBB265_99:
	s_or_b32 exec_lo, exec_lo, s2
	v_mov_b32_e32 v1, v41
	s_mov_b32 s2, exec_lo
	v_cmpx_lt_f32_e32 v2, v41
	s_cbranch_execz .LBB265_101
; %bb.100:
	v_mov_b32_e32 v100, v17
	v_mov_b32_e32 v73, v97
	;; [unrolled: 1-line block ×3, first 2 shown]
	v_dual_mov_b32 v77, v16 :: v_dual_mov_b32 v78, v102
	v_dual_mov_b32 v112, v29 :: v_dual_mov_b32 v75, v99
	;; [unrolled: 1-line block ×3, first 2 shown]
	v_mov_b32_e32 v84, v108
	v_dual_mov_b32 v74, v98 :: v_dual_mov_b32 v85, v109
	v_mov_b32_e32 v86, v110
	v_dual_mov_b32 v76, v100 :: v_dual_mov_b32 v79, v103
	v_dual_mov_b32 v80, v104 :: v_dual_mov_b32 v81, v105
	v_dual_mov_b32 v40, v41 :: v_dual_mov_b32 v87, v111
	v_dual_mov_b32 v41, v2 :: v_dual_mov_b32 v88, v112
	v_dual_mov_b32 v89, v113 :: v_dual_mov_b32 v90, v114
	v_dual_mov_b32 v91, v115 :: v_dual_mov_b32 v92, v116
	v_dual_mov_b32 v93, v117 :: v_dual_mov_b32 v94, v118
	v_dual_mov_b32 v95, v119 :: v_dual_mov_b32 v96, v120
	v_mov_b32_e32 v49, v73
	v_dual_mov_b32 v89, v28 :: v_dual_mov_b32 v50, v74
	v_dual_mov_b32 v59, v83 :: v_dual_mov_b32 v60, v84
	v_dual_mov_b32 v60, v24 :: v_dual_mov_b32 v61, v85
	v_dual_mov_b32 v53, v77 :: v_dual_mov_b32 v54, v78
	v_dual_mov_b32 v55, v79 :: v_dual_mov_b32 v56, v80
	v_dual_mov_b32 v57, v81 :: v_dual_mov_b32 v58, v82
	v_dual_mov_b32 v66, v90 :: v_dual_mov_b32 v67, v91
	v_dual_mov_b32 v68, v92 :: v_dual_mov_b32 v69, v93
	v_dual_mov_b32 v70, v94 :: v_dual_mov_b32 v71, v95
	v_dual_mov_b32 v72, v96 :: v_dual_mov_b32 v67, v31
	v_dual_mov_b32 v132, v120 :: v_dual_mov_b32 v127, v115
	v_dual_mov_b32 v144, v108 :: v_dual_mov_b32 v139, v103
	v_dual_mov_b32 v51, v75 :: v_dual_mov_b32 v52, v76
	v_dual_mov_b32 v54, v18 :: v_dual_mov_b32 v55, v19
	v_dual_mov_b32 v56, v20 :: v_dual_mov_b32 v57, v146
	v_dual_mov_b32 v58, v22 :: v_dual_mov_b32 v59, v23
	v_dual_mov_b32 v62, v86 :: v_dual_mov_b32 v63, v87
	v_dual_mov_b32 v64, v88 :: v_dual_mov_b32 v65, v89
	v_dual_mov_b32 v66, v30 :: v_dual_mov_b32 v69, v145
	v_dual_mov_b32 v68, v32 :: v_dual_mov_b32 v71, v35
	v_dual_mov_b32 v70, v34 :: v_dual_mov_b32 v131, v119
	v_dual_mov_b32 v72, v36 :: v_dual_mov_b32 v129, v117
	v_dual_mov_b32 v130, v118 :: v_dual_mov_b32 v125, v113
	v_dual_mov_b32 v128, v116 :: v_dual_mov_b32 v123, v111
	v_dual_mov_b32 v126, v114 :: v_dual_mov_b32 v121, v109
	v_dual_mov_b32 v124, v112 :: v_dual_mov_b32 v143, v107
	v_dual_mov_b32 v122, v110 :: v_dual_mov_b32 v141, v105
	v_dual_mov_b32 v142, v106 :: v_dual_mov_b32 v137, v101
	v_dual_mov_b32 v140, v104 :: v_dual_mov_b32 v135, v99
	v_dual_mov_b32 v138, v102 :: v_dual_mov_b32 v133, v97
	v_dual_mov_b32 v136, v100 :: v_dual_mov_b32 v1, v2
	v_dual_mov_b32 v134, v98 :: v_dual_mov_b32 v29, v28
	v_mov_b32_e32 v17, v16
.LBB265_101:
	s_or_b32 exec_lo, exec_lo, s2
	v_mov_b32_e32 v2, v42
	s_mov_b32 s2, exec_lo
	v_cmpx_lt_f32_e32 v1, v42
	s_cbranch_execz .LBB265_103
; %bb.102:
	v_mov_b32_e32 v137, v18
	v_mov_b32_e32 v125, v30
	v_dual_mov_b32 v41, v42 :: v_dual_mov_b32 v42, v1
	v_dual_mov_b32 v49, v133 :: v_dual_mov_b32 v50, v134
	;; [unrolled: 1-line block ×13, first 2 shown]
	v_mov_b32_e32 v66, v29
	v_dual_mov_b32 v85, v121 :: v_dual_mov_b32 v86, v122
	v_dual_mov_b32 v73, v133 :: v_dual_mov_b32 v74, v134
	v_dual_mov_b32 v52, v136 :: v_dual_mov_b32 v55, v19
	v_dual_mov_b32 v56, v20 :: v_dual_mov_b32 v57, v146
	v_mov_b32_e32 v64, v124
	v_dual_mov_b32 v58, v22 :: v_dual_mov_b32 v59, v23
	v_dual_mov_b32 v67, v31 :: v_dual_mov_b32 v68, v32
	;; [unrolled: 1-line block ×8, first 2 shown]
	v_mov_b32_e32 v2, v1
	v_mov_b32_e32 v30, v29
	v_dual_mov_b32 v18, v17 :: v_dual_mov_b32 v91, v127
	v_dual_mov_b32 v92, v128 :: v_dual_mov_b32 v93, v129
	;; [unrolled: 1-line block ×6, first 2 shown]
	v_mov_b32_e32 v84, v144
.LBB265_103:
	s_or_b32 exec_lo, exec_lo, s2
	v_mov_b32_e32 v1, v43
	s_mov_b32 s2, exec_lo
	v_cmpx_lt_f32_e32 v2, v43
	s_cbranch_execz .LBB265_105
; %bb.104:
	v_dual_mov_b32 v94, v34 :: v_dual_mov_b32 v95, v35
	v_dual_mov_b32 v78, v19 :: v_dual_mov_b32 v79, v18
	;; [unrolled: 1-line block ×6, first 2 shown]
	v_mov_b32_e32 v96, v36
	v_dual_mov_b32 v42, v43 :: v_dual_mov_b32 v43, v2
	v_dual_mov_b32 v84, v24 :: v_dual_mov_b32 v61, v85
	;; [unrolled: 1-line block ×14, first 2 shown]
.LBB265_105:
	s_or_b32 exec_lo, exec_lo, s2
	s_delay_alu instid0(VALU_DEP_1)
	v_cmp_lt_f32_e32 vcc_lo, v1, v44
	v_dual_mov_b32 v3, v39 :: v_dual_mov_b32 v10, v46
	v_dual_mov_b32 v5, v41 :: v_dual_mov_b32 v12, v48
	v_dual_cndmask_b32 v121, v68, v67 :: v_dual_mov_b32 v2, v38
	v_dual_cndmask_b32 v67, v67, v68 :: v_dual_cndmask_b32 v122, v56, v55
	v_dual_cndmask_b32 v55, v55, v56 :: v_dual_cndmask_b32 v8, v44, v1
	v_dual_cndmask_b32 v7, v43, v44 :: v_dual_mov_b32 v4, v40
	v_dual_mov_b32 v1, v37 :: v_dual_mov_b32 v6, v42
	v_mov_b32_e32 v9, v45
	v_mov_b32_e32 v11, v47
	s_mov_b32 s2, exec_lo
	v_cmpx_lt_f32_e32 v37, v38
	s_cbranch_execz .LBB265_107
; %bb.106:
	v_dual_mov_b32 v13, v2 :: v_dual_mov_b32 v14, v1
	v_dual_mov_b32 v15, v3 :: v_dual_mov_b32 v16, v4
	;; [unrolled: 1-line block ×6, first 2 shown]
	v_mov_b32_e32 v25, v61
	v_mov_b32_e32 v26, v49
	v_dual_mov_b32 v1, v13 :: v_dual_mov_b32 v4, v16
	v_swap_b32 v61, v62
	v_swap_b32 v49, v50
	v_dual_mov_b32 v2, v14 :: v_dual_mov_b32 v3, v15
	v_dual_mov_b32 v5, v17 :: v_dual_mov_b32 v6, v18
	;; [unrolled: 1-line block ×5, first 2 shown]
	v_mov_b32_e32 v38, v37
.LBB265_107:
	s_or_b32 exec_lo, exec_lo, s2
	v_mov_b32_e32 v56, v122
	v_mov_b32_e32 v68, v121
	;; [unrolled: 1-line block ×3, first 2 shown]
	v_dual_mov_b32 v27, v51 :: v_dual_mov_b32 v84, v72
	v_mov_b32_e32 v81, v69
	v_dual_mov_b32 v83, v71 :: v_dual_mov_b32 v96, v60
	v_dual_mov_b32 v91, v55 :: v_dual_mov_b32 v120, v72
	;; [unrolled: 1-line block ×31, first 2 shown]
	v_mov_b32_e32 v24, v60
	s_mov_b32 s2, exec_lo
	v_dual_mov_b32 v118, v70 :: v_dual_mov_b32 v115, v67
	v_dual_mov_b32 v116, v68 :: v_dual_mov_b32 v113, v65
	;; [unrolled: 1-line block ×3, first 2 shown]
	v_cmpx_lt_f32_e32 v38, v3
	s_cbranch_execz .LBB265_109
; %bb.108:
	v_dual_mov_b32 v13, v49 :: v_dual_mov_b32 v14, v50
	v_dual_mov_b32 v23, v59 :: v_dual_mov_b32 v24, v60
	;; [unrolled: 1-line block ×30, first 2 shown]
	v_mov_b32_e32 v112, v64
	v_dual_mov_b32 v34, v94 :: v_dual_mov_b32 v35, v95
	v_dual_mov_b32 v35, v59 :: v_dual_mov_b32 v34, v58
	v_dual_mov_b32 v73, v109 :: v_dual_mov_b32 v28, v88
	v_dual_mov_b32 v29, v89 :: v_dual_mov_b32 v30, v90
	v_dual_mov_b32 v31, v91 :: v_dual_mov_b32 v36, v96
	v_dual_mov_b32 v29, v53 :: v_dual_mov_b32 v74, v110
	v_dual_mov_b32 v77, v113 :: v_dual_mov_b32 v76, v112
	v_dual_mov_b32 v79, v115 :: v_dual_mov_b32 v78, v114
	v_dual_mov_b32 v81, v117 :: v_dual_mov_b32 v80, v116
	v_dual_mov_b32 v83, v119 :: v_dual_mov_b32 v82, v118
	v_dual_mov_b32 v77, v65 :: v_dual_mov_b32 v84, v120
	v_dual_mov_b32 v79, v67 :: v_dual_mov_b32 v26, v86
	v_dual_mov_b32 v27, v87 :: v_dual_mov_b32 v30, v54
	v_dual_mov_b32 v31, v55 :: v_dual_mov_b32 v36, v60
	v_dual_mov_b32 v75, v111 :: v_dual_mov_b32 v78, v66
	v_mov_b32_e32 v81, v69
	v_dual_mov_b32 v80, v121 :: v_dual_mov_b32 v83, v71
	v_mov_b32_e32 v82, v70
	v_dual_mov_b32 v84, v72 :: v_dual_mov_b32 v37, v38
	v_mov_b32_e32 v63, v62
	v_mov_b32_e32 v51, v50
.LBB265_109:
	s_or_b32 exec_lo, exec_lo, s2
	v_mov_b32_e32 v38, v4
	s_mov_b32 s2, exec_lo
	v_cmpx_lt_f32_e32 v37, v4
	s_cbranch_execz .LBB265_111
; %bb.110:
	v_mov_b32_e32 v15, v52
	v_mov_b32_e32 v96, v24
	;; [unrolled: 1-line block ×3, first 2 shown]
	v_dual_mov_b32 v88, v51 :: v_dual_mov_b32 v99, v64
	v_dual_mov_b32 v94, v22 :: v_dual_mov_b32 v85, v13
	;; [unrolled: 1-line block ×3, first 2 shown]
	v_mov_b32_e32 v95, v23
	v_dual_mov_b32 v93, v21 :: v_dual_mov_b32 v92, v20
	v_dual_mov_b32 v91, v19 :: v_dual_mov_b32 v90, v18
	;; [unrolled: 1-line block ×7, first 2 shown]
	v_mov_b32_e32 v87, v15
	v_dual_mov_b32 v111, v99 :: v_dual_mov_b32 v110, v98
	v_dual_mov_b32 v112, v63 :: v_dual_mov_b32 v25, v85
	;; [unrolled: 1-line block ×3, first 2 shown]
	s_delay_alu instid0(VALU_DEP_3)
	v_dual_mov_b32 v74, v110 :: v_dual_mov_b32 v29, v89
	v_dual_mov_b32 v30, v90 :: v_dual_mov_b32 v31, v91
	;; [unrolled: 1-line block ×8, first 2 shown]
	v_mov_b32_e32 v84, v120
	v_dual_mov_b32 v3, v4 :: v_dual_mov_b32 v4, v37
	v_dual_mov_b32 v27, v87 :: v_dual_mov_b32 v28, v88
	;; [unrolled: 1-line block ×11, first 2 shown]
	v_mov_b32_e32 v38, v37
	v_mov_b32_e32 v64, v63
	;; [unrolled: 1-line block ×3, first 2 shown]
.LBB265_111:
	s_or_b32 exec_lo, exec_lo, s2
	v_mov_b32_e32 v16, v5
	s_mov_b32 s2, exec_lo
	v_cmpx_lt_f32_e32 v38, v5
	s_cbranch_execz .LBB265_113
; %bb.112:
	v_mov_b32_e32 v100, v65
	v_mov_b32_e32 v16, v53
	v_dual_mov_b32 v4, v5 :: v_dual_mov_b32 v5, v38
	v_dual_mov_b32 v36, v24 :: v_dual_mov_b32 v33, v21
	;; [unrolled: 1-line block ×3, first 2 shown]
	v_mov_b32_e32 v31, v19
	v_dual_mov_b32 v35, v59 :: v_dual_mov_b32 v34, v58
	v_dual_mov_b32 v73, v97 :: v_dual_mov_b32 v32, v20
	;; [unrolled: 1-line block ×8, first 2 shown]
	v_mov_b32_e32 v77, v64
	v_dual_mov_b32 v84, v108 :: v_dual_mov_b32 v79, v67
	v_dual_mov_b32 v120, v108 :: v_dual_mov_b32 v115, v103
	;; [unrolled: 1-line block ×19, first 2 shown]
	v_mov_b32_e32 v88, v16
	v_dual_mov_b32 v86, v14 :: v_dual_mov_b32 v65, v64
	v_dual_mov_b32 v16, v38 :: v_dual_mov_b32 v53, v52
	;; [unrolled: 1-line block ×3, first 2 shown]
.LBB265_113:
	s_or_b32 exec_lo, exec_lo, s2
	v_mov_b32_e32 v13, v6
	s_mov_b32 s2, exec_lo
	v_cmpx_lt_f32_e32 v16, v6
	s_cbranch_execz .LBB265_115
; %bb.114:
	v_dual_mov_b32 v89, v54 :: v_dual_mov_b32 v90, v53
	v_dual_mov_b32 v91, v55 :: v_dual_mov_b32 v92, v122
	;; [unrolled: 1-line block ×21, first 2 shown]
	v_mov_b32_e32 v13, v16
.LBB265_115:
	s_or_b32 exec_lo, exec_lo, s2
	s_delay_alu instid0(VALU_DEP_1)
	v_cmp_lt_f32_e32 vcc_lo, v13, v7
	v_dual_mov_b32 v14, v2 :: v_dual_mov_b32 v17, v5
	v_dual_mov_b32 v16, v4 :: v_dual_mov_b32 v21, v9
	v_dual_cndmask_b32 v37, v79, v78 :: v_dual_cndmask_b32 v78, v78, v79
	v_cndmask_b32_e32 v38, v31, v30, vcc_lo
	v_dual_cndmask_b32 v30, v30, v31 :: v_dual_cndmask_b32 v19, v7, v13
	v_dual_cndmask_b32 v18, v6, v7 :: v_dual_mov_b32 v15, v3
	v_dual_mov_b32 v13, v1 :: v_dual_mov_b32 v20, v8
	v_dual_mov_b32 v23, v11 :: v_dual_mov_b32 v22, v10
	v_mov_b32_e32 v24, v12
	s_mov_b32 s2, exec_lo
	v_cmpx_lt_f32_e32 v1, v2
	s_cbranch_execz .LBB265_117
; %bb.116:
	v_dual_mov_b32 v2, v14 :: v_dual_mov_b32 v3, v13
	v_dual_mov_b32 v12, v23 :: v_dual_mov_b32 v13, v24
	;; [unrolled: 1-line block ×6, first 2 shown]
	v_mov_b32_e32 v24, v13
	v_mov_b32_e32 v31, v73
	v_dual_mov_b32 v39, v25 :: v_dual_mov_b32 v18, v7
	v_swap_b32 v73, v74
	v_swap_b32 v25, v26
	v_dual_mov_b32 v23, v12 :: v_dual_mov_b32 v20, v9
	v_dual_mov_b32 v22, v11 :: v_dual_mov_b32 v21, v10
	;; [unrolled: 1-line block ×4, first 2 shown]
	v_mov_b32_e32 v15, v4
	v_dual_mov_b32 v13, v2 :: v_dual_mov_b32 v2, v1
.LBB265_117:
	s_or_b32 exec_lo, exec_lo, s2
	v_mov_b32_e32 v31, v38
	v_dual_mov_b32 v79, v37 :: v_dual_mov_b32 v50, v36
	v_dual_mov_b32 v51, v73 :: v_dual_mov_b32 v52, v74
	;; [unrolled: 1-line block ×24, first 2 shown]
	v_mov_b32_e32 v85, v25
	v_mov_b32_e32 v1, v15
	s_mov_b32 s2, exec_lo
	v_cmpx_lt_f32_e32 v2, v15
	s_cbranch_execz .LBB265_119
; %bb.118:
	v_dual_mov_b32 v96, v36 :: v_dual_mov_b32 v95, v35
	v_dual_mov_b32 v86, v26 :: v_dual_mov_b32 v85, v25
	;; [unrolled: 1-line block ×8, first 2 shown]
	v_mov_b32_e32 v105, v81
	v_dual_mov_b32 v43, v89 :: v_dual_mov_b32 v44, v90
	v_dual_mov_b32 v100, v76 :: v_dual_mov_b32 v97, v73
	;; [unrolled: 1-line block ×6, first 2 shown]
	v_mov_b32_e32 v98, v74
	v_dual_mov_b32 v98, v75 :: v_dual_mov_b32 v99, v74
	v_dual_mov_b32 v49, v95 :: v_dual_mov_b32 v50, v96
	;; [unrolled: 1-line block ×12, first 2 shown]
	v_mov_b32_e32 v40, v86
	v_dual_mov_b32 v42, v28 :: v_dual_mov_b32 v43, v29
	v_dual_mov_b32 v45, v38 :: v_dual_mov_b32 v46, v32
	;; [unrolled: 1-line block ×9, first 2 shown]
	v_mov_b32_e32 v75, v74
	v_mov_b32_e32 v27, v26
.LBB265_119:
	s_or_b32 exec_lo, exec_lo, s2
	v_mov_b32_e32 v2, v16
	s_mov_b32 s2, exec_lo
	v_cmpx_lt_f32_e32 v1, v16
	s_cbranch_execz .LBB265_121
; %bb.120:
	v_mov_b32_e32 v87, v28
	v_mov_b32_e32 v99, v76
	v_dual_mov_b32 v15, v16 :: v_dual_mov_b32 v16, v1
	v_dual_mov_b32 v39, v85 :: v_dual_mov_b32 v42, v88
	;; [unrolled: 1-line block ×13, first 2 shown]
	v_mov_b32_e32 v56, v78
	v_mov_b32_e32 v40, v86
	v_dual_mov_b32 v42, v27 :: v_dual_mov_b32 v43, v29
	v_dual_mov_b32 v45, v38 :: v_dual_mov_b32 v46, v32
	;; [unrolled: 1-line block ×8, first 2 shown]
	v_mov_b32_e32 v2, v1
	v_mov_b32_e32 v76, v75
	;; [unrolled: 1-line block ×3, first 2 shown]
.LBB265_121:
	s_or_b32 exec_lo, exec_lo, s2
	v_mov_b32_e32 v1, v17
	s_mov_b32 s2, exec_lo
	v_cmpx_lt_f32_e32 v2, v17
	s_cbranch_execz .LBB265_123
; %bb.122:
	v_dual_mov_b32 v106, v82 :: v_dual_mov_b32 v107, v83
	v_dual_mov_b32 v88, v29 :: v_dual_mov_b32 v89, v28
	;; [unrolled: 1-line block ×8, first 2 shown]
	v_mov_b32_e32 v108, v84
	v_dual_mov_b32 v16, v17 :: v_dual_mov_b32 v17, v2
	v_dual_mov_b32 v96, v36 :: v_dual_mov_b32 v51, v97
	;; [unrolled: 1-line block ×14, first 2 shown]
.LBB265_123:
	s_or_b32 exec_lo, exec_lo, s2
	s_delay_alu instid0(VALU_DEP_1)
	v_cmp_lt_f32_e32 vcc_lo, v1, v18
	v_dual_mov_b32 v27, v13 :: v_dual_mov_b32 v34, v20
	v_dual_mov_b32 v29, v15 :: v_dual_mov_b32 v36, v22
	v_dual_cndmask_b32 v63, v56, v55 :: v_dual_cndmask_b32 v32, v18, v1
	v_dual_cndmask_b32 v55, v55, v56 :: v_dual_cndmask_b32 v64, v44, v43
	v_dual_cndmask_b32 v43, v43, v44 :: v_dual_mov_b32 v28, v14
	v_dual_cndmask_b32 v31, v17, v18 :: v_dual_mov_b32 v30, v16
	v_dual_mov_b32 v33, v19 :: v_dual_mov_b32 v38, v24
	v_mov_b32_e32 v35, v21
	v_mov_b32_e32 v37, v23
	s_mov_b32 s2, exec_lo
	v_cmpx_lt_f32_e32 v13, v14
	s_cbranch_execz .LBB265_125
; %bb.124:
	s_delay_alu instid0(VALU_DEP_2)
	v_dual_mov_b32 v11, v37 :: v_dual_mov_b32 v12, v38
	v_dual_mov_b32 v1, v28 :: v_dual_mov_b32 v2, v27
	;; [unrolled: 1-line block ×7, first 2 shown]
	s_delay_alu instid0(VALU_DEP_2)
	v_dual_mov_b32 v16, v39 :: v_dual_mov_b32 v35, v9
	v_swap_b32 v51, v52
	v_swap_b32 v39, v40
	v_dual_mov_b32 v37, v11 :: v_dual_mov_b32 v36, v10
	v_dual_mov_b32 v34, v8 :: v_dual_mov_b32 v33, v7
	;; [unrolled: 1-line block ×5, first 2 shown]
	v_mov_b32_e32 v14, v13
.LBB265_125:
	s_or_b32 exec_lo, exec_lo, s2
	v_mov_b32_e32 v44, v64
	v_mov_b32_e32 v56, v63
	;; [unrolled: 1-line block ×4, first 2 shown]
	v_dual_mov_b32 v15, v51 :: v_dual_mov_b32 v2, v40
	v_dual_mov_b32 v16, v52 :: v_dual_mov_b32 v17, v53
	;; [unrolled: 1-line block ×11, first 2 shown]
	v_mov_b32_e32 v12, v50
	s_mov_b32 s2, exec_lo
	v_cmpx_lt_f32_e32 v14, v29
	s_cbranch_execz .LBB265_127
; %bb.126:
	v_dual_mov_b32 v1, v39 :: v_dual_mov_b32 v2, v40
	v_dual_mov_b32 v11, v49 :: v_dual_mov_b32 v12, v50
	v_dual_mov_b32 v12, v50 :: v_dual_mov_b32 v15, v51
	v_dual_mov_b32 v3, v41 :: v_dual_mov_b32 v4, v42
	v_dual_mov_b32 v5, v43 :: v_dual_mov_b32 v6, v44
	v_dual_mov_b32 v7, v45 :: v_dual_mov_b32 v8, v46
	v_dual_mov_b32 v9, v47 :: v_dual_mov_b32 v10, v48
	v_dual_mov_b32 v16, v52 :: v_dual_mov_b32 v17, v53
	v_dual_mov_b32 v18, v54 :: v_dual_mov_b32 v19, v55
	v_dual_mov_b32 v20, v56 :: v_dual_mov_b32 v21, v57
	v_dual_mov_b32 v22, v58 :: v_dual_mov_b32 v23, v59
	v_dual_mov_b32 v24, v60 :: v_dual_mov_b32 v25, v61
	v_dual_mov_b32 v26, v62 :: v_dual_mov_b32 v17, v52
	v_dual_mov_b32 v28, v29 :: v_dual_mov_b32 v29, v14
	v_dual_mov_b32 v2, v41 :: v_dual_mov_b32 v3, v40
	v_dual_mov_b32 v4, v42 :: v_dual_mov_b32 v5, v43
	v_dual_mov_b32 v6, v64 :: v_dual_mov_b32 v7, v45
	v_dual_mov_b32 v8, v46 :: v_dual_mov_b32 v9, v47
	v_dual_mov_b32 v10, v48 :: v_dual_mov_b32 v11, v49
	v_dual_mov_b32 v16, v53 :: v_dual_mov_b32 v19, v55
	v_dual_mov_b32 v18, v54 :: v_dual_mov_b32 v21, v57
	v_dual_mov_b32 v20, v63 :: v_dual_mov_b32 v25, v61
	v_dual_mov_b32 v22, v58 :: v_dual_mov_b32 v23, v59
	v_dual_mov_b32 v24, v60 :: v_dual_mov_b32 v13, v14
	v_dual_mov_b32 v26, v62 :: v_dual_mov_b32 v53, v52
	v_mov_b32_e32 v41, v40
.LBB265_127:
	s_or_b32 exec_lo, exec_lo, s2
	v_mov_b32_e32 v39, v30
	s_mov_b32 s2, exec_lo
	v_cmpx_lt_f32_e32 v13, v30
	s_cbranch_execz .LBB265_129
; %bb.128:
	v_dual_mov_b32 v29, v30 :: v_dual_mov_b32 v30, v13
	v_dual_mov_b32 v3, v42 :: v_dual_mov_b32 v4, v41
	;; [unrolled: 1-line block ×11, first 2 shown]
	v_mov_b32_e32 v39, v13
.LBB265_129:
	s_or_b32 exec_lo, exec_lo, s2
	s_delay_alu instid0(VALU_DEP_1)
	v_cmp_lt_f32_e32 vcc_lo, v39, v31
	v_dual_mov_b32 v40, v28 :: v_dual_mov_b32 v45, v33
	v_dual_mov_b32 v44, v32 :: v_dual_mov_b32 v47, v35
	v_dual_cndmask_b32 v13, v19, v18 :: v_dual_cndmask_b32 v18, v18, v19
	v_dual_cndmask_b32 v14, v5, v4 :: v_dual_cndmask_b32 v43, v31, v39
	v_dual_cndmask_b32 v4, v4, v5 :: v_dual_mov_b32 v39, v27
	v_dual_cndmask_b32 v42, v30, v31 :: v_dual_mov_b32 v41, v29
	v_dual_mov_b32 v46, v34 :: v_dual_mov_b32 v49, v37
	v_mov_b32_e32 v48, v36
	v_mov_b32_e32 v50, v38
	s_mov_b32 s2, exec_lo
	v_cmpx_lt_f32_e32 v27, v28
	s_cbranch_execz .LBB265_131
; %bb.130:
	v_dual_mov_b32 v28, v40 :: v_dual_mov_b32 v29, v39
	v_dual_mov_b32 v38, v49 :: v_dual_mov_b32 v39, v50
	;; [unrolled: 1-line block ×7, first 2 shown]
	v_mov_b32_e32 v5, v15
	v_swap_b32 v15, v16
	s_delay_alu instid0(VALU_DEP_4)
	v_mov_b32_e32 v48, v37
	v_swap_b32 v1, v2
	v_dual_mov_b32 v49, v38 :: v_dual_mov_b32 v46, v35
	v_dual_mov_b32 v47, v36 :: v_dual_mov_b32 v44, v33
	;; [unrolled: 1-line block ×4, first 2 shown]
	v_mov_b32_e32 v41, v30
	v_dual_mov_b32 v39, v28 :: v_dual_mov_b32 v28, v27
.LBB265_131:
	s_or_b32 exec_lo, exec_lo, s2
	v_mov_b32_e32 v5, v14
	v_mov_b32_e32 v19, v13
	;; [unrolled: 1-line block ×3, first 2 shown]
	s_mov_b32 s2, exec_lo
	v_cmpx_lt_f32_e32 v28, v41
	s_cbranch_execz .LBB265_133
; %bb.132:
	v_dual_mov_b32 v74, v26 :: v_dual_mov_b32 v73, v25
	v_dual_mov_b32 v62, v12 :: v_dual_mov_b32 v61, v11
	;; [unrolled: 1-line block ×22, first 2 shown]
	v_mov_b32_e32 v74, v26
	v_dual_mov_b32 v40, v41 :: v_dual_mov_b32 v41, v28
	v_dual_mov_b32 v62, v12 :: v_dual_mov_b32 v15, v63
	v_dual_mov_b32 v24, v72 :: v_dual_mov_b32 v1, v51
	v_dual_mov_b32 v16, v64 :: v_dual_mov_b32 v17, v65
	v_dual_mov_b32 v18, v66 :: v_dual_mov_b32 v21, v69
	v_dual_mov_b32 v19, v67 :: v_dual_mov_b32 v20, v68
	v_dual_mov_b32 v23, v71 :: v_dual_mov_b32 v22, v70
	v_dual_mov_b32 v25, v73 :: v_dual_mov_b32 v26, v74
	v_dual_mov_b32 v3, v53 :: v_dual_mov_b32 v2, v52
	v_dual_mov_b32 v5, v55 :: v_dual_mov_b32 v4, v54
	v_dual_mov_b32 v7, v57 :: v_dual_mov_b32 v6, v56
	v_dual_mov_b32 v9, v59 :: v_dual_mov_b32 v8, v58
	v_dual_mov_b32 v11, v61 :: v_dual_mov_b32 v10, v60
	v_dual_mov_b32 v12, v62 :: v_dual_mov_b32 v27, v28
.LBB265_133:
	s_or_b32 exec_lo, exec_lo, s2
	s_delay_alu instid0(VALU_DEP_1)
	v_cmp_lt_f32_e32 vcc_lo, v27, v42
	v_dual_mov_b32 v29, v24 :: v_dual_mov_b32 v32, v5
	v_dual_mov_b32 v31, v26 :: v_dual_mov_b32 v34, v7
	v_dual_cndmask_b32 v13, v18, v17 :: v_dual_cndmask_b32 v14, v4, v3
	v_cndmask_b32_e32 v51, v17, v18, vcc_lo
	v_dual_cndmask_b32 v59, v3, v4 :: v_dual_cndmask_b32 v60, v41, v42
	v_dual_cndmask_b32 v3, v42, v27 :: v_dual_mov_b32 v18, v21
	v_cmp_lt_f32_e32 vcc_lo, v39, v40
	v_dual_mov_b32 v4, v19 :: v_dual_mov_b32 v17, v20
	v_dual_mov_b32 v28, v23 :: v_dual_mov_b32 v27, v22
	;; [unrolled: 1-line block ×7, first 2 shown]
	v_mov_b32_e32 v58, v50
	v_dual_mov_b32 v52, v44 :: v_dual_mov_b32 v53, v45
	v_dual_mov_b32 v55, v47 :: v_dual_mov_b32 v56, v48
	v_mov_b32_e32 v57, v49
	s_and_saveexec_b32 s2, vcc_lo
	s_cbranch_execz .LBB265_135
; %bb.134:
	v_dual_mov_b32 v42, v40 :: v_dual_mov_b32 v27, v22
	v_dual_mov_b32 v4, v15 :: v_dual_mov_b32 v17, v20
	;; [unrolled: 1-line block ×3, first 2 shown]
	v_swap_b32 v15, v16
	v_swap_b32 v1, v2
	v_dual_mov_b32 v40, v39 :: v_dual_mov_b32 v29, v24
	v_dual_mov_b32 v4, v19 :: v_dual_mov_b32 v31, v26
	;; [unrolled: 1-line block ×10, first 2 shown]
	v_mov_b32_e32 v52, v44
	v_mov_b32_e32 v54, v46
	;; [unrolled: 1-line block ×4, first 2 shown]
.LBB265_135:
	s_or_b32 exec_lo, exec_lo, s2
	s_clause 0x1
	s_load_b32 s8, s[0:1], 0x28
	s_load_b128 s[4:7], s[0:1], 0x10
	v_mov_b32_e32 v6, 0
	s_waitcnt lgkmcnt(0)
	s_cmp_lt_i32 s8, 1
	s_cbranch_scc1 .LBB265_141
; %bb.136:
	v_cmp_lt_f32_e32 vcc_lo, v40, v60
	v_mov_b32_e32 v7, 0
	s_mov_b32 s9, 0x76543210
	s_mov_b32 s10, s8
	v_mov_b32_e32 v6, 0
	v_cndmask_b32_e32 v8, v60, v40, vcc_lo
	v_cndmask_b32_e32 v19, v61, v60, vcc_lo
	v_dual_cndmask_b32 v5, v59, v2 :: v_dual_cndmask_b32 v2, v2, v59
	v_dual_cndmask_b32 v9, v51, v16 :: v_dual_cndmask_b32 v20, v16, v51
	s_delay_alu instid0(VALU_DEP_3) | instskip(NEXT) | instid1(VALU_DEP_1)
	v_cmp_lt_f32_e64 s2, v39, v19
	v_cndmask_b32_e64 v10, v2, v1, s2
	v_cndmask_b32_e64 v11, v1, v2, s2
	;; [unrolled: 1-line block ×6, first 2 shown]
	v_dual_mov_b32 v20, v0 :: v_dual_mov_b32 v1, 0
	v_mov_b32_e32 v2, 0
.LBB265_137:                            ; =>This Inner Loop Header: Depth=1
	v_cmp_eq_u32_e32 vcc_lo, 1, v7
	v_cmp_eq_u32_e64 s2, 2, v7
	v_dual_cndmask_b32 v21, v16, v12 :: v_dual_cndmask_b32 v22, v11, v10
	s_delay_alu instid0(VALU_DEP_1) | instskip(NEXT) | instid1(VALU_DEP_2)
	v_cndmask_b32_e64 v21, v21, v8, s2
	v_cndmask_b32_e64 v22, v22, v5, s2
	v_cndmask_b32_e32 v23, v15, v19, vcc_lo
	v_cmp_eq_u32_e32 vcc_lo, 3, v7
	s_delay_alu instid0(VALU_DEP_3) | instskip(NEXT) | instid1(VALU_DEP_3)
	v_cndmask_b32_e32 v22, v22, v14, vcc_lo
	v_cndmask_b32_e64 v23, v23, v9, s2
	v_cmp_eq_u32_e64 s2, 4, v7
	s_delay_alu instid0(VALU_DEP_2) | instskip(NEXT) | instid1(VALU_DEP_2)
	v_cndmask_b32_e32 v23, v23, v13, vcc_lo
	v_cndmask_b32_e64 v22, v22, v32, s2
	v_cndmask_b32_e32 v21, v21, v3, vcc_lo
	v_cmp_eq_u32_e32 vcc_lo, 5, v7
	s_delay_alu instid0(VALU_DEP_4) | instskip(NEXT) | instid1(VALU_DEP_4)
	v_cndmask_b32_e64 v23, v23, v4, s2
	v_cndmask_b32_e32 v22, v22, v33, vcc_lo
	s_delay_alu instid0(VALU_DEP_4) | instskip(SKIP_1) | instid1(VALU_DEP_4)
	v_cndmask_b32_e64 v21, v21, v42, s2
	v_cmp_eq_u32_e64 s2, 6, v7
	v_cndmask_b32_e32 v23, v23, v17, vcc_lo
	s_delay_alu instid0(VALU_DEP_3) | instskip(SKIP_1) | instid1(VALU_DEP_4)
	v_cndmask_b32_e32 v21, v21, v52, vcc_lo
	v_cmp_eq_u32_e32 vcc_lo, 7, v7
	v_cndmask_b32_e64 v22, v22, v34, s2
	s_delay_alu instid0(VALU_DEP_4) | instskip(NEXT) | instid1(VALU_DEP_4)
	v_cndmask_b32_e64 v23, v23, v18, s2
	v_cndmask_b32_e64 v21, v21, v53, s2
	v_cmp_eq_u32_e64 s2, 8, v7
	s_delay_alu instid0(VALU_DEP_4) | instskip(NEXT) | instid1(VALU_DEP_4)
	v_cndmask_b32_e32 v22, v22, v35, vcc_lo
	v_cndmask_b32_e32 v23, v23, v27, vcc_lo
	s_delay_alu instid0(VALU_DEP_4) | instskip(SKIP_1) | instid1(VALU_DEP_4)
	v_cndmask_b32_e32 v21, v21, v54, vcc_lo
	v_cmp_eq_u32_e32 vcc_lo, 9, v7
	v_cndmask_b32_e64 v22, v22, v36, s2
	s_delay_alu instid0(VALU_DEP_4) | instskip(NEXT) | instid1(VALU_DEP_4)
	v_cndmask_b32_e64 v23, v23, v28, s2
	v_cndmask_b32_e64 v21, v21, v55, s2
	v_cmp_eq_u32_e64 s2, 10, v7
	s_delay_alu instid0(VALU_DEP_4) | instskip(NEXT) | instid1(VALU_DEP_4)
	v_cndmask_b32_e32 v22, v22, v37, vcc_lo
	v_cndmask_b32_e32 v23, v23, v29, vcc_lo
	s_delay_alu instid0(VALU_DEP_4) | instskip(SKIP_1) | instid1(VALU_DEP_4)
	v_cndmask_b32_e32 v21, v21, v56, vcc_lo
	v_cmp_eq_u32_e32 vcc_lo, 11, v7
	v_cndmask_b32_e64 v22, v22, v38, s2
	s_delay_alu instid0(VALU_DEP_4) | instskip(NEXT) | instid1(VALU_DEP_4)
	v_cndmask_b32_e64 v23, v23, v30, s2
	v_cndmask_b32_e64 v21, v21, v57, s2
	v_cmp_gt_u32_e64 s2, 12, v7
	s_delay_alu instid0(VALU_DEP_2) | instskip(NEXT) | instid1(VALU_DEP_1)
	v_dual_cndmask_b32 v22, v22, v41 :: v_dual_cndmask_b32 v21, v21, v58
	v_cndmask_b32_e64 v24, 0, v22, s2
	s_delay_alu instid0(VALU_DEP_2)
	v_cndmask_b32_e64 v21, 0xff800000, v21, s2
	;;#ASMSTART
	v_max_f32 v25, v21, v21 quad_perm:[1,0,3,2] row_mask:0xf bank_mask:0xf bound_ctrl:1
	;;#ASMEND
	;;#ASMSTART
	v_max_f32 v26, v25, v25 quad_perm:[2,3,0,1] row_mask:0xf bank_mask:0xf bound_ctrl:1
	;;#ASMEND
	;;#ASMSTART
	v_max_f32 v25, v26, v26 row_half_mirror row_mask:0xf bank_mask:0xf bound_ctrl:1
	;;#ASMEND
	;;#ASMSTART
	v_max_f32 v26, v25, v25 row_mirror row_mask:0xf bank_mask:0xf bound_ctrl:1
	;;#ASMEND
	v_permlanex16_b32 v25, v26, s9, 0xfedcba98 op_sel:[1,1]
	s_delay_alu instid0(VALU_DEP_1) | instskip(NEXT) | instid1(VALU_DEP_1)
	v_dual_max_f32 v26, v26, v26 :: v_dual_max_f32 v25, v25, v25
	v_max_f32_e32 v25, v26, v25
	s_delay_alu instid0(VALU_DEP_1) | instskip(SKIP_1) | instid1(VALU_DEP_2)
	v_cmp_eq_f32_e64 s3, v21, v25
	v_cndmask_b32_e32 v21, v23, v31, vcc_lo
	s_ctz_i32_b32 s11, s3
	s_cmp_lg_u32 s3, 0
	s_cselect_b32 s3, s11, 0
	s_add_i32 s10, s10, -1
	v_readlane_b32 s3, v24, s3
	s_delay_alu instid0(VALU_DEP_1)
	v_cmp_eq_u32_e32 vcc_lo, s3, v22
	s_and_b32 vcc_lo, s2, vcc_lo
	s_and_b32 s2, s3, 31
	v_cndmask_b32_e32 v21, 0, v21, vcc_lo
	v_add_co_ci_u32_e32 v7, vcc_lo, 0, v7, vcc_lo
	s_cmp_eq_u32 s10, 0
	s_delay_alu instid0(VALU_DEP_2) | instskip(SKIP_2) | instid1(VALU_DEP_3)
	v_readlane_b32 s11, v21, s2
	v_cmp_eq_u32_e64 s2, 0, v20
	v_add_nc_u32_e32 v20, -1, v20
	v_add_f32_e32 v6, s11, v6
	s_delay_alu instid0(VALU_DEP_3)
	v_cndmask_b32_e64 v2, v2, s11, s2
	v_cndmask_b32_e64 v1, v1, s3, s2
	s_cbranch_scc0 .LBB265_137
; %bb.138:
	s_mov_b32 s2, exec_lo
	v_cmpx_gt_i32_e64 s8, v0
	s_cbranch_execz .LBB265_140
.LBB265_139:
	s_load_b32 s2, s[0:1], 0x30
	v_max_f32_e32 v3, v6, v6
	s_load_b64 s[0:1], s[0:1], 0x20
	s_ashr_i32 s3, s15, 31
	s_delay_alu instid0(VALU_DEP_1) | instskip(SKIP_1) | instid1(VALU_DEP_1)
	v_dual_max_f32 v3, 0x1e3ce508, v3 :: v_dual_lshlrev_b32 v0, 2, v0
	s_waitcnt lgkmcnt(0)
	v_div_scale_f32 v4, null, v3, v3, s2
	v_div_scale_f32 v7, vcc_lo, s2, v3, s2
	s_mul_i32 s1, s15, s1
	s_delay_alu instid0(VALU_DEP_2)
	v_rcp_f32_e32 v5, v4
	s_mul_hi_u32 s8, s15, s0
	s_mul_i32 s3, s3, s0
	s_add_i32 s1, s8, s1
	s_mul_i32 s0, s15, s0
	s_add_i32 s1, s1, s3
	s_delay_alu instid0(SALU_CYCLE_1) | instskip(SKIP_2) | instid1(VALU_DEP_1)
	s_lshl_b64 s[0:1], s[0:1], 2
	s_waitcnt_depctr 0xfff
	v_fma_f32 v6, -v4, v5, 1.0
	v_fmac_f32_e32 v5, v6, v5
	s_delay_alu instid0(VALU_DEP_1) | instskip(NEXT) | instid1(VALU_DEP_1)
	v_mul_f32_e32 v6, v7, v5
	v_fma_f32 v8, -v4, v6, v7
	s_delay_alu instid0(VALU_DEP_1) | instskip(NEXT) | instid1(VALU_DEP_1)
	v_fmac_f32_e32 v6, v8, v5
	v_fma_f32 v4, -v4, v6, v7
	s_delay_alu instid0(VALU_DEP_1) | instskip(NEXT) | instid1(VALU_DEP_1)
	v_div_fmas_f32 v4, v4, v5, v6
	v_div_fixup_f32 v3, v4, v3, s2
	s_add_u32 s2, s4, s0
	s_addc_u32 s3, s5, s1
	s_add_u32 s0, s6, s0
	s_addc_u32 s1, s7, s1
	v_mul_f32_e32 v2, v2, v3
	s_clause 0x1
	global_store_b32 v0, v2, s[2:3]
	global_store_b32 v0, v1, s[0:1]
.LBB265_140:
	s_endpgm
.LBB265_141:
	v_dual_mov_b32 v1, 0 :: v_dual_mov_b32 v2, 0
	s_mov_b32 s2, exec_lo
	v_cmpx_gt_i32_e64 s8, v0
	s_cbranch_execnz .LBB265_139
	s_branch .LBB265_140
	.section	.rodata,"a",@progbits
	.p2align	6, 0x0
	.amdhsa_kernel _ZN5aiter24topk_softplus_kernel_optI12hip_bfloat166__halfLi384ELb1ELi0EEEvPKT_PKT0_PfPimiif
		.amdhsa_group_segment_fixed_size 0
		.amdhsa_private_segment_fixed_size 196
		.amdhsa_kernarg_size 52
		.amdhsa_user_sgpr_count 15
		.amdhsa_user_sgpr_dispatch_ptr 0
		.amdhsa_user_sgpr_queue_ptr 0
		.amdhsa_user_sgpr_kernarg_segment_ptr 1
		.amdhsa_user_sgpr_dispatch_id 0
		.amdhsa_user_sgpr_private_segment_size 0
		.amdhsa_wavefront_size32 1
		.amdhsa_uses_dynamic_stack 0
		.amdhsa_enable_private_segment 1
		.amdhsa_system_sgpr_workgroup_id_x 1
		.amdhsa_system_sgpr_workgroup_id_y 0
		.amdhsa_system_sgpr_workgroup_id_z 0
		.amdhsa_system_sgpr_workgroup_info 0
		.amdhsa_system_vgpr_workitem_id 0
		.amdhsa_next_free_vgpr 183
		.amdhsa_next_free_sgpr 16
		.amdhsa_reserve_vcc 1
		.amdhsa_float_round_mode_32 0
		.amdhsa_float_round_mode_16_64 0
		.amdhsa_float_denorm_mode_32 3
		.amdhsa_float_denorm_mode_16_64 3
		.amdhsa_dx10_clamp 1
		.amdhsa_ieee_mode 1
		.amdhsa_fp16_overflow 0
		.amdhsa_workgroup_processor_mode 1
		.amdhsa_memory_ordered 1
		.amdhsa_forward_progress 0
		.amdhsa_shared_vgpr_count 0
		.amdhsa_exception_fp_ieee_invalid_op 0
		.amdhsa_exception_fp_denorm_src 0
		.amdhsa_exception_fp_ieee_div_zero 0
		.amdhsa_exception_fp_ieee_overflow 0
		.amdhsa_exception_fp_ieee_underflow 0
		.amdhsa_exception_fp_ieee_inexact 0
		.amdhsa_exception_int_div_zero 0
	.end_amdhsa_kernel
	.section	.text._ZN5aiter24topk_softplus_kernel_optI12hip_bfloat166__halfLi384ELb1ELi0EEEvPKT_PKT0_PfPimiif,"axG",@progbits,_ZN5aiter24topk_softplus_kernel_optI12hip_bfloat166__halfLi384ELb1ELi0EEEvPKT_PKT0_PfPimiif,comdat
.Lfunc_end265:
	.size	_ZN5aiter24topk_softplus_kernel_optI12hip_bfloat166__halfLi384ELb1ELi0EEEvPKT_PKT0_PfPimiif, .Lfunc_end265-_ZN5aiter24topk_softplus_kernel_optI12hip_bfloat166__halfLi384ELb1ELi0EEEvPKT_PKT0_PfPimiif
                                        ; -- End function
	.section	.AMDGPU.csdata,"",@progbits
; Kernel info:
; codeLenInByte = 30564
; NumSgprs: 18
; NumVgprs: 183
; ScratchSize: 196
; MemoryBound: 0
; FloatMode: 240
; IeeeMode: 1
; LDSByteSize: 0 bytes/workgroup (compile time only)
; SGPRBlocks: 2
; VGPRBlocks: 22
; NumSGPRsForWavesPerEU: 18
; NumVGPRsForWavesPerEU: 183
; Occupancy: 8
; WaveLimiterHint : 0
; COMPUTE_PGM_RSRC2:SCRATCH_EN: 1
; COMPUTE_PGM_RSRC2:USER_SGPR: 15
; COMPUTE_PGM_RSRC2:TRAP_HANDLER: 0
; COMPUTE_PGM_RSRC2:TGID_X_EN: 1
; COMPUTE_PGM_RSRC2:TGID_Y_EN: 0
; COMPUTE_PGM_RSRC2:TGID_Z_EN: 0
; COMPUTE_PGM_RSRC2:TIDIG_COMP_CNT: 0
	.section	.text._ZN5aiter24topk_softplus_kernel_optI12hip_bfloat166__halfLi384ELb0ELi0EEEvPKT_PKT0_PfPimiif,"axG",@progbits,_ZN5aiter24topk_softplus_kernel_optI12hip_bfloat166__halfLi384ELb0ELi0EEEvPKT_PKT0_PfPimiif,comdat
	.protected	_ZN5aiter24topk_softplus_kernel_optI12hip_bfloat166__halfLi384ELb0ELi0EEEvPKT_PKT0_PfPimiif ; -- Begin function _ZN5aiter24topk_softplus_kernel_optI12hip_bfloat166__halfLi384ELb0ELi0EEEvPKT_PKT0_PfPimiif
	.globl	_ZN5aiter24topk_softplus_kernel_optI12hip_bfloat166__halfLi384ELb0ELi0EEEvPKT_PKT0_PfPimiif
	.p2align	8
	.type	_ZN5aiter24topk_softplus_kernel_optI12hip_bfloat166__halfLi384ELb0ELi0EEEvPKT_PKT0_PfPimiif,@function
_ZN5aiter24topk_softplus_kernel_optI12hip_bfloat166__halfLi384ELb0ELi0EEEvPKT_PKT0_PfPimiif: ; @_ZN5aiter24topk_softplus_kernel_optI12hip_bfloat166__halfLi384ELb0ELi0EEEvPKT_PKT0_PfPimiif
; %bb.0:
	s_load_b128 s[4:7], s[0:1], 0x0
	s_mul_i32 s2, s15, 0x180
	v_lshlrev_b32_e32 v1, 1, v0
	s_ashr_i32 s3, s2, 31
	s_delay_alu instid0(SALU_CYCLE_1)
	s_lshl_b64 s[2:3], s[2:3], 1
	s_waitcnt lgkmcnt(0)
	s_add_u32 s4, s4, s2
	s_addc_u32 s5, s5, s3
	s_cmp_lg_u64 s[6:7], 0
	global_load_u16 v2, v1, s[4:5]
	s_cselect_b32 s3, -1, 0
	s_waitcnt vmcnt(0)
	v_lshlrev_b32_e32 v2, 16, v2
	s_delay_alu instid0(VALU_DEP_1) | instskip(NEXT) | instid1(VALU_DEP_1)
	v_mul_f32_e32 v3, 0x3fb8aa3b, v2
	v_cmp_gt_f32_e32 vcc_lo, 0xc2fc0000, v3
	v_cndmask_b32_e64 v3, 0, 0x42800000, vcc_lo
	v_cndmask_b32_e64 v4, 1.0, 0x1f800000, vcc_lo
	s_delay_alu instid0(VALU_DEP_2) | instskip(NEXT) | instid1(VALU_DEP_1)
	v_fmac_f32_e32 v3, 0x3fb8aa3b, v2
	v_exp_f32_e32 v3, v3
	s_waitcnt_depctr 0xfff
	v_fma_f32 v3, v3, v4, 1.0
	s_delay_alu instid0(VALU_DEP_1) | instskip(SKIP_1) | instid1(VALU_DEP_1)
	v_cmp_gt_f32_e32 vcc_lo, 0x800000, v3
	v_cndmask_b32_e64 v4, 1.0, 0x4f800000, vcc_lo
	v_mul_f32_e32 v3, v3, v4
	v_cndmask_b32_e64 v4, 0, 0x42000000, vcc_lo
	v_cmp_lt_f32_e32 vcc_lo, 0x41a00000, v2
	s_delay_alu instid0(VALU_DEP_3) | instskip(SKIP_2) | instid1(VALU_DEP_1)
	v_log_f32_e32 v3, v3
	s_waitcnt_depctr 0xfff
	v_sub_f32_e32 v3, v3, v4
	v_mul_f32_e32 v3, 0x3f317218, v3
	s_delay_alu instid0(VALU_DEP_1) | instskip(NEXT) | instid1(VALU_DEP_1)
	v_cndmask_b32_e32 v2, v3, v2, vcc_lo
	v_mul_f32_e32 v3, 0x4f800000, v2
	v_cmp_gt_f32_e32 vcc_lo, 0xf800000, v2
	s_delay_alu instid0(VALU_DEP_2) | instskip(NEXT) | instid1(VALU_DEP_1)
	v_cndmask_b32_e32 v2, v2, v3, vcc_lo
	v_sqrt_f32_e32 v3, v2
	s_waitcnt_depctr 0xfff
	v_add_nc_u32_e32 v4, -1, v3
	v_add_nc_u32_e32 v5, 1, v3
	s_delay_alu instid0(VALU_DEP_2) | instskip(NEXT) | instid1(VALU_DEP_2)
	v_fma_f32 v6, -v4, v3, v2
	v_fma_f32 v7, -v5, v3, v2
	s_delay_alu instid0(VALU_DEP_2) | instskip(NEXT) | instid1(VALU_DEP_1)
	v_cmp_ge_f32_e64 s2, 0, v6
	v_cndmask_b32_e64 v3, v3, v4, s2
	s_delay_alu instid0(VALU_DEP_3) | instskip(NEXT) | instid1(VALU_DEP_1)
	v_cmp_lt_f32_e64 s2, 0, v7
	v_cndmask_b32_e64 v3, v3, v5, s2
	v_add_co_u32 v12, s2, s4, v1
	s_delay_alu instid0(VALU_DEP_1) | instskip(NEXT) | instid1(VALU_DEP_3)
	v_add_co_ci_u32_e64 v13, null, s5, 0, s2
	v_mul_f32_e32 v4, 0x37800000, v3
	s_delay_alu instid0(VALU_DEP_1) | instskip(SKIP_1) | instid1(VALU_DEP_2)
	v_cndmask_b32_e32 v3, v3, v4, vcc_lo
	v_cmp_class_f32_e64 vcc_lo, v2, 0x260
	v_cndmask_b32_e32 v49, v3, v2, vcc_lo
	s_and_b32 vcc_lo, exec_lo, s3
	s_delay_alu instid0(VALU_DEP_1)
	v_mov_b32_e32 v37, v49
	s_cbranch_vccz .LBB266_2
; %bb.1:
	global_load_u16 v2, v1, s[6:7]
	s_waitcnt vmcnt(0)
	v_cvt_f32_f16_e32 v2, v2
	s_delay_alu instid0(VALU_DEP_1)
	v_add_f32_e32 v37, v49, v2
.LBB266_2:
	global_load_u16 v2, v[12:13], off offset:64
	v_cndmask_b32_e64 v14, 0, 1, s3
	s_waitcnt vmcnt(0)
	v_lshlrev_b32_e32 v2, 16, v2
	s_delay_alu instid0(VALU_DEP_1) | instskip(NEXT) | instid1(VALU_DEP_1)
	v_mul_f32_e32 v3, 0x3fb8aa3b, v2
	v_cmp_gt_f32_e32 vcc_lo, 0xc2fc0000, v3
	v_cndmask_b32_e64 v3, 0, 0x42800000, vcc_lo
	v_cndmask_b32_e64 v4, 1.0, 0x1f800000, vcc_lo
	s_delay_alu instid0(VALU_DEP_2) | instskip(NEXT) | instid1(VALU_DEP_1)
	v_fmac_f32_e32 v3, 0x3fb8aa3b, v2
	v_exp_f32_e32 v3, v3
	s_waitcnt_depctr 0xfff
	v_fma_f32 v3, v3, v4, 1.0
	s_delay_alu instid0(VALU_DEP_1) | instskip(SKIP_1) | instid1(VALU_DEP_1)
	v_cmp_gt_f32_e32 vcc_lo, 0x800000, v3
	v_cndmask_b32_e64 v4, 1.0, 0x4f800000, vcc_lo
	v_mul_f32_e32 v3, v3, v4
	v_cndmask_b32_e64 v4, 0, 0x42000000, vcc_lo
	v_cmp_lt_f32_e32 vcc_lo, 0x41a00000, v2
	s_delay_alu instid0(VALU_DEP_3) | instskip(SKIP_2) | instid1(VALU_DEP_1)
	v_log_f32_e32 v3, v3
	s_waitcnt_depctr 0xfff
	v_sub_f32_e32 v3, v3, v4
	v_mul_f32_e32 v3, 0x3f317218, v3
	s_delay_alu instid0(VALU_DEP_1) | instskip(NEXT) | instid1(VALU_DEP_1)
	v_cndmask_b32_e32 v2, v3, v2, vcc_lo
	v_mul_f32_e32 v3, 0x4f800000, v2
	v_cmp_gt_f32_e32 vcc_lo, 0xf800000, v2
	s_delay_alu instid0(VALU_DEP_2) | instskip(NEXT) | instid1(VALU_DEP_1)
	v_cndmask_b32_e32 v2, v2, v3, vcc_lo
	v_sqrt_f32_e32 v3, v2
	s_waitcnt_depctr 0xfff
	v_add_nc_u32_e32 v4, -1, v3
	v_add_nc_u32_e32 v5, 1, v3
	s_delay_alu instid0(VALU_DEP_2) | instskip(NEXT) | instid1(VALU_DEP_2)
	v_fma_f32 v6, -v4, v3, v2
	v_fma_f32 v7, -v5, v3, v2
	s_delay_alu instid0(VALU_DEP_2) | instskip(NEXT) | instid1(VALU_DEP_1)
	v_cmp_ge_f32_e64 s2, 0, v6
	v_cndmask_b32_e64 v3, v3, v4, s2
	s_delay_alu instid0(VALU_DEP_3) | instskip(NEXT) | instid1(VALU_DEP_1)
	v_cmp_lt_f32_e64 s2, 0, v7
	v_cndmask_b32_e64 v3, v3, v5, s2
	s_delay_alu instid0(VALU_DEP_1) | instskip(NEXT) | instid1(VALU_DEP_1)
	v_mul_f32_e32 v4, 0x37800000, v3
	v_cndmask_b32_e32 v3, v3, v4, vcc_lo
	v_cmp_class_f32_e64 vcc_lo, v2, 0x260
	s_delay_alu instid0(VALU_DEP_2) | instskip(SKIP_1) | instid1(VALU_DEP_1)
	v_cndmask_b32_e32 v2, v3, v2, vcc_lo
	s_and_not1_b32 vcc_lo, exec_lo, s3
	v_mov_b32_e32 v38, v2
	s_cbranch_vccnz .LBB266_4
; %bb.3:
	global_load_u16 v3, v1, s[6:7] offset:64
	s_waitcnt vmcnt(0)
	v_cvt_f32_f16_e32 v3, v3
	s_delay_alu instid0(VALU_DEP_1)
	v_add_f32_e32 v38, v2, v3
.LBB266_4:
	global_load_u16 v3, v[12:13], off offset:128
	s_waitcnt vmcnt(0)
	v_lshlrev_b32_e32 v3, 16, v3
	s_delay_alu instid0(VALU_DEP_1) | instskip(NEXT) | instid1(VALU_DEP_1)
	v_mul_f32_e32 v4, 0x3fb8aa3b, v3
	v_cmp_gt_f32_e32 vcc_lo, 0xc2fc0000, v4
	v_cndmask_b32_e64 v4, 0, 0x42800000, vcc_lo
	v_cndmask_b32_e64 v5, 1.0, 0x1f800000, vcc_lo
	s_delay_alu instid0(VALU_DEP_2) | instskip(NEXT) | instid1(VALU_DEP_1)
	v_fmac_f32_e32 v4, 0x3fb8aa3b, v3
	v_exp_f32_e32 v4, v4
	s_waitcnt_depctr 0xfff
	v_fma_f32 v4, v4, v5, 1.0
	s_delay_alu instid0(VALU_DEP_1) | instskip(SKIP_1) | instid1(VALU_DEP_1)
	v_cmp_gt_f32_e32 vcc_lo, 0x800000, v4
	v_cndmask_b32_e64 v5, 1.0, 0x4f800000, vcc_lo
	v_mul_f32_e32 v4, v4, v5
	v_cndmask_b32_e64 v5, 0, 0x42000000, vcc_lo
	v_cmp_lt_f32_e32 vcc_lo, 0x41a00000, v3
	s_delay_alu instid0(VALU_DEP_3) | instskip(SKIP_2) | instid1(VALU_DEP_1)
	v_log_f32_e32 v4, v4
	s_waitcnt_depctr 0xfff
	v_sub_f32_e32 v4, v4, v5
	v_mul_f32_e32 v4, 0x3f317218, v4
	s_delay_alu instid0(VALU_DEP_1) | instskip(NEXT) | instid1(VALU_DEP_1)
	v_cndmask_b32_e32 v3, v4, v3, vcc_lo
	v_mul_f32_e32 v4, 0x4f800000, v3
	v_cmp_gt_f32_e32 vcc_lo, 0xf800000, v3
	s_delay_alu instid0(VALU_DEP_2) | instskip(NEXT) | instid1(VALU_DEP_1)
	v_cndmask_b32_e32 v3, v3, v4, vcc_lo
	v_sqrt_f32_e32 v4, v3
	s_waitcnt_depctr 0xfff
	v_add_nc_u32_e32 v5, -1, v4
	v_add_nc_u32_e32 v6, 1, v4
	s_delay_alu instid0(VALU_DEP_2) | instskip(NEXT) | instid1(VALU_DEP_2)
	v_fma_f32 v7, -v5, v4, v3
	v_fma_f32 v8, -v6, v4, v3
	s_delay_alu instid0(VALU_DEP_2) | instskip(NEXT) | instid1(VALU_DEP_1)
	v_cmp_ge_f32_e64 s2, 0, v7
	v_cndmask_b32_e64 v4, v4, v5, s2
	s_delay_alu instid0(VALU_DEP_3) | instskip(NEXT) | instid1(VALU_DEP_1)
	v_cmp_lt_f32_e64 s2, 0, v8
	v_cndmask_b32_e64 v4, v4, v6, s2
	s_delay_alu instid0(VALU_DEP_1) | instskip(NEXT) | instid1(VALU_DEP_1)
	v_mul_f32_e32 v5, 0x37800000, v4
	v_cndmask_b32_e32 v4, v4, v5, vcc_lo
	v_cmp_class_f32_e64 vcc_lo, v3, 0x260
	s_delay_alu instid0(VALU_DEP_2) | instskip(SKIP_1) | instid1(VALU_DEP_2)
	v_cndmask_b32_e32 v3, v4, v3, vcc_lo
	v_cmp_ne_u32_e32 vcc_lo, 1, v14
	v_mov_b32_e32 v39, v3
	s_cbranch_vccnz .LBB266_6
; %bb.5:
	global_load_u16 v4, v1, s[6:7] offset:128
	s_waitcnt vmcnt(0)
	v_cvt_f32_f16_e32 v4, v4
	s_delay_alu instid0(VALU_DEP_1)
	v_add_f32_e32 v39, v3, v4
.LBB266_6:
	global_load_u16 v4, v[12:13], off offset:192
	s_waitcnt vmcnt(0)
	v_lshlrev_b32_e32 v4, 16, v4
	s_delay_alu instid0(VALU_DEP_1) | instskip(NEXT) | instid1(VALU_DEP_1)
	v_mul_f32_e32 v5, 0x3fb8aa3b, v4
	v_cmp_gt_f32_e32 vcc_lo, 0xc2fc0000, v5
	v_cndmask_b32_e64 v5, 0, 0x42800000, vcc_lo
	v_cndmask_b32_e64 v6, 1.0, 0x1f800000, vcc_lo
	s_delay_alu instid0(VALU_DEP_2) | instskip(NEXT) | instid1(VALU_DEP_1)
	v_fmac_f32_e32 v5, 0x3fb8aa3b, v4
	v_exp_f32_e32 v5, v5
	s_waitcnt_depctr 0xfff
	v_fma_f32 v5, v5, v6, 1.0
	s_delay_alu instid0(VALU_DEP_1) | instskip(SKIP_1) | instid1(VALU_DEP_1)
	v_cmp_gt_f32_e32 vcc_lo, 0x800000, v5
	v_cndmask_b32_e64 v6, 1.0, 0x4f800000, vcc_lo
	v_mul_f32_e32 v5, v5, v6
	v_cndmask_b32_e64 v6, 0, 0x42000000, vcc_lo
	v_cmp_lt_f32_e32 vcc_lo, 0x41a00000, v4
	s_delay_alu instid0(VALU_DEP_3) | instskip(SKIP_2) | instid1(VALU_DEP_1)
	v_log_f32_e32 v5, v5
	s_waitcnt_depctr 0xfff
	v_sub_f32_e32 v5, v5, v6
	v_mul_f32_e32 v5, 0x3f317218, v5
	s_delay_alu instid0(VALU_DEP_1) | instskip(NEXT) | instid1(VALU_DEP_1)
	v_cndmask_b32_e32 v4, v5, v4, vcc_lo
	v_mul_f32_e32 v5, 0x4f800000, v4
	v_cmp_gt_f32_e32 vcc_lo, 0xf800000, v4
	s_delay_alu instid0(VALU_DEP_2) | instskip(NEXT) | instid1(VALU_DEP_1)
	v_cndmask_b32_e32 v4, v4, v5, vcc_lo
	v_sqrt_f32_e32 v5, v4
	s_waitcnt_depctr 0xfff
	v_add_nc_u32_e32 v6, -1, v5
	v_add_nc_u32_e32 v7, 1, v5
	s_delay_alu instid0(VALU_DEP_2) | instskip(NEXT) | instid1(VALU_DEP_2)
	v_fma_f32 v8, -v6, v5, v4
	v_fma_f32 v9, -v7, v5, v4
	s_delay_alu instid0(VALU_DEP_2) | instskip(NEXT) | instid1(VALU_DEP_1)
	v_cmp_ge_f32_e64 s2, 0, v8
	v_cndmask_b32_e64 v5, v5, v6, s2
	s_delay_alu instid0(VALU_DEP_3) | instskip(NEXT) | instid1(VALU_DEP_1)
	v_cmp_lt_f32_e64 s2, 0, v9
	v_cndmask_b32_e64 v5, v5, v7, s2
	s_delay_alu instid0(VALU_DEP_1) | instskip(NEXT) | instid1(VALU_DEP_1)
	v_mul_f32_e32 v6, 0x37800000, v5
	v_cndmask_b32_e32 v5, v5, v6, vcc_lo
	v_cmp_class_f32_e64 vcc_lo, v4, 0x260
	s_delay_alu instid0(VALU_DEP_2) | instskip(SKIP_1) | instid1(VALU_DEP_2)
	v_cndmask_b32_e32 v4, v5, v4, vcc_lo
	v_cmp_ne_u32_e32 vcc_lo, 1, v14
	;; [unrolled: 59-line block ×9, first 2 shown]
	v_mov_b32_e32 v47, v11
	s_cbranch_vccnz .LBB266_22
; %bb.21:
	global_load_u16 v15, v1, s[6:7] offset:640
	s_waitcnt vmcnt(0)
	v_cvt_f32_f16_e32 v15, v15
	s_delay_alu instid0(VALU_DEP_1)
	v_add_f32_e32 v47, v11, v15
.LBB266_22:
	global_load_u16 v12, v[12:13], off offset:704
	s_waitcnt vmcnt(0)
	v_lshlrev_b32_e32 v12, 16, v12
	s_delay_alu instid0(VALU_DEP_1) | instskip(NEXT) | instid1(VALU_DEP_1)
	v_mul_f32_e32 v13, 0x3fb8aa3b, v12
	v_cmp_gt_f32_e32 vcc_lo, 0xc2fc0000, v13
	v_cndmask_b32_e64 v13, 0, 0x42800000, vcc_lo
	v_cndmask_b32_e64 v15, 1.0, 0x1f800000, vcc_lo
	s_delay_alu instid0(VALU_DEP_2) | instskip(NEXT) | instid1(VALU_DEP_1)
	v_fmac_f32_e32 v13, 0x3fb8aa3b, v12
	v_exp_f32_e32 v13, v13
	s_waitcnt_depctr 0xfff
	v_fma_f32 v13, v13, v15, 1.0
	s_delay_alu instid0(VALU_DEP_1) | instskip(SKIP_1) | instid1(VALU_DEP_1)
	v_cmp_gt_f32_e32 vcc_lo, 0x800000, v13
	v_cndmask_b32_e64 v15, 1.0, 0x4f800000, vcc_lo
	v_mul_f32_e32 v13, v13, v15
	v_cndmask_b32_e64 v15, 0, 0x42000000, vcc_lo
	v_cmp_lt_f32_e32 vcc_lo, 0x41a00000, v12
	s_delay_alu instid0(VALU_DEP_3) | instskip(SKIP_2) | instid1(VALU_DEP_1)
	v_log_f32_e32 v13, v13
	s_waitcnt_depctr 0xfff
	v_sub_f32_e32 v13, v13, v15
	v_mul_f32_e32 v13, 0x3f317218, v13
	s_delay_alu instid0(VALU_DEP_1) | instskip(NEXT) | instid1(VALU_DEP_1)
	v_cndmask_b32_e32 v12, v13, v12, vcc_lo
	v_mul_f32_e32 v13, 0x4f800000, v12
	v_cmp_gt_f32_e32 vcc_lo, 0xf800000, v12
	s_delay_alu instid0(VALU_DEP_2) | instskip(NEXT) | instid1(VALU_DEP_1)
	v_cndmask_b32_e32 v12, v12, v13, vcc_lo
	v_sqrt_f32_e32 v13, v12
	s_waitcnt_depctr 0xfff
	v_add_nc_u32_e32 v15, -1, v13
	v_add_nc_u32_e32 v16, 1, v13
	s_delay_alu instid0(VALU_DEP_2) | instskip(NEXT) | instid1(VALU_DEP_2)
	v_fma_f32 v17, -v15, v13, v12
	v_fma_f32 v18, -v16, v13, v12
	s_delay_alu instid0(VALU_DEP_2) | instskip(NEXT) | instid1(VALU_DEP_1)
	v_cmp_ge_f32_e64 s2, 0, v17
	v_cndmask_b32_e64 v13, v13, v15, s2
	s_delay_alu instid0(VALU_DEP_3) | instskip(NEXT) | instid1(VALU_DEP_1)
	v_cmp_lt_f32_e64 s2, 0, v18
	v_cndmask_b32_e64 v13, v13, v16, s2
	s_delay_alu instid0(VALU_DEP_1) | instskip(NEXT) | instid1(VALU_DEP_1)
	v_mul_f32_e32 v15, 0x37800000, v13
	v_cndmask_b32_e32 v13, v13, v15, vcc_lo
	v_cmp_class_f32_e64 vcc_lo, v12, 0x260
	s_delay_alu instid0(VALU_DEP_2)
	v_cndmask_b32_e32 v12, v13, v12, vcc_lo
	v_cmp_ne_u32_e32 vcc_lo, 1, v14
	s_cbranch_vccnz .LBB266_24
; %bb.23:
	global_load_u16 v1, v1, s[6:7] offset:704
	s_waitcnt vmcnt(0)
	v_cvt_f32_f16_e32 v1, v1
	s_delay_alu instid0(VALU_DEP_1)
	v_add_f32_e32 v48, v12, v1
	s_branch .LBB266_25
.LBB266_24:
	s_delay_alu instid0(VALU_DEP_2)
	v_mov_b32_e32 v48, v12
.LBB266_25:
	v_dual_mov_b32 v13, v37 :: v_dual_add_nc_u32 v26, 32, v0
	v_dual_mov_b32 v14, v38 :: v_dual_add_nc_u32 v27, 64, v0
	;; [unrolled: 1-line block ×11, first 2 shown]
	v_dual_mov_b32 v24, v48 :: v_dual_mov_b32 v1, v49
	v_mov_b32_e32 v25, v0
	s_mov_b32 s2, exec_lo
	v_cmpx_lt_f32_e32 v37, v38
	s_xor_b32 s2, exec_lo, s2
; %bb.26:
	v_dual_mov_b32 v13, v38 :: v_dual_mov_b32 v14, v37
	v_dual_mov_b32 v15, v39 :: v_dual_mov_b32 v16, v40
	;; [unrolled: 1-line block ×8, first 2 shown]
	v_mov_b32_e32 v26, v0
; %bb.27:
	s_or_b32 exec_lo, exec_lo, s2
	v_dual_mov_b32 v37, v15 :: v_dual_mov_b32 v86, v12
	v_dual_mov_b32 v75, v1 :: v_dual_mov_b32 v146, v12
	;; [unrolled: 1-line block ×36, first 2 shown]
	s_clause 0x8
	scratch_store_b128 off, v[1:4], off
	scratch_store_b128 off, v[5:8], off offset:16
	scratch_store_b128 off, v[9:12], off offset:32
	;; [unrolled: 1-line block ×8, first 2 shown]
	v_dual_mov_b32 v73, v35 :: v_dual_mov_b32 v72, v34
	v_dual_mov_b32 v71, v33 :: v_dual_mov_b32 v70, v32
	;; [unrolled: 1-line block ×30, first 2 shown]
	v_mov_b32_e32 v159, v25
	s_clause 0x2
	scratch_store_b128 off, v[25:28], off offset:144
	scratch_store_b128 off, v[29:32], off offset:160
	;; [unrolled: 1-line block ×3, first 2 shown]
	s_mov_b32 s2, exec_lo
	v_dual_mov_b32 v182, v36 :: v_dual_mov_b32 v181, v35
	v_dual_mov_b32 v180, v34 :: v_dual_mov_b32 v179, v33
	;; [unrolled: 1-line block ×6, first 2 shown]
	v_cmpx_lt_f32_e32 v38, v15
	s_cbranch_execz .LBB266_29
; %bb.28:
	v_dual_mov_b32 v37, v38 :: v_dual_mov_b32 v182, v36
	v_dual_mov_b32 v173, v27 :: v_dual_mov_b32 v172, v26
	;; [unrolled: 1-line block ×14, first 2 shown]
	v_mov_b32_e32 v125, v2
	v_dual_mov_b32 v159, v171 :: v_dual_mov_b32 v162, v174
	v_dual_mov_b32 v161, v173 :: v_dual_mov_b32 v164, v176
	v_dual_mov_b32 v160, v172 :: v_dual_mov_b32 v163, v175
	v_dual_mov_b32 v166, v178 :: v_dual_mov_b32 v165, v177
	v_dual_mov_b32 v168, v180 :: v_dual_mov_b32 v167, v179
	v_dual_mov_b32 v170, v182 :: v_dual_mov_b32 v169, v181
	v_mov_b32_e32 v162, v28
	s_clause 0x2
	scratch_store_b128 off, v[123:126], off offset:96
	scratch_store_b128 off, v[127:130], off offset:112
	;; [unrolled: 1-line block ×3, first 2 shown]
	v_dual_mov_b32 v14, v15 :: v_dual_mov_b32 v15, v38
	v_dual_mov_b32 v43, v164 :: v_dual_mov_b32 v44, v165
	;; [unrolled: 1-line block ×7, first 2 shown]
	s_clause 0x2
	scratch_store_b128 off, v[38:41], off offset:144
	scratch_store_b128 off, v[42:45], off offset:160
	;; [unrolled: 1-line block ×3, first 2 shown]
	v_mov_b32_e32 v163, v29
	v_mov_b32_e32 v27, v26
	v_dual_mov_b32 v43, v128 :: v_dual_mov_b32 v44, v129
	v_dual_mov_b32 v47, v132 :: v_dual_mov_b32 v38, v123
	;; [unrolled: 1-line block ×5, first 2 shown]
	v_mov_b32_e32 v41, v126
	v_dual_mov_b32 v147, v159 :: v_dual_mov_b32 v154, v166
	v_mov_b32_e32 v148, v160
	v_mov_b32_e32 v150, v162
	s_clause 0x2
	scratch_store_b128 off, v[38:41], off offset:48
	scratch_store_b128 off, v[42:45], off offset:64
	;; [unrolled: 1-line block ×3, first 2 shown]
	v_dual_mov_b32 v127, v5 :: v_dual_mov_b32 v152, v164
	v_dual_mov_b32 v153, v165 :: v_dual_mov_b32 v152, v30
	;; [unrolled: 1-line block ×7, first 2 shown]
	v_mov_b32_e32 v41, v126
	v_dual_mov_b32 v128, v6 :: v_dual_mov_b32 v99, v147
	v_dual_mov_b32 v105, v153 :: v_dual_mov_b32 v106, v154
	;; [unrolled: 1-line block ×3, first 2 shown]
	v_mov_b32_e32 v105, v31
	v_dual_mov_b32 v103, v151 :: v_dual_mov_b32 v104, v152
	v_dual_mov_b32 v107, v155 :: v_dual_mov_b32 v108, v156
	;; [unrolled: 1-line block ×6, first 2 shown]
	v_mov_b32_e32 v60, v132
	v_dual_mov_b32 v52, v124 :: v_dual_mov_b32 v55, v127
	v_dual_mov_b32 v58, v130 :: v_dual_mov_b32 v61, v133
	v_mov_b32_e32 v57, v7
	v_dual_mov_b32 v53, v125 :: v_dual_mov_b32 v56, v128
	s_clause 0x2
	scratch_store_b128 off, v[38:41], off
	scratch_store_b128 off, v[42:45], off offset:16
	scratch_store_b128 off, v[46:49], off offset:32
	v_dual_mov_b32 v39, v99 :: v_dual_mov_b32 v44, v104
	v_dual_mov_b32 v45, v105 :: v_dual_mov_b32 v50, v110
	;; [unrolled: 1-line block ×6, first 2 shown]
	v_mov_b32_e32 v122, v62
	v_dual_mov_b32 v46, v32 :: v_dual_mov_b32 v111, v51
	v_dual_mov_b32 v121, v61 :: v_dual_mov_b32 v120, v60
	;; [unrolled: 1-line block ×6, first 2 shown]
	v_mov_b32_e32 v118, v8
	v_dual_mov_b32 v98, v50 :: v_dual_mov_b32 v97, v49
	v_dual_mov_b32 v96, v48 :: v_dual_mov_b32 v95, v47
	;; [unrolled: 1-line block ×7, first 2 shown]
	v_mov_b32_e32 v135, v111
	v_dual_mov_b32 v3, v2 :: v_dual_mov_b32 v144, v120
	v_dual_mov_b32 v145, v121 :: v_dual_mov_b32 v142, v118
	;; [unrolled: 1-line block ×5, first 2 shown]
	v_mov_b32_e32 v137, v113
	v_mov_b32_e32 v143, v9
	v_dual_mov_b32 v63, v87 :: v_dual_mov_b32 v70, v94
	v_mov_b32_e32 v64, v88
	v_mov_b32_e32 v66, v90
	v_dual_mov_b32 v68, v92 :: v_dual_mov_b32 v75, v135
	v_dual_mov_b32 v80, v140 :: v_dual_mov_b32 v65, v89
	;; [unrolled: 1-line block ×13, first 2 shown]
.LBB266_29:
	s_or_b32 exec_lo, exec_lo, s2
	v_mov_b32_e32 v1, v16
	s_mov_b32 s2, exec_lo
	v_cmpx_lt_f32_e32 v37, v16
	s_cbranch_execz .LBB266_31
; %bb.30:
	s_clause 0x2
	scratch_load_b128 v[38:41], off, off offset:96
	scratch_load_b128 v[42:45], off, off offset:112
	;; [unrolled: 1-line block ×3, first 2 shown]
	v_mov_b32_e32 v173, v28
	v_dual_mov_b32 v15, v16 :: v_dual_mov_b32 v16, v37
	v_dual_mov_b32 v1, v37 :: v_dual_mov_b32 v28, v27
	s_waitcnt vmcnt(2)
	v_dual_mov_b32 v124, v39 :: v_dual_mov_b32 v123, v38
	s_waitcnt vmcnt(0)
	v_dual_mov_b32 v134, v49 :: v_dual_mov_b32 v125, v4
	v_dual_mov_b32 v159, v171 :: v_dual_mov_b32 v160, v172
	v_mov_b32_e32 v162, v174
	v_dual_mov_b32 v38, v123 :: v_dual_mov_b32 v39, v124
	v_dual_mov_b32 v161, v173 :: v_dual_mov_b32 v164, v176
	;; [unrolled: 1-line block ×10, first 2 shown]
	v_mov_b32_e32 v126, v41
	s_clause 0x2
	scratch_store_b128 off, v[38:41], off offset:96
	scratch_store_b128 off, v[42:45], off offset:112
	;; [unrolled: 1-line block ×3, first 2 shown]
	v_dual_mov_b32 v43, v164 :: v_dual_mov_b32 v38, v159
	v_dual_mov_b32 v41, v162 :: v_dual_mov_b32 v126, v3
	;; [unrolled: 1-line block ×7, first 2 shown]
	s_clause 0x2
	scratch_store_b128 off, v[38:41], off offset:144
	scratch_store_b128 off, v[42:45], off offset:160
	;; [unrolled: 1-line block ×3, first 2 shown]
	v_dual_mov_b32 v43, v128 :: v_dual_mov_b32 v46, v131
	v_dual_mov_b32 v49, v134 :: v_dual_mov_b32 v38, v123
	v_dual_mov_b32 v44, v129 :: v_dual_mov_b32 v45, v130
	v_dual_mov_b32 v47, v132 :: v_dual_mov_b32 v48, v133
	v_dual_mov_b32 v39, v124 :: v_dual_mov_b32 v40, v125
	v_mov_b32_e32 v41, v126
	v_dual_mov_b32 v147, v159 :: v_dual_mov_b32 v152, v164
	v_dual_mov_b32 v148, v160 :: v_dual_mov_b32 v127, v5
	;; [unrolled: 1-line block ×7, first 2 shown]
	s_clause 0x2
	scratch_store_b128 off, v[38:41], off offset:48
	scratch_store_b128 off, v[42:45], off offset:64
	;; [unrolled: 1-line block ×3, first 2 shown]
	v_dual_mov_b32 v38, v123 :: v_dual_mov_b32 v39, v124
	v_dual_mov_b32 v40, v125 :: v_dual_mov_b32 v41, v126
	v_mov_b32_e32 v42, v127
	v_dual_mov_b32 v128, v6 :: v_dual_mov_b32 v99, v147
	v_dual_mov_b32 v106, v154 :: v_dual_mov_b32 v107, v155
	;; [unrolled: 1-line block ×3, first 2 shown]
	v_mov_b32_e32 v52, v124
	v_dual_mov_b32 v100, v148 :: v_dual_mov_b32 v101, v149
	v_dual_mov_b32 v102, v150 :: v_dual_mov_b32 v103, v151
	v_dual_mov_b32 v108, v156 :: v_dual_mov_b32 v109, v157
	v_dual_mov_b32 v61, v133 :: v_dual_mov_b32 v62, v134
	v_dual_mov_b32 v104, v152 :: v_dual_mov_b32 v105, v153
	v_dual_mov_b32 v59, v131 :: v_dual_mov_b32 v60, v132
	v_mov_b32_e32 v105, v31
	v_dual_mov_b32 v57, v129 :: v_dual_mov_b32 v58, v130
	v_dual_mov_b32 v53, v125 :: v_dual_mov_b32 v54, v126
	;; [unrolled: 1-line block ×3, first 2 shown]
	v_mov_b32_e32 v57, v7
	s_clause 0x2
	scratch_store_b128 off, v[38:41], off
	scratch_store_b128 off, v[42:45], off offset:16
	scratch_store_b128 off, v[46:49], off offset:32
	v_dual_mov_b32 v39, v99 :: v_dual_mov_b32 v42, v102
	v_dual_mov_b32 v47, v107 :: v_dual_mov_b32 v50, v110
	;; [unrolled: 1-line block ×9, first 2 shown]
	v_mov_b32_e32 v46, v32
	v_dual_mov_b32 v118, v58 :: v_dual_mov_b32 v117, v57
	v_dual_mov_b32 v116, v56 :: v_dual_mov_b32 v115, v55
	;; [unrolled: 1-line block ×3, first 2 shown]
	v_mov_b32_e32 v118, v8
	v_dual_mov_b32 v98, v50 :: v_dual_mov_b32 v95, v47
	v_dual_mov_b32 v97, v49 :: v_dual_mov_b32 v90, v42
	;; [unrolled: 1-line block ×9, first 2 shown]
	v_mov_b32_e32 v89, v41
	v_dual_mov_b32 v143, v9 :: v_dual_mov_b32 v142, v118
	v_dual_mov_b32 v141, v117 :: v_dual_mov_b32 v140, v116
	;; [unrolled: 1-line block ×3, first 2 shown]
	v_mov_b32_e32 v137, v113
	v_dual_mov_b32 v63, v87 :: v_dual_mov_b32 v66, v90
	v_dual_mov_b32 v64, v88 :: v_dual_mov_b32 v75, v135
	;; [unrolled: 1-line block ×13, first 2 shown]
	v_mov_b32_e32 v82, v142
	v_dual_mov_b32 v84, v10 :: v_dual_mov_b32 v85, v11
	v_mov_b32_e32 v86, v12
.LBB266_31:
	s_or_b32 exec_lo, exec_lo, s2
	v_mov_b32_e32 v2, v17
	s_mov_b32 s2, exec_lo
	v_cmpx_lt_f32_e32 v1, v17
	s_cbranch_execz .LBB266_33
; %bb.32:
	s_clause 0x2
	scratch_load_b128 v[37:40], off, off offset:96
	scratch_load_b128 v[41:44], off, off offset:112
	;; [unrolled: 1-line block ×3, first 2 shown]
	v_mov_b32_e32 v174, v29
	v_dual_mov_b32 v2, v1 :: v_dual_mov_b32 v29, v28
	v_mov_b32_e32 v16, v17
	s_waitcnt vmcnt(0)
	v_dual_mov_b32 v74, v48 :: v_dual_mov_b32 v71, v45
	v_dual_mov_b32 v68, v42 :: v_dual_mov_b32 v65, v39
	v_dual_mov_b32 v72, v46 :: v_dual_mov_b32 v69, v43
	v_dual_mov_b32 v70, v44 :: v_dual_mov_b32 v67, v41
	v_dual_mov_b32 v64, v38 :: v_dual_mov_b32 v63, v37
	v_dual_mov_b32 v73, v47 :: v_dual_mov_b32 v66, v5
	v_dual_mov_b32 v159, v171 :: v_dual_mov_b32 v164, v176
	v_dual_mov_b32 v165, v177 :: v_dual_mov_b32 v162, v174
	v_dual_mov_b32 v163, v175 :: v_dual_mov_b32 v166, v178
	v_dual_mov_b32 v167, v179 :: v_dual_mov_b32 v168, v180
	v_dual_mov_b32 v169, v181 :: v_dual_mov_b32 v170, v182
	v_dual_mov_b32 v163, v28 :: v_dual_mov_b32 v134, v74
	v_dual_mov_b32 v133, v73 :: v_dual_mov_b32 v160, v172
	v_dual_mov_b32 v161, v173 :: v_dual_mov_b32 v130, v70
	v_dual_mov_b32 v129, v69 :: v_dual_mov_b32 v128, v68
	v_dual_mov_b32 v127, v67 :: v_dual_mov_b32 v124, v64
	v_dual_mov_b32 v123, v63 :: v_dual_mov_b32 v132, v72
	v_dual_mov_b32 v131, v71 :: v_dual_mov_b32 v126, v66
	v_mov_b32_e32 v125, v65
	v_mov_b32_e32 v127, v4
	v_dual_mov_b32 v147, v159 :: v_dual_mov_b32 v148, v160
	v_dual_mov_b32 v153, v165 :: v_dual_mov_b32 v156, v168
	;; [unrolled: 1-line block ×3, first 2 shown]
	v_mov_b32_e32 v157, v169
	v_dual_mov_b32 v151, v163 :: v_dual_mov_b32 v154, v166
	v_dual_mov_b32 v149, v161 :: v_dual_mov_b32 v152, v164
	;; [unrolled: 1-line block ×4, first 2 shown]
	v_mov_b32_e32 v38, v124
	v_dual_mov_b32 v152, v30 :: v_dual_mov_b32 v45, v131
	v_dual_mov_b32 v46, v132 :: v_dual_mov_b32 v47, v133
	;; [unrolled: 1-line block ×13, first 2 shown]
	s_clause 0x2
	scratch_store_b128 off, v[37:40], off
	scratch_store_b128 off, v[41:44], off offset:16
	scratch_store_b128 off, v[45:48], off offset:32
	v_dual_mov_b32 v57, v129 :: v_dual_mov_b32 v60, v132
	v_dual_mov_b32 v55, v127 :: v_dual_mov_b32 v58, v130
	v_mov_b32_e32 v61, v133
	v_mov_b32_e32 v57, v7
	v_dual_mov_b32 v39, v99 :: v_dual_mov_b32 v44, v104
	v_dual_mov_b32 v17, v1 :: v_dual_mov_b32 v52, v124
	;; [unrolled: 1-line block ×8, first 2 shown]
	v_mov_b32_e32 v122, v62
	v_dual_mov_b32 v46, v32 :: v_dual_mov_b32 v119, v59
	v_dual_mov_b32 v118, v58 :: v_dual_mov_b32 v111, v51
	;; [unrolled: 1-line block ×6, first 2 shown]
	v_mov_b32_e32 v112, v52
	v_dual_mov_b32 v98, v50 :: v_dual_mov_b32 v97, v49
	v_dual_mov_b32 v96, v48 :: v_dual_mov_b32 v95, v47
	;; [unrolled: 1-line block ×8, first 2 shown]
	v_mov_b32_e32 v135, v111
	v_dual_mov_b32 v145, v121 :: v_dual_mov_b32 v144, v120
	v_dual_mov_b32 v141, v117 :: v_dual_mov_b32 v140, v116
	v_mov_b32_e32 v143, v9
	v_dual_mov_b32 v139, v115 :: v_dual_mov_b32 v138, v114
	v_dual_mov_b32 v137, v113 :: v_dual_mov_b32 v136, v112
	s_clause 0x5
	scratch_store_b128 off, v[63:66], off offset:48
	scratch_store_b128 off, v[67:70], off offset:64
	scratch_store_b128 off, v[71:74], off offset:80
	scratch_store_b128 off, v[171:174], off offset:144
	scratch_store_b128 off, v[175:178], off offset:160
	scratch_store_b128 off, v[179:182], off offset:176
	v_dual_mov_b32 v63, v87 :: v_dual_mov_b32 v68, v92
	v_mov_b32_e32 v64, v88
	v_dual_mov_b32 v66, v90 :: v_dual_mov_b32 v75, v135
	v_dual_mov_b32 v78, v138 :: v_dual_mov_b32 v67, v91
	v_dual_mov_b32 v72, v96 :: v_dual_mov_b32 v69, v93
	v_dual_mov_b32 v74, v98 :: v_dual_mov_b32 v73, v97
	v_dual_mov_b32 v74, v36 :: v_dual_mov_b32 v81, v141
	v_dual_mov_b32 v84, v144 :: v_dual_mov_b32 v83, v143
	v_dual_mov_b32 v86, v146 :: v_dual_mov_b32 v85, v145
	v_dual_mov_b32 v84, v10 :: v_dual_mov_b32 v5, v4
	v_dual_mov_b32 v65, v89 :: v_dual_mov_b32 v70, v94
	v_dual_mov_b32 v71, v95 :: v_dual_mov_b32 v72, v34
	v_dual_mov_b32 v73, v35 :: v_dual_mov_b32 v76, v136
	v_dual_mov_b32 v77, v137 :: v_dual_mov_b32 v80, v140
	v_dual_mov_b32 v79, v139 :: v_dual_mov_b32 v82, v142
	v_dual_mov_b32 v85, v11 :: v_dual_mov_b32 v86, v12
.LBB266_33:
	s_or_b32 exec_lo, exec_lo, s2
	v_mov_b32_e32 v1, v18
	s_mov_b32 s2, exec_lo
	v_cmpx_lt_f32_e32 v2, v18
	s_cbranch_execz .LBB266_35
; %bb.34:
	s_clause 0x2
	scratch_load_b128 v[37:40], off, off offset:144
	scratch_load_b128 v[41:44], off, off offset:160
	;; [unrolled: 1-line block ×3, first 2 shown]
	s_waitcnt vmcnt(0)
	v_dual_mov_b32 v17, v18 :: v_dual_mov_b32 v170, v48
	v_dual_mov_b32 v169, v47 :: v_dual_mov_b32 v162, v40
	;; [unrolled: 1-line block ×6, first 2 shown]
	s_clause 0x2
	scratch_load_b128 v[37:40], off, off offset:48
	scratch_load_b128 v[41:44], off, off offset:64
	;; [unrolled: 1-line block ×3, first 2 shown]
	v_dual_mov_b32 v163, v30 :: v_dual_mov_b32 v30, v29
	s_waitcnt vmcnt(0)
	v_mov_b32_e32 v74, v48
	v_dual_mov_b32 v66, v40 :: v_dual_mov_b32 v63, v37
	v_dual_mov_b32 v73, v47 :: v_dual_mov_b32 v64, v38
	;; [unrolled: 1-line block ×5, first 2 shown]
	v_mov_b32_e32 v69, v43
	v_dual_mov_b32 v67, v6 :: v_dual_mov_b32 v148, v160
	v_dual_mov_b32 v134, v74 :: v_dual_mov_b32 v133, v73
	;; [unrolled: 1-line block ×12, first 2 shown]
	v_mov_b32_e32 v128, v5
	v_dual_mov_b32 v152, v29 :: v_dual_mov_b32 v51, v123
	v_dual_mov_b32 v99, v147 :: v_dual_mov_b32 v108, v156
	;; [unrolled: 1-line block ×13, first 2 shown]
	v_mov_b32_e32 v57, v7
	v_dual_mov_b32 v39, v99 :: v_dual_mov_b32 v40, v100
	v_dual_mov_b32 v49, v109 :: v_dual_mov_b32 v50, v110
	s_delay_alu instid0(VALU_DEP_4)
	v_dual_mov_b32 v122, v62 :: v_dual_mov_b32 v121, v61
	v_dual_mov_b32 v43, v103 :: v_dual_mov_b32 v44, v104
	;; [unrolled: 1-line block ×10, first 2 shown]
	v_mov_b32_e32 v46, v32
	v_mov_b32_e32 v118, v8
	v_dual_mov_b32 v98, v50 :: v_dual_mov_b32 v93, v45
	v_dual_mov_b32 v97, v49 :: v_dual_mov_b32 v146, v122
	;; [unrolled: 1-line block ×13, first 2 shown]
	v_mov_b32_e32 v137, v113
	s_clause 0x2
	scratch_store_b128 off, v[63:66], off
	scratch_store_b128 off, v[67:70], off offset:16
	scratch_store_b128 off, v[71:74], off offset:32
	v_dual_mov_b32 v63, v87 :: v_dual_mov_b32 v66, v90
	v_dual_mov_b32 v75, v135 :: v_dual_mov_b32 v78, v138
	;; [unrolled: 1-line block ×15, first 2 shown]
	v_mov_b32_e32 v86, v12
	v_mov_b32_e32 v6, v5
.LBB266_35:
	s_or_b32 exec_lo, exec_lo, s2
	v_mov_b32_e32 v2, v19
	s_mov_b32 s2, exec_lo
	v_cmpx_lt_f32_e32 v1, v19
	s_cbranch_execz .LBB266_37
; %bb.36:
	s_clause 0x2
	scratch_load_b128 v[37:40], off, off
	scratch_load_b128 v[41:44], off, off offset:16
	scratch_load_b128 v[45:48], off, off offset:32
	v_mov_b32_e32 v164, v31
	v_dual_mov_b32 v2, v1 :: v_dual_mov_b32 v31, v30
	v_mov_b32_e32 v18, v19
	s_waitcnt vmcnt(0)
	v_dual_mov_b32 v134, v48 :: v_dual_mov_b32 v133, v47
	v_dual_mov_b32 v130, v44 :: v_dual_mov_b32 v127, v41
	;; [unrolled: 1-line block ×17, first 2 shown]
	v_mov_b32_e32 v61, v133
	v_mov_b32_e32 v57, v6
	;; [unrolled: 1-line block ×3, first 2 shown]
	v_dual_mov_b32 v62, v134 :: v_dual_mov_b32 v39, v99
	v_dual_mov_b32 v147, v159 :: v_dual_mov_b32 v148, v160
	s_delay_alu instid0(VALU_DEP_2)
	v_dual_mov_b32 v149, v161 :: v_dual_mov_b32 v122, v62
	v_dual_mov_b32 v120, v60 :: v_dual_mov_b32 v49, v109
	v_mov_b32_e32 v50, v110
	v_dual_mov_b32 v40, v100 :: v_dual_mov_b32 v119, v59
	v_dual_mov_b32 v118, v58 :: v_dual_mov_b32 v115, v55
	;; [unrolled: 1-line block ×6, first 2 shown]
	v_mov_b32_e32 v121, v61
	v_dual_mov_b32 v117, v57 :: v_dual_mov_b32 v116, v56
	v_dual_mov_b32 v113, v53 :: v_dual_mov_b32 v112, v52
	;; [unrolled: 1-line block ×3, first 2 shown]
	v_mov_b32_e32 v46, v32
	v_mov_b32_e32 v118, v8
	v_dual_mov_b32 v98, v50 :: v_dual_mov_b32 v95, v47
	v_dual_mov_b32 v97, v49 :: v_dual_mov_b32 v146, v122
	;; [unrolled: 1-line block ×4, first 2 shown]
	v_mov_b32_e32 v87, v39
	v_dual_mov_b32 v143, v9 :: v_dual_mov_b32 v96, v48
	v_dual_mov_b32 v93, v45 :: v_dual_mov_b32 v88, v40
	;; [unrolled: 1-line block ×8, first 2 shown]
	v_mov_b32_e32 v137, v113
	v_dual_mov_b32 v75, v135 :: v_dual_mov_b32 v78, v138
	v_dual_mov_b32 v63, v87 :: v_dual_mov_b32 v66, v90
	;; [unrolled: 1-line block ×14, first 2 shown]
	v_mov_b32_e32 v74, v36
	v_dual_mov_b32 v84, v10 :: v_dual_mov_b32 v85, v11
	v_dual_mov_b32 v150, v162 :: v_dual_mov_b32 v151, v163
	;; [unrolled: 1-line block ×5, first 2 shown]
	v_mov_b32_e32 v158, v170
	v_mov_b32_e32 v7, v6
.LBB266_37:
	s_or_b32 exec_lo, exec_lo, s2
	v_mov_b32_e32 v1, v20
	s_mov_b32 s2, exec_lo
	v_cmpx_lt_f32_e32 v2, v20
	s_cbranch_execz .LBB266_39
; %bb.38:
	v_mov_b32_e32 v129, v8
	v_mov_b32_e32 v153, v32
	v_dual_mov_b32 v111, v123 :: v_dual_mov_b32 v114, v126
	v_dual_mov_b32 v39, v147 :: v_dual_mov_b32 v40, v148
	;; [unrolled: 1-line block ×10, first 2 shown]
	v_mov_b32_e32 v120, v132
	v_dual_mov_b32 v116, v128 :: v_dual_mov_b32 v121, v133
	v_mov_b32_e32 v46, v31
	v_dual_mov_b32 v119, v131 :: v_dual_mov_b32 v98, v50
	v_dual_mov_b32 v118, v7 :: v_dual_mov_b32 v97, v49
	;; [unrolled: 1-line block ×13, first 2 shown]
	v_mov_b32_e32 v95, v33
	v_dual_mov_b32 v19, v20 :: v_dual_mov_b32 v20, v2
	v_mov_b32_e32 v143, v9
	v_dual_mov_b32 v63, v87 :: v_dual_mov_b32 v68, v92
	v_dual_mov_b32 v64, v88 :: v_dual_mov_b32 v75, v135
	;; [unrolled: 1-line block ×11, first 2 shown]
	v_mov_b32_e32 v70, v94
	v_dual_mov_b32 v66, v90 :: v_dual_mov_b32 v71, v95
	v_dual_mov_b32 v76, v136 :: v_dual_mov_b32 v77, v137
	;; [unrolled: 1-line block ×15, first 2 shown]
	v_mov_b32_e32 v110, v158
	v_dual_mov_b32 v1, v2 :: v_dual_mov_b32 v8, v7
	v_mov_b32_e32 v32, v31
.LBB266_39:
	s_or_b32 exec_lo, exec_lo, s2
	v_mov_b32_e32 v2, v21
	s_mov_b32 s2, exec_lo
	v_cmpx_lt_f32_e32 v1, v21
	s_cbranch_execz .LBB266_41
; %bb.40:
	v_mov_b32_e32 v58, v9
	v_mov_b32_e32 v106, v33
	v_dual_mov_b32 v146, v62 :: v_dual_mov_b32 v143, v59
	v_mov_b32_e32 v87, v99
	s_delay_alu instid0(VALU_DEP_3)
	v_dual_mov_b32 v141, v57 :: v_dual_mov_b32 v94, v106
	v_dual_mov_b32 v95, v107 :: v_dual_mov_b32 v140, v56
	;; [unrolled: 1-line block ×6, first 2 shown]
	v_mov_b32_e32 v95, v32
	v_dual_mov_b32 v143, v8 :: v_dual_mov_b32 v20, v21
	v_dual_mov_b32 v88, v100 :: v_dual_mov_b32 v89, v101
	;; [unrolled: 1-line block ×7, first 2 shown]
	s_delay_alu instid0(VALU_DEP_2)
	v_dual_mov_b32 v75, v135 :: v_dual_mov_b32 v76, v136
	v_dual_mov_b32 v122, v62 :: v_dual_mov_b32 v117, v57
	;; [unrolled: 1-line block ×25, first 2 shown]
	v_mov_b32_e32 v48, v108
	v_dual_mov_b32 v50, v110 :: v_dual_mov_b32 v9, v8
	v_dual_mov_b32 v2, v1 :: v_dual_mov_b32 v33, v32
.LBB266_41:
	s_or_b32 exec_lo, exec_lo, s2
	v_mov_b32_e32 v3, v22
	s_mov_b32 s2, exec_lo
	s_delay_alu instid0(VALU_DEP_2)
	v_cmpx_lt_f32_e32 v2, v22
	s_cbranch_execz .LBB266_43
; %bb.42:
	v_mov_b32_e32 v47, v34
	v_mov_b32_e32 v74, v50
	v_dual_mov_b32 v21, v22 :: v_dual_mov_b32 v72, v48
	v_dual_mov_b32 v72, v33 :: v_dual_mov_b32 v119, v10
	;; [unrolled: 1-line block ×3, first 2 shown]
	v_mov_b32_e32 v78, v114
	v_dual_mov_b32 v22, v2 :: v_dual_mov_b32 v73, v49
	v_dual_mov_b32 v81, v117 :: v_dual_mov_b32 v84, v120
	;; [unrolled: 1-line block ×7, first 2 shown]
	v_mov_b32_e32 v69, v45
	v_dual_mov_b32 v67, v43 :: v_dual_mov_b32 v66, v42
	v_dual_mov_b32 v65, v41 :: v_dual_mov_b32 v64, v40
	;; [unrolled: 1-line block ×18, first 2 shown]
	v_mov_b32_e32 v34, v33
.LBB266_43:
	s_or_b32 exec_lo, exec_lo, s2
	v_mov_b32_e32 v1, v23
	s_mov_b32 s2, exec_lo
	v_cmpx_lt_f32_e32 v3, v23
	s_cbranch_execz .LBB266_45
; %bb.44:
	v_dual_mov_b32 v144, v11 :: v_dual_mov_b32 v145, v10
	v_dual_mov_b32 v96, v35 :: v_dual_mov_b32 v97, v34
	v_mov_b32_e32 v146, v12
	v_mov_b32_e32 v22, v23
	v_dual_mov_b32 v23, v3 :: v_dual_mov_b32 v98, v36
	v_dual_mov_b32 v75, v135 :: v_dual_mov_b32 v84, v144
	;; [unrolled: 1-line block ×3, first 2 shown]
	v_mov_b32_e32 v79, v139
	v_dual_mov_b32 v77, v137 :: v_dual_mov_b32 v78, v138
	v_dual_mov_b32 v81, v141 :: v_dual_mov_b32 v80, v140
	;; [unrolled: 1-line block ×10, first 2 shown]
.LBB266_45:
	s_or_b32 exec_lo, exec_lo, s2
	s_delay_alu instid0(VALU_DEP_1)
	v_cmp_lt_f32_e32 vcc_lo, v1, v24
	v_mov_b32_e32 v42, v78
	v_cmp_lt_f32_e64 s2, v13, v14
	v_dual_mov_b32 v40, v76 :: v_dual_mov_b32 v41, v77
	v_dual_cndmask_b32 v12, v24, v1 :: v_dual_mov_b32 v43, v79
	v_dual_cndmask_b32 v23, v23, v24 :: v_dual_cndmask_b32 v50, v86, v85
	s_delay_alu instid0(VALU_DEP_2) | instskip(SKIP_2) | instid1(VALU_DEP_3)
	v_dual_mov_b32 v39, v75 :: v_dual_mov_b32 v24, v12
	v_dual_cndmask_b32 v49, v85, v86 :: v_dual_mov_b32 v44, v80
	v_dual_cndmask_b32 v61, v73, v74 :: v_dual_cndmask_b32 v62, v74, v73
	v_dual_mov_b32 v38, v24 :: v_dual_mov_b32 v35, v21
	v_dual_mov_b32 v37, v23 :: v_dual_mov_b32 v36, v22
	;; [unrolled: 1-line block ×13, first 2 shown]
	s_and_saveexec_b32 s3, s2
	s_delay_alu instid0(SALU_CYCLE_1)
	s_xor_b32 s2, exec_lo, s3
	s_cbranch_execz .LBB266_47
; %bb.46:
	v_dual_mov_b32 v1, v14 :: v_dual_mov_b32 v2, v13
	v_dual_mov_b32 v3, v15 :: v_dual_mov_b32 v4, v16
	v_dual_mov_b32 v5, v17 :: v_dual_mov_b32 v6, v18
	v_dual_mov_b32 v7, v19 :: v_dual_mov_b32 v8, v20
	v_dual_mov_b32 v9, v21 :: v_dual_mov_b32 v10, v22
	v_dual_mov_b32 v11, v23 :: v_dual_mov_b32 v14, v13
	s_delay_alu instid0(VALU_DEP_2) | instskip(NEXT) | instid1(VALU_DEP_2)
	v_dual_mov_b32 v38, v12 :: v_dual_mov_b32 v35, v9
	v_dual_mov_b32 v36, v10 :: v_dual_mov_b32 v37, v11
	;; [unrolled: 1-line block ×16, first 2 shown]
.LBB266_47:
	s_or_b32 exec_lo, exec_lo, s2
	v_dual_mov_b32 v13, v29 :: v_dual_mov_b32 v122, v50
	v_dual_mov_b32 v15, v39 :: v_dual_mov_b32 v16, v40
	;; [unrolled: 1-line block ×30, first 2 shown]
	v_mov_b32_e32 v135, v39
	s_clause 0x2
	scratch_store_b128 off, v[39:42], off offset:48
	scratch_store_b128 off, v[43:46], off offset:64
	;; [unrolled: 1-line block ×3, first 2 shown]
	v_dual_mov_b32 v1, v51 :: v_dual_mov_b32 v4, v54
	v_dual_mov_b32 v11, v61 :: v_dual_mov_b32 v74, v62
	;; [unrolled: 1-line block ×34, first 2 shown]
	v_mov_b32_e32 v159, v51
	s_mov_b32 s2, exec_lo
	v_dual_mov_b32 v73, v61 :: v_dual_mov_b32 v72, v60
	v_mov_b32_e32 v2, v52
	s_clause 0x2
	scratch_store_b128 off, v[51:54], off
	scratch_store_b128 off, v[55:58], off offset:16
	scratch_store_b128 off, v[59:62], off offset:32
	v_dual_mov_b32 v182, v50 :: v_dual_mov_b32 v181, v49
	v_dual_mov_b32 v180, v48 :: v_dual_mov_b32 v179, v47
	;; [unrolled: 1-line block ×6, first 2 shown]
	v_cmpx_lt_f32_e32 v14, v29
	s_cbranch_execz .LBB266_49
; %bb.48:
	v_dual_mov_b32 v170, v62 :: v_dual_mov_b32 v169, v61
	v_dual_mov_b32 v162, v54 :: v_dual_mov_b32 v161, v53
	;; [unrolled: 1-line block ×7, first 2 shown]
	s_clause 0x2
	scratch_store_b128 off, v[159:162], off
	scratch_store_b128 off, v[163:166], off offset:16
	scratch_store_b128 off, v[167:170], off offset:32
	v_dual_mov_b32 v182, v50 :: v_dual_mov_b32 v181, v49
	v_dual_mov_b32 v172, v40 :: v_dual_mov_b32 v171, v39
	;; [unrolled: 1-line block ×8, first 2 shown]
	s_delay_alu instid0(VALU_DEP_3)
	v_dual_mov_b32 v140, v176 :: v_dual_mov_b32 v141, v177
	v_dual_mov_b32 v138, v174 :: v_dual_mov_b32 v139, v175
	;; [unrolled: 1-line block ×3, first 2 shown]
	v_mov_b32_e32 v146, v182
	v_dual_mov_b32 v136, v172 :: v_dual_mov_b32 v137, v173
	v_mov_b32_e32 v138, v42
	v_dual_mov_b32 v142, v178 :: v_dual_mov_b32 v143, v179
	v_mov_b32_e32 v53, v52
	v_mov_b32_e32 v139, v43
	;; [unrolled: 1-line block ×3, first 2 shown]
	v_dual_mov_b32 v147, v159 :: v_dual_mov_b32 v148, v160
	v_mov_b32_e32 v151, v163
	v_dual_mov_b32 v149, v161 :: v_dual_mov_b32 v150, v162
	v_dual_mov_b32 v153, v165 :: v_dual_mov_b32 v152, v164
	;; [unrolled: 1-line block ×16, first 2 shown]
	v_mov_b32_e32 v122, v146
	v_dual_mov_b32 v114, v138 :: v_dual_mov_b32 v117, v141
	v_dual_mov_b32 v116, v140 :: v_dual_mov_b32 v119, v143
	;; [unrolled: 1-line block ×14, first 2 shown]
	v_mov_b32_e32 v82, v118
	v_dual_mov_b32 v76, v112 :: v_dual_mov_b32 v81, v117
	v_dual_mov_b32 v80, v116 :: v_dual_mov_b32 v85, v121
	;; [unrolled: 1-line block ×6, first 2 shown]
	v_mov_b32_e32 v81, v45
	v_dual_mov_b32 v65, v89 :: v_dual_mov_b32 v72, v96
	v_mov_b32_e32 v29, v14
	s_delay_alu instid0(VALU_DEP_3)
	v_dual_mov_b32 v110, v86 :: v_dual_mov_b32 v105, v81
	v_dual_mov_b32 v70, v94 :: v_dual_mov_b32 v73, v97
	;; [unrolled: 1-line block ×11, first 2 shown]
	v_mov_b32_e32 v106, v46
	s_clause 0x2
	scratch_store_b128 off, v[1:4], off offset:48
	scratch_store_b128 off, v[5:8], off offset:64
	;; [unrolled: 1-line block ×3, first 2 shown]
	v_dual_mov_b32 v100, v76 :: v_dual_mov_b32 v1, v63
	v_dual_mov_b32 v10, v72 :: v_dual_mov_b32 v3, v65
	v_dual_mov_b32 v10, v60 :: v_dual_mov_b32 v15, v99
	v_dual_mov_b32 v6, v68 :: v_dual_mov_b32 v9, v71
	v_dual_mov_b32 v8, v70 :: v_dual_mov_b32 v11, v73
	v_dual_mov_b32 v12, v74 :: v_dual_mov_b32 v11, v61
	v_dual_mov_b32 v20, v104 :: v_dual_mov_b32 v23, v107
	v_dual_mov_b32 v22, v106 :: v_dual_mov_b32 v25, v109
	v_dual_mov_b32 v24, v108 :: v_dual_mov_b32 v23, v47
	v_dual_mov_b32 v26, v110 :: v_dual_mov_b32 v25, v49
	v_dual_mov_b32 v2, v64 :: v_dual_mov_b32 v5, v67
	v_dual_mov_b32 v4, v66 :: v_dual_mov_b32 v7, v69
	v_dual_mov_b32 v9, v59 :: v_dual_mov_b32 v12, v62
	v_dual_mov_b32 v17, v101 :: v_dual_mov_b32 v16, v100
	v_dual_mov_b32 v19, v103 :: v_dual_mov_b32 v18, v102
	v_dual_mov_b32 v21, v105 :: v_dual_mov_b32 v24, v48
	v_mov_b32_e32 v26, v50
.LBB266_49:
	s_or_b32 exec_lo, exec_lo, s2
	v_mov_b32_e32 v14, v30
	s_mov_b32 s2, exec_lo
	v_cmpx_lt_f32_e32 v13, v30
	s_cbranch_execz .LBB266_51
; %bb.50:
	s_clause 0x2
	scratch_load_b128 v[1:4], off, off
	scratch_load_b128 v[5:8], off, off offset:16
	scratch_load_b128 v[9:12], off, off offset:32
	v_mov_b32_e32 v161, v54
	v_dual_mov_b32 v29, v30 :: v_dual_mov_b32 v30, v13
	v_mov_b32_e32 v54, v53
	s_waitcnt vmcnt(0)
	v_dual_mov_b32 v170, v12 :: v_dual_mov_b32 v169, v11
	v_mov_b32_e32 v162, v4
	v_dual_mov_b32 v162, v53 :: v_dual_mov_b32 v173, v42
	v_dual_mov_b32 v160, v2 :: v_dual_mov_b32 v135, v171
	v_dual_mov_b32 v159, v1 :: v_dual_mov_b32 v168, v10
	v_dual_mov_b32 v167, v9 :: v_dual_mov_b32 v166, v8
	v_mov_b32_e32 v165, v7
	s_delay_alu instid0(VALU_DEP_3)
	v_dual_mov_b32 v1, v159 :: v_dual_mov_b32 v2, v160
	v_dual_mov_b32 v136, v172 :: v_dual_mov_b32 v3, v161
	v_mov_b32_e32 v138, v174
	v_dual_mov_b32 v164, v6 :: v_dual_mov_b32 v163, v5
	s_clause 0x2
	scratch_store_b128 off, v[1:4], off
	scratch_store_b128 off, v[5:8], off offset:16
	scratch_store_b128 off, v[9:12], off offset:32
	v_dual_mov_b32 v137, v173 :: v_dual_mov_b32 v140, v176
	v_dual_mov_b32 v138, v41 :: v_dual_mov_b32 v147, v159
	v_dual_mov_b32 v139, v175 :: v_dual_mov_b32 v142, v178
	v_dual_mov_b32 v145, v181 :: v_dual_mov_b32 v148, v160
	v_dual_mov_b32 v151, v163 :: v_dual_mov_b32 v152, v164
	v_dual_mov_b32 v141, v177 :: v_dual_mov_b32 v144, v180
	v_dual_mov_b32 v143, v179 :: v_dual_mov_b32 v146, v182
	v_dual_mov_b32 v149, v161 :: v_dual_mov_b32 v150, v162
	v_dual_mov_b32 v153, v165 :: v_dual_mov_b32 v154, v166
	v_dual_mov_b32 v155, v167 :: v_dual_mov_b32 v156, v168
	v_dual_mov_b32 v157, v169 :: v_dual_mov_b32 v158, v170
	v_dual_mov_b32 v151, v55 :: v_dual_mov_b32 v6, v140
	v_mov_b32_e32 v139, v43
	v_dual_mov_b32 v123, v147 :: v_dual_mov_b32 v126, v150
	v_dual_mov_b32 v124, v148 :: v_dual_mov_b32 v111, v135
	;; [unrolled: 1-line block ×3, first 2 shown]
	s_delay_alu instid0(VALU_DEP_4)
	v_dual_mov_b32 v128, v152 :: v_dual_mov_b32 v115, v139
	v_dual_mov_b32 v116, v140 :: v_dual_mov_b32 v121, v145
	;; [unrolled: 1-line block ×6, first 2 shown]
	v_mov_b32_e32 v128, v56
	v_dual_mov_b32 v116, v44 :: v_dual_mov_b32 v87, v123
	v_dual_mov_b32 v113, v137 :: v_dual_mov_b32 v114, v138
	;; [unrolled: 1-line block ×17, first 2 shown]
	v_mov_b32_e32 v81, v45
	v_dual_mov_b32 v7, v141 :: v_dual_mov_b32 v8, v142
	v_dual_mov_b32 v9, v143 :: v_dual_mov_b32 v10, v144
	;; [unrolled: 1-line block ×5, first 2 shown]
	v_mov_b32_e32 v64, v88
	v_dual_mov_b32 v110, v86 :: v_dual_mov_b32 v109, v85
	v_dual_mov_b32 v65, v89 :: v_dual_mov_b32 v68, v92
	;; [unrolled: 1-line block ×10, first 2 shown]
	v_mov_b32_e32 v102, v78
	v_dual_mov_b32 v42, v41 :: v_dual_mov_b32 v103, v79
	v_mov_b32_e32 v100, v76
	v_mov_b32_e32 v106, v46
	s_clause 0x2
	scratch_store_b128 off, v[1:4], off offset:48
	scratch_store_b128 off, v[5:8], off offset:64
	;; [unrolled: 1-line block ×3, first 2 shown]
	v_mov_b32_e32 v1, v63
	v_mov_b32_e32 v5, v67
	v_dual_mov_b32 v3, v65 :: v_dual_mov_b32 v12, v74
	v_dual_mov_b32 v15, v99 :: v_dual_mov_b32 v4, v66
	;; [unrolled: 1-line block ×14, first 2 shown]
	v_mov_b32_e32 v24, v48
	v_mov_b32_e32 v26, v50
.LBB266_51:
	s_or_b32 exec_lo, exec_lo, s2
	v_mov_b32_e32 v13, v31
	s_mov_b32 s2, exec_lo
	v_cmpx_lt_f32_e32 v14, v31
	s_cbranch_execz .LBB266_53
; %bb.52:
	s_clause 0x2
	scratch_load_b128 v[1:4], off, off
	scratch_load_b128 v[5:8], off, off offset:16
	scratch_load_b128 v[9:12], off, off offset:32
	v_dual_mov_b32 v30, v31 :: v_dual_mov_b32 v31, v14
	v_dual_mov_b32 v13, v14 :: v_dual_mov_b32 v162, v55
	v_mov_b32_e32 v55, v54
	s_waitcnt vmcnt(2)
	v_dual_mov_b32 v161, v3 :: v_dual_mov_b32 v160, v2
	s_waitcnt vmcnt(0)
	v_dual_mov_b32 v159, v1 :: v_dual_mov_b32 v170, v12
	v_dual_mov_b32 v169, v11 :: v_dual_mov_b32 v168, v10
	;; [unrolled: 1-line block ×8, first 2 shown]
	s_delay_alu instid0(VALU_DEP_4)
	v_dual_mov_b32 v151, v163 :: v_dual_mov_b32 v156, v168
	v_dual_mov_b32 v157, v169 :: v_dual_mov_b32 v136, v172
	;; [unrolled: 1-line block ×8, first 2 shown]
	v_mov_b32_e32 v145, v181
	v_mov_b32_e32 v139, v42
	;; [unrolled: 1-line block ×3, first 2 shown]
	v_dual_mov_b32 v146, v182 :: v_dual_mov_b32 v123, v147
	v_dual_mov_b32 v111, v135 :: v_dual_mov_b32 v112, v136
	;; [unrolled: 1-line block ×3, first 2 shown]
	s_delay_alu instid0(VALU_DEP_4)
	v_dual_mov_b32 v124, v148 :: v_dual_mov_b32 v127, v151
	v_dual_mov_b32 v128, v152 :: v_dual_mov_b32 v131, v155
	;; [unrolled: 1-line block ×9, first 2 shown]
	v_mov_b32_e32 v120, v144
	v_dual_mov_b32 v116, v44 :: v_dual_mov_b32 v87, v123
	v_mov_b32_e32 v114, v138
	v_dual_mov_b32 v98, v134 :: v_dual_mov_b32 v75, v111
	v_dual_mov_b32 v88, v124 :: v_dual_mov_b32 v89, v125
	;; [unrolled: 1-line block ×3, first 2 shown]
	v_mov_b32_e32 v86, v122
	v_dual_mov_b32 v90, v126 :: v_dual_mov_b32 v91, v127
	v_dual_mov_b32 v92, v128 :: v_dual_mov_b32 v93, v129
	v_dual_mov_b32 v94, v130 :: v_dual_mov_b32 v95, v131
	v_dual_mov_b32 v82, v118 :: v_dual_mov_b32 v83, v119
	v_dual_mov_b32 v80, v116 :: v_dual_mov_b32 v81, v117
	v_dual_mov_b32 v84, v120 :: v_dual_mov_b32 v85, v121
	v_dual_mov_b32 v93, v57 :: v_dual_mov_b32 v76, v112
	v_dual_mov_b32 v77, v113 :: v_dual_mov_b32 v78, v114
	v_mov_b32_e32 v79, v115
	v_mov_b32_e32 v81, v45
	v_dual_mov_b32 v63, v87 :: v_dual_mov_b32 v66, v90
	v_dual_mov_b32 v64, v88 :: v_dual_mov_b32 v73, v97
	;; [unrolled: 1-line block ×9, first 2 shown]
	v_mov_b32_e32 v108, v84
	v_dual_mov_b32 v106, v46 :: v_dual_mov_b32 v1, v63
	v_dual_mov_b32 v105, v81 :: v_dual_mov_b32 v104, v80
	;; [unrolled: 1-line block ×19, first 2 shown]
	v_mov_b32_e32 v26, v50
	v_mov_b32_e32 v43, v42
	s_clause 0x2
	scratch_store_b128 off, v[171:174], off offset:48
	scratch_store_b128 off, v[175:178], off offset:64
	;; [unrolled: 1-line block ×3, first 2 shown]
.LBB266_53:
	s_or_b32 exec_lo, exec_lo, s2
	v_mov_b32_e32 v14, v32
	s_mov_b32 s2, exec_lo
	v_cmpx_lt_f32_e32 v13, v32
	s_cbranch_execz .LBB266_55
; %bb.54:
	s_clause 0x2
	scratch_load_b128 v[1:4], off, off offset:48
	scratch_load_b128 v[5:8], off, off offset:64
	;; [unrolled: 1-line block ×3, first 2 shown]
	v_dual_mov_b32 v163, v56 :: v_dual_mov_b32 v14, v13
	v_dual_mov_b32 v56, v55 :: v_dual_mov_b32 v31, v32
	s_waitcnt vmcnt(2)
	v_dual_mov_b32 v138, v4 :: v_dual_mov_b32 v137, v3
	s_waitcnt vmcnt(0)
	v_dual_mov_b32 v146, v12 :: v_dual_mov_b32 v145, v11
	v_dual_mov_b32 v136, v2 :: v_dual_mov_b32 v135, v1
	;; [unrolled: 1-line block ×17, first 2 shown]
	v_mov_b32_e32 v120, v144
	v_mov_b32_e32 v116, v43
	v_dual_mov_b32 v87, v123 :: v_dual_mov_b32 v88, v124
	v_dual_mov_b32 v89, v125 :: v_dual_mov_b32 v98, v134
	;; [unrolled: 1-line block ×12, first 2 shown]
	v_mov_b32_e32 v79, v115
	v_mov_b32_e32 v81, v45
	v_dual_mov_b32 v63, v87 :: v_dual_mov_b32 v66, v90
	v_dual_mov_b32 v64, v88 :: v_dual_mov_b32 v73, v97
	;; [unrolled: 1-line block ×8, first 2 shown]
	v_mov_b32_e32 v70, v58
	v_dual_mov_b32 v106, v46 :: v_dual_mov_b32 v65, v89
	v_dual_mov_b32 v68, v92 :: v_dual_mov_b32 v105, v81
	;; [unrolled: 1-line block ×4, first 2 shown]
	v_mov_b32_e32 v100, v76
	v_dual_mov_b32 v32, v13 :: v_dual_mov_b32 v1, v63
	v_dual_mov_b32 v12, v74 :: v_dual_mov_b32 v15, v99
	v_mov_b32_e32 v26, v110
	v_dual_mov_b32 v8, v70 :: v_dual_mov_b32 v9, v71
	v_dual_mov_b32 v10, v72 :: v_dual_mov_b32 v11, v73
	;; [unrolled: 1-line block ×20, first 2 shown]
	v_mov_b32_e32 v44, v43
.LBB266_55:
	s_or_b32 exec_lo, exec_lo, s2
	v_mov_b32_e32 v13, v33
	s_mov_b32 s2, exec_lo
	v_cmpx_lt_f32_e32 v14, v33
	s_cbranch_execz .LBB266_57
; %bb.56:
	v_mov_b32_e32 v140, v45
	v_dual_mov_b32 v152, v57 :: v_dual_mov_b32 v75, v135
	v_dual_mov_b32 v87, v147 :: v_dual_mov_b32 v90, v150
	;; [unrolled: 1-line block ×3, first 2 shown]
	s_delay_alu instid0(VALU_DEP_3)
	v_dual_mov_b32 v92, v152 :: v_dual_mov_b32 v93, v153
	v_dual_mov_b32 v76, v136 :: v_dual_mov_b32 v79, v139
	;; [unrolled: 1-line block ×6, first 2 shown]
	v_mov_b32_e32 v93, v56
	v_dual_mov_b32 v84, v144 :: v_dual_mov_b32 v63, v87
	v_dual_mov_b32 v78, v138 :: v_dual_mov_b32 v81, v141
	;; [unrolled: 1-line block ×5, first 2 shown]
	s_delay_alu instid0(VALU_DEP_3) | instskip(SKIP_1) | instid1(VALU_DEP_4)
	v_dual_mov_b32 v110, v86 :: v_dual_mov_b32 v109, v85
	v_dual_mov_b32 v100, v76 :: v_dual_mov_b32 v99, v75
	;; [unrolled: 1-line block ×11, first 2 shown]
	v_mov_b32_e32 v106, v46
	v_dual_mov_b32 v70, v58 :: v_dual_mov_b32 v15, v99
	v_dual_mov_b32 v1, v63 :: v_dual_mov_b32 v24, v108
	v_dual_mov_b32 v24, v48 :: v_dual_mov_b32 v111, v135
	s_delay_alu instid0(VALU_DEP_3)
	v_dual_mov_b32 v8, v70 :: v_dual_mov_b32 v9, v71
	v_dual_mov_b32 v10, v72 :: v_dual_mov_b32 v11, v73
	;; [unrolled: 1-line block ×26, first 2 shown]
	v_mov_b32_e32 v13, v14
	v_dual_mov_b32 v134, v158 :: v_dual_mov_b32 v45, v44
	v_mov_b32_e32 v57, v56
.LBB266_57:
	s_or_b32 exec_lo, exec_lo, s2
	v_mov_b32_e32 v14, v34
	s_mov_b32 s2, exec_lo
	v_cmpx_lt_f32_e32 v13, v34
	s_cbranch_execz .LBB266_59
; %bb.58:
	v_mov_b32_e32 v129, v58
	v_dual_mov_b32 v63, v123 :: v_dual_mov_b32 v70, v130
	v_dual_mov_b32 v70, v57 :: v_dual_mov_b32 v71, v131
	;; [unrolled: 1-line block ×22, first 2 shown]
	v_mov_b32_e32 v34, v13
	v_dual_mov_b32 v3, v65 :: v_dual_mov_b32 v4, v66
	v_dual_mov_b32 v5, v67 :: v_dual_mov_b32 v6, v68
	;; [unrolled: 1-line block ×20, first 2 shown]
	v_mov_b32_e32 v14, v13
	v_mov_b32_e32 v46, v45
	;; [unrolled: 1-line block ×3, first 2 shown]
.LBB266_59:
	s_or_b32 exec_lo, exec_lo, s2
	v_mov_b32_e32 v13, v35
	s_mov_b32 s2, exec_lo
	v_cmpx_lt_f32_e32 v14, v35
	s_cbranch_execz .LBB266_61
; %bb.60:
	v_mov_b32_e32 v94, v59
	v_dual_mov_b32 v34, v35 :: v_dual_mov_b32 v35, v14
	v_mov_b32_e32 v82, v47
	v_dual_mov_b32 v1, v87 :: v_dual_mov_b32 v2, v88
	v_dual_mov_b32 v10, v96 :: v_dual_mov_b32 v7, v93
	;; [unrolled: 1-line block ×13, first 2 shown]
	v_mov_b32_e32 v5, v91
	v_mov_b32_e32 v9, v58
	v_dual_mov_b32 v12, v62 :: v_dual_mov_b32 v17, v77
	v_dual_mov_b32 v16, v76 :: v_dual_mov_b32 v19, v79
	;; [unrolled: 1-line block ×14, first 2 shown]
	v_mov_b32_e32 v47, v46
	v_mov_b32_e32 v59, v58
	;; [unrolled: 1-line block ×3, first 2 shown]
.LBB266_61:
	s_or_b32 exec_lo, exec_lo, s2
	v_mov_b32_e32 v39, v36
	s_mov_b32 s2, exec_lo
	v_cmpx_lt_f32_e32 v13, v36
	s_cbranch_execz .LBB266_63
; %bb.62:
	v_dual_mov_b32 v71, v60 :: v_dual_mov_b32 v72, v59
	v_dual_mov_b32 v73, v61 :: v_dual_mov_b32 v108, v47
	;; [unrolled: 1-line block ×17, first 2 shown]
	v_mov_b32_e32 v39, v13
.LBB266_63:
	s_or_b32 exec_lo, exec_lo, s2
	s_delay_alu instid0(VALU_DEP_1)
	v_cmp_lt_f32_e32 vcc_lo, v39, v37
	v_dual_mov_b32 v40, v28 :: v_dual_mov_b32 v43, v31
	v_dual_mov_b32 v42, v30 :: v_dual_mov_b32 v45, v33
	v_dual_cndmask_b32 v13, v25, v24 :: v_dual_cndmask_b32 v24, v24, v25
	v_dual_cndmask_b32 v14, v11, v10 :: v_dual_cndmask_b32 v49, v37, v39
	v_dual_cndmask_b32 v10, v10, v11 :: v_dual_mov_b32 v39, v27
	v_dual_cndmask_b32 v48, v36, v37 :: v_dual_mov_b32 v41, v29
	v_dual_mov_b32 v44, v32 :: v_dual_mov_b32 v47, v35
	v_mov_b32_e32 v46, v34
	v_mov_b32_e32 v50, v38
	s_mov_b32 s2, exec_lo
	v_cmpx_lt_f32_e32 v27, v28
	s_cbranch_execz .LBB266_65
; %bb.64:
	v_dual_mov_b32 v28, v40 :: v_dual_mov_b32 v29, v39
	v_dual_mov_b32 v38, v49 :: v_dual_mov_b32 v39, v50
	;; [unrolled: 1-line block ×7, first 2 shown]
	v_mov_b32_e32 v11, v15
	v_swap_b32 v15, v16
	s_delay_alu instid0(VALU_DEP_4)
	v_mov_b32_e32 v48, v37
	v_swap_b32 v1, v2
	v_dual_mov_b32 v49, v38 :: v_dual_mov_b32 v46, v35
	v_dual_mov_b32 v47, v36 :: v_dual_mov_b32 v44, v33
	;; [unrolled: 1-line block ×4, first 2 shown]
	v_mov_b32_e32 v41, v30
	v_dual_mov_b32 v39, v28 :: v_dual_mov_b32 v28, v27
.LBB266_65:
	s_or_b32 exec_lo, exec_lo, s2
	v_mov_b32_e32 v11, v14
	v_dual_mov_b32 v25, v13 :: v_dual_mov_b32 v62, v12
	v_dual_mov_b32 v74, v26 :: v_dual_mov_b32 v63, v15
	v_mov_b32_e32 v86, v26
	v_dual_mov_b32 v72, v24 :: v_dual_mov_b32 v75, v15
	v_dual_mov_b32 v110, v26 :: v_dual_mov_b32 v53, v3
	;; [unrolled: 1-line block ×61, first 2 shown]
	v_mov_b32_e32 v149, v3
	v_mov_b32_e32 v147, v1
	;; [unrolled: 1-line block ×3, first 2 shown]
	s_mov_b32 s2, exec_lo
	v_dual_mov_b32 v85, v25 :: v_dual_mov_b32 v84, v24
	v_dual_mov_b32 v83, v23 :: v_dual_mov_b32 v82, v22
	s_clause 0x2
	scratch_store_b128 off, v[1:4], off
	scratch_store_b128 off, v[5:8], off offset:16
	scratch_store_b128 off, v[9:12], off offset:32
	v_cmpx_lt_f32_e32 v28, v41
	s_cbranch_execz .LBB266_67
; %bb.66:
	v_dual_mov_b32 v158, v12 :: v_dual_mov_b32 v157, v11
	v_dual_mov_b32 v150, v4 :: v_dual_mov_b32 v149, v3
	;; [unrolled: 1-line block ×7, first 2 shown]
	s_clause 0x2
	scratch_store_b128 off, v[147:150], off
	scratch_store_b128 off, v[151:154], off offset:16
	scratch_store_b128 off, v[155:158], off offset:32
	v_dual_mov_b32 v182, v26 :: v_dual_mov_b32 v181, v25
	v_dual_mov_b32 v172, v16 :: v_dual_mov_b32 v171, v15
	;; [unrolled: 1-line block ×8, first 2 shown]
	s_delay_alu instid0(VALU_DEP_4) | instskip(SKIP_1) | instid1(VALU_DEP_4)
	v_dual_mov_b32 v160, v172 :: v_dual_mov_b32 v161, v173
	v_dual_mov_b32 v162, v174 :: v_dual_mov_b32 v163, v175
	;; [unrolled: 1-line block ×4, first 2 shown]
	v_mov_b32_e32 v170, v182
	v_dual_mov_b32 v166, v178 :: v_dual_mov_b32 v167, v179
	v_mov_b32_e32 v162, v18
	v_dual_mov_b32 v40, v41 :: v_dual_mov_b32 v41, v28
	v_mov_b32_e32 v3, v2
	v_mov_b32_e32 v17, v16
	;; [unrolled: 1-line block ×3, first 2 shown]
	v_dual_mov_b32 v137, v149 :: v_dual_mov_b32 v144, v156
	v_dual_mov_b32 v123, v159 :: v_dual_mov_b32 v136, v148
	;; [unrolled: 1-line block ×12, first 2 shown]
	v_mov_b32_e32 v133, v169
	v_dual_mov_b32 v111, v135 :: v_dual_mov_b32 v112, v136
	v_dual_mov_b32 v99, v123 :: v_dual_mov_b32 v100, v124
	;; [unrolled: 1-line block ×12, first 2 shown]
	v_mov_b32_e32 v104, v20
	v_dual_mov_b32 v116, v6 :: v_dual_mov_b32 v75, v99
	v_mov_b32_e32 v87, v111
	v_dual_mov_b32 v93, v117 :: v_dual_mov_b32 v78, v102
	s_delay_alu instid0(VALU_DEP_3)
	v_dual_mov_b32 v81, v105 :: v_dual_mov_b32 v92, v116
	v_dual_mov_b32 v90, v114 :: v_dual_mov_b32 v91, v115
	;; [unrolled: 1-line block ×11, first 2 shown]
	v_mov_b32_e32 v51, v87
	v_dual_mov_b32 v63, v75 :: v_dual_mov_b32 v66, v78
	v_dual_mov_b32 v55, v91 :: v_dual_mov_b32 v58, v94
	;; [unrolled: 1-line block ×13, first 2 shown]
	v_mov_b32_e32 v60, v10
	v_dual_mov_b32 v61, v14 :: v_dual_mov_b32 v62, v12
	v_dual_mov_b32 v70, v22 :: v_dual_mov_b32 v71, v23
	;; [unrolled: 1-line block ×3, first 2 shown]
	v_mov_b32_e32 v74, v26
.LBB266_67:
	s_or_b32 exec_lo, exec_lo, s2
	v_mov_b32_e32 v1, v42
	v_cmp_lt_f32_e32 vcc_lo, v11, v42
	s_mov_b32 s2, exec_lo
	s_clause 0x2
	scratch_load_b128 v[27:30], off, off
	scratch_load_b128 v[31:34], off, off offset:16
	scratch_load_b128 v[35:38], off, off offset:32
	s_and_b32 s3, s2, vcc_lo
	s_delay_alu instid0(SALU_CYCLE_1)
	s_mov_b32 exec_lo, s3
	s_cbranch_execz .LBB266_69
; %bb.68:
	v_mov_b32_e32 v173, v18
	s_waitcnt vmcnt(2)
	v_mov_b32_e32 v29, v4
	v_dual_mov_b32 v159, v171 :: v_dual_mov_b32 v162, v174
	s_waitcnt vmcnt(0)
	v_dual_mov_b32 v158, v38 :: v_dual_mov_b32 v157, v37
	v_dual_mov_b32 v156, v36 :: v_dual_mov_b32 v147, v27
	;; [unrolled: 1-line block ×6, first 2 shown]
	v_mov_b32_e32 v168, v180
	v_dual_mov_b32 v164, v176 :: v_dual_mov_b32 v165, v177
	v_dual_mov_b32 v170, v182 :: v_dual_mov_b32 v155, v35
	;; [unrolled: 1-line block ×4, first 2 shown]
	v_mov_b32_e32 v162, v17
	v_dual_mov_b32 v169, v181 :: v_dual_mov_b32 v150, v3
	v_dual_mov_b32 v123, v159 :: v_dual_mov_b32 v124, v160
	;; [unrolled: 1-line block ×3, first 2 shown]
	s_delay_alu instid0(VALU_DEP_3)
	v_dual_mov_b32 v137, v149 :: v_dual_mov_b32 v138, v150
	v_dual_mov_b32 v139, v151 :: v_dual_mov_b32 v140, v152
	;; [unrolled: 1-line block ×10, first 2 shown]
	v_mov_b32_e32 v127, v19
	v_mov_b32_e32 v139, v5
	v_dual_mov_b32 v99, v123 :: v_dual_mov_b32 v100, v124
	v_dual_mov_b32 v111, v135 :: v_dual_mov_b32 v114, v138
	;; [unrolled: 1-line block ×4, first 2 shown]
	v_mov_b32_e32 v120, v144
	v_dual_mov_b32 v104, v128 :: v_dual_mov_b32 v105, v129
	v_dual_mov_b32 v110, v134 :: v_dual_mov_b32 v115, v139
	;; [unrolled: 1-line block ×22, first 2 shown]
	v_mov_b32_e32 v93, v7
	v_dual_mov_b32 v63, v75 :: v_dual_mov_b32 v68, v80
	v_dual_mov_b32 v64, v76 :: v_dual_mov_b32 v51, v87
	v_dual_mov_b32 v54, v90 :: v_dual_mov_b32 v55, v91
	s_delay_alu instid0(VALU_DEP_4)
	v_dual_mov_b32 v58, v94 :: v_dual_mov_b32 v57, v93
	v_dual_mov_b32 v60, v96 :: v_dual_mov_b32 v59, v95
	;; [unrolled: 1-line block ×8, first 2 shown]
	v_mov_b32_e32 v60, v10
	v_dual_mov_b32 v52, v88 :: v_dual_mov_b32 v53, v89
	v_dual_mov_b32 v56, v92 :: v_dual_mov_b32 v59, v9
	;; [unrolled: 1-line block ×3, first 2 shown]
	v_mov_b32_e32 v72, v24
	v_dual_mov_b32 v70, v22 :: v_dual_mov_b32 v71, v23
	v_dual_mov_b32 v73, v13 :: v_dual_mov_b32 v74, v26
	;; [unrolled: 1-line block ×3, first 2 shown]
	v_mov_b32_e32 v4, v3
.LBB266_69:
	s_or_b32 exec_lo, exec_lo, s2
	v_mov_b32_e32 v2, v43
	s_mov_b32 s2, exec_lo
	v_cmpx_lt_f32_e32 v1, v43
	s_cbranch_execz .LBB266_71
; %bb.70:
	v_mov_b32_e32 v174, v19
	s_waitcnt vmcnt(2)
	v_dual_mov_b32 v30, v5 :: v_dual_mov_b32 v123, v171
	s_waitcnt vmcnt(0)
	v_dual_mov_b32 v146, v38 :: v_dual_mov_b32 v143, v35
	v_dual_mov_b32 v145, v37 :: v_dual_mov_b32 v142, v34
	s_delay_alu instid0(VALU_DEP_3)
	v_dual_mov_b32 v139, v31 :: v_dual_mov_b32 v138, v30
	v_dual_mov_b32 v135, v27 :: v_dual_mov_b32 v124, v172
	;; [unrolled: 1-line block ×5, first 2 shown]
	v_mov_b32_e32 v127, v18
	v_dual_mov_b32 v134, v182 :: v_dual_mov_b32 v139, v4
	v_dual_mov_b32 v144, v36 :: v_dual_mov_b32 v141, v33
	;; [unrolled: 1-line block ×5, first 2 shown]
	s_delay_alu instid0(VALU_DEP_3)
	v_dual_mov_b32 v111, v135 :: v_dual_mov_b32 v112, v136
	v_dual_mov_b32 v99, v123 :: v_dual_mov_b32 v100, v124
	;; [unrolled: 1-line block ×12, first 2 shown]
	v_mov_b32_e32 v104, v20
	v_dual_mov_b32 v116, v6 :: v_dual_mov_b32 v75, v99
	v_mov_b32_e32 v87, v111
	v_dual_mov_b32 v93, v117 :: v_dual_mov_b32 v78, v102
	s_delay_alu instid0(VALU_DEP_3)
	v_dual_mov_b32 v81, v105 :: v_dual_mov_b32 v92, v116
	v_dual_mov_b32 v80, v104 :: v_dual_mov_b32 v83, v107
	;; [unrolled: 1-line block ×11, first 2 shown]
	v_mov_b32_e32 v63, v75
	s_delay_alu instid0(VALU_DEP_4)
	v_dual_mov_b32 v51, v87 :: v_dual_mov_b32 v52, v88
	v_dual_mov_b32 v71, v83 :: v_dual_mov_b32 v72, v84
	v_dual_mov_b32 v57, v93 :: v_dual_mov_b32 v58, v94
	v_dual_mov_b32 v59, v95 :: v_dual_mov_b32 v60, v96
	v_dual_mov_b32 v61, v97 :: v_dual_mov_b32 v62, v98
	v_dual_mov_b32 v69, v81 :: v_dual_mov_b32 v70, v82
	v_dual_mov_b32 v73, v85 :: v_dual_mov_b32 v74, v86
	v_dual_mov_b32 v72, v24 :: v_dual_mov_b32 v159, v171
	v_dual_mov_b32 v158, v38 :: v_dual_mov_b32 v153, v33
	v_dual_mov_b32 v42, v43 :: v_dual_mov_b32 v43, v1
	v_dual_mov_b32 v53, v89 :: v_dual_mov_b32 v54, v90
	v_dual_mov_b32 v55, v91 :: v_dual_mov_b32 v56, v92
	v_dual_mov_b32 v64, v76 :: v_dual_mov_b32 v65, v77
	v_dual_mov_b32 v66, v78 :: v_dual_mov_b32 v67, v79
	v_mov_b32_e32 v68, v80
	v_dual_mov_b32 v58, v8 :: v_dual_mov_b32 v59, v9
	v_dual_mov_b32 v60, v10 :: v_dual_mov_b32 v71, v23
	;; [unrolled: 1-line block ×16, first 2 shown]
	v_mov_b32_e32 v2, v1
.LBB266_71:
	s_or_b32 exec_lo, exec_lo, s2
	v_mov_b32_e32 v1, v44
	s_mov_b32 s2, exec_lo
	s_delay_alu instid0(VALU_DEP_2)
	v_cmpx_lt_f32_e32 v2, v44
	s_cbranch_execz .LBB266_73
; %bb.72:
	v_mov_b32_e32 v163, v20
	v_mov_b32_e32 v151, v6
	v_dual_mov_b32 v99, v159 :: v_dual_mov_b32 v100, v160
	v_dual_mov_b32 v111, v147 :: v_dual_mov_b32 v112, v148
	;; [unrolled: 1-line block ×10, first 2 shown]
	v_mov_b32_e32 v108, v168
	v_dual_mov_b32 v104, v164 :: v_dual_mov_b32 v107, v167
	v_mov_b32_e32 v116, v5
	v_dual_mov_b32 v109, v169 :: v_dual_mov_b32 v104, v19
	v_dual_mov_b32 v87, v111 :: v_dual_mov_b32 v88, v112
	;; [unrolled: 1-line block ×13, first 2 shown]
	v_mov_b32_e32 v93, v7
	v_dual_mov_b32 v43, v44 :: v_dual_mov_b32 v44, v2
	v_mov_b32_e32 v81, v21
	v_dual_mov_b32 v51, v87 :: v_dual_mov_b32 v56, v92
	v_dual_mov_b32 v52, v88 :: v_dual_mov_b32 v63, v75
	;; [unrolled: 1-line block ×14, first 2 shown]
	v_mov_b32_e32 v136, v148
	v_dual_mov_b32 v54, v90 :: v_dual_mov_b32 v59, v9
	v_dual_mov_b32 v62, v12 :: v_dual_mov_b32 v61, v14
	v_mov_b32_e32 v72, v24
	v_dual_mov_b32 v70, v22 :: v_dual_mov_b32 v71, v23
	v_dual_mov_b32 v73, v13 :: v_dual_mov_b32 v74, v26
	;; [unrolled: 1-line block ×13, first 2 shown]
	v_mov_b32_e32 v6, v5
.LBB266_73:
	s_or_b32 exec_lo, exec_lo, s2
	v_mov_b32_e32 v2, v45
	s_mov_b32 s2, exec_lo
	v_cmpx_lt_f32_e32 v1, v45
	s_cbranch_execz .LBB266_75
; %bb.74:
	v_mov_b32_e32 v140, v7
	v_dual_mov_b32 v128, v21 :: v_dual_mov_b32 v87, v135
	v_mov_b32_e32 v93, v141
	v_mov_b32_e32 v93, v6
	;; [unrolled: 1-line block ×3, first 2 shown]
	v_dual_mov_b32 v92, v140 :: v_dual_mov_b32 v95, v143
	v_dual_mov_b32 v96, v144 :: v_dual_mov_b32 v97, v145
	;; [unrolled: 1-line block ×42, first 2 shown]
	v_mov_b32_e32 v2, v1
.LBB266_75:
	s_or_b32 exec_lo, exec_lo, s2
	v_mov_b32_e32 v1, v46
	s_mov_b32 s2, exec_lo
	s_delay_alu instid0(VALU_DEP_2)
	v_cmpx_lt_f32_e32 v2, v46
	s_cbranch_execz .LBB266_77
; %bb.76:
	v_mov_b32_e32 v117, v8
	v_mov_b32_e32 v45, v46
	;; [unrolled: 1-line block ×4, first 2 shown]
	v_dual_mov_b32 v51, v111 :: v_dual_mov_b32 v54, v114
	v_dual_mov_b32 v56, v116 :: v_dual_mov_b32 v63, v99
	v_dual_mov_b32 v66, v102 :: v_dual_mov_b32 v53, v113
	v_dual_mov_b32 v58, v118 :: v_dual_mov_b32 v55, v115
	v_dual_mov_b32 v60, v120 :: v_dual_mov_b32 v57, v117
	v_dual_mov_b32 v62, v122 :: v_dual_mov_b32 v59, v119
	v_dual_mov_b32 v60, v10 :: v_dual_mov_b32 v61, v121
	v_mov_b32_e32 v58, v7
	v_dual_mov_b32 v67, v103 :: v_dual_mov_b32 v70, v106
	v_dual_mov_b32 v69, v105 :: v_dual_mov_b32 v72, v108
	v_dual_mov_b32 v71, v107 :: v_dual_mov_b32 v74, v110
	v_dual_mov_b32 v73, v109 :: v_dual_mov_b32 v72, v24
	v_dual_mov_b32 v75, v99 :: v_dual_mov_b32 v76, v100
	v_dual_mov_b32 v87, v111 :: v_dual_mov_b32 v88, v112
	v_dual_mov_b32 v52, v112 :: v_dual_mov_b32 v59, v9
	v_dual_mov_b32 v62, v12 :: v_dual_mov_b32 v61, v14
	v_dual_mov_b32 v64, v100 :: v_dual_mov_b32 v65, v101
	v_mov_b32_e32 v68, v104
	v_dual_mov_b32 v70, v21 :: v_dual_mov_b32 v71, v23
	v_dual_mov_b32 v73, v13 :: v_dual_mov_b32 v74, v26
	;; [unrolled: 10-line block ×3, first 2 shown]
	v_dual_mov_b32 v95, v119 :: v_dual_mov_b32 v96, v120
	v_dual_mov_b32 v97, v121 :: v_dual_mov_b32 v98, v122
.LBB266_77:
	s_or_b32 exec_lo, exec_lo, s2
	v_mov_b32_e32 v2, v47
	s_mov_b32 s2, exec_lo
	v_cmpx_lt_f32_e32 v1, v47
	s_cbranch_execz .LBB266_79
; %bb.78:
	v_dual_mov_b32 v83, v22 :: v_dual_mov_b32 v84, v24
	v_dual_mov_b32 v94, v9 :: v_dual_mov_b32 v95, v8
	;; [unrolled: 1-line block ×4, first 2 shown]
	v_mov_b32_e32 v86, v26
	v_dual_mov_b32 v46, v47 :: v_dual_mov_b32 v47, v1
	v_dual_mov_b32 v98, v12 :: v_dual_mov_b32 v63, v75
	;; [unrolled: 1-line block ×13, first 2 shown]
	v_mov_b32_e32 v62, v98
	v_mov_b32_e32 v2, v1
.LBB266_79:
	s_or_b32 exec_lo, exec_lo, s2
	s_delay_alu instid0(VALU_DEP_1)
	v_cmp_lt_f32_e32 vcc_lo, v2, v48
	v_dual_mov_b32 v1, v39 :: v_dual_mov_b32 v6, v44
	v_dual_mov_b32 v3, v41 :: v_dual_mov_b32 v8, v46
	s_waitcnt vmcnt(0)
	v_dual_cndmask_b32 v37, v72, v71 :: v_dual_mov_b32 v4, v42
	v_dual_cndmask_b32 v71, v71, v72 :: v_dual_cndmask_b32 v38, v60, v59
	v_dual_cndmask_b32 v59, v59, v60 :: v_dual_cndmask_b32 v10, v48, v2
	v_dual_cndmask_b32 v9, v47, v48 :: v_dual_mov_b32 v2, v40
	v_dual_mov_b32 v5, v43 :: v_dual_mov_b32 v12, v50
	v_mov_b32_e32 v7, v45
	v_mov_b32_e32 v11, v49
	s_mov_b32 s2, exec_lo
	v_cmpx_lt_f32_e32 v39, v40
	s_cbranch_execz .LBB266_81
; %bb.80:
	v_dual_mov_b32 v13, v2 :: v_dual_mov_b32 v14, v1
	v_dual_mov_b32 v15, v3 :: v_dual_mov_b32 v16, v4
	;; [unrolled: 1-line block ×6, first 2 shown]
	v_mov_b32_e32 v25, v63
	v_dual_mov_b32 v26, v51 :: v_dual_mov_b32 v1, v13
	v_swap_b32 v63, v64
	v_swap_b32 v51, v52
	v_dual_mov_b32 v2, v14 :: v_dual_mov_b32 v3, v15
	v_dual_mov_b32 v4, v16 :: v_dual_mov_b32 v5, v17
	;; [unrolled: 1-line block ×5, first 2 shown]
	v_mov_b32_e32 v12, v24
	v_mov_b32_e32 v40, v39
.LBB266_81:
	s_or_b32 exec_lo, exec_lo, s2
	v_mov_b32_e32 v60, v38
	v_dual_mov_b32 v72, v37 :: v_dual_mov_b32 v13, v51
	v_dual_mov_b32 v25, v63 :: v_dual_mov_b32 v98, v74
	;; [unrolled: 1-line block ×60, first 2 shown]
	s_mov_b32 s2, exec_lo
	v_dual_mov_b32 v96, v72 :: v_dual_mov_b32 v93, v69
	v_cmpx_lt_f32_e32 v40, v3
	s_cbranch_execz .LBB266_83
; %bb.82:
	v_dual_mov_b32 v134, v62 :: v_dual_mov_b32 v133, v61
	v_dual_mov_b32 v124, v52 :: v_dual_mov_b32 v123, v51
	v_mov_b32_e32 v124, v53
	v_dual_mov_b32 v128, v56 :: v_dual_mov_b32 v127, v55
	v_dual_mov_b32 v132, v60 :: v_dual_mov_b32 v131, v59
	;; [unrolled: 1-line block ×11, first 2 shown]
	v_mov_b32_e32 v141, v69
	v_dual_mov_b32 v136, v65 :: v_dual_mov_b32 v137, v64
	v_dual_mov_b32 v160, v124 :: v_dual_mov_b32 v159, v123
	;; [unrolled: 1-line block ×40, first 2 shown]
	v_mov_b32_e32 v22, v84
	v_dual_mov_b32 v22, v38 :: v_dual_mov_b32 v25, v87
	v_dual_mov_b32 v16, v78 :: v_dual_mov_b32 v19, v81
	;; [unrolled: 1-line block ×16, first 2 shown]
	v_mov_b32_e32 v35, v73
	v_dual_mov_b32 v34, v37 :: v_dual_mov_b32 v39, v40
	v_dual_mov_b32 v36, v74 :: v_dual_mov_b32 v65, v64
	v_mov_b32_e32 v53, v52
.LBB266_83:
	s_or_b32 exec_lo, exec_lo, s2
	v_mov_b32_e32 v40, v4
	s_mov_b32 s2, exec_lo
	v_cmpx_lt_f32_e32 v39, v4
	s_cbranch_execz .LBB266_85
; %bb.84:
	v_mov_b32_e32 v137, v66
	v_mov_b32_e32 v125, v54
	;; [unrolled: 1-line block ×4, first 2 shown]
	v_dual_mov_b32 v170, v134 :: v_dual_mov_b32 v169, v133
	v_dual_mov_b32 v168, v132 :: v_dual_mov_b32 v159, v123
	;; [unrolled: 1-line block ×9, first 2 shown]
	v_mov_b32_e32 v157, v145
	v_dual_mov_b32 v155, v143 :: v_dual_mov_b32 v152, v140
	v_mov_b32_e32 v162, v53
	v_mov_b32_e32 v149, v137
	v_dual_mov_b32 v150, v65 :: v_dual_mov_b32 v111, v159
	v_dual_mov_b32 v112, v160 :: v_dual_mov_b32 v99, v147
	;; [unrolled: 1-line block ×13, first 2 shown]
	v_mov_b32_e32 v115, v55
	v_dual_mov_b32 v87, v99 :: v_dual_mov_b32 v88, v100
	v_dual_mov_b32 v75, v111 :: v_dual_mov_b32 v78, v114
	;; [unrolled: 1-line block ×3, first 2 shown]
	s_delay_alu instid0(VALU_DEP_4)
	v_dual_mov_b32 v80, v116 :: v_dual_mov_b32 v79, v115
	v_dual_mov_b32 v82, v118 :: v_dual_mov_b32 v81, v117
	v_dual_mov_b32 v84, v120 :: v_dual_mov_b32 v83, v119
	v_dual_mov_b32 v86, v122 :: v_dual_mov_b32 v85, v121
	v_dual_mov_b32 v90, v102 :: v_dual_mov_b32 v89, v101
	v_dual_mov_b32 v94, v106 :: v_dual_mov_b32 v91, v103
	v_mov_b32_e32 v96, v108
	v_dual_mov_b32 v92, v104 :: v_dual_mov_b32 v93, v105
	v_dual_mov_b32 v98, v110 :: v_dual_mov_b32 v95, v107
	;; [unrolled: 1-line block ×21, first 2 shown]
	v_mov_b32_e32 v34, v37
	v_dual_mov_b32 v35, v73 :: v_dual_mov_b32 v36, v74
	v_mov_b32_e32 v40, v39
	v_mov_b32_e32 v66, v65
	;; [unrolled: 1-line block ×3, first 2 shown]
.LBB266_85:
	s_or_b32 exec_lo, exec_lo, s2
	v_mov_b32_e32 v39, v5
	s_mov_b32 s2, exec_lo
	v_cmpx_lt_f32_e32 v40, v5
	s_cbranch_execz .LBB266_87
; %bb.86:
	v_mov_b32_e32 v126, v55
	v_mov_b32_e32 v111, v123
	;; [unrolled: 1-line block ×3, first 2 shown]
	v_dual_mov_b32 v115, v54 :: v_dual_mov_b32 v116, v128
	v_dual_mov_b32 v138, v67 :: v_dual_mov_b32 v113, v125
	v_mov_b32_e32 v112, v124
	v_dual_mov_b32 v118, v130 :: v_dual_mov_b32 v119, v131
	v_dual_mov_b32 v120, v132 :: v_dual_mov_b32 v121, v133
	;; [unrolled: 1-line block ×24, first 2 shown]
	v_mov_b32_e32 v22, v84
	v_dual_mov_b32 v22, v38 :: v_dual_mov_b32 v25, v87
	v_dual_mov_b32 v16, v78 :: v_dual_mov_b32 v19, v81
	;; [unrolled: 1-line block ×18, first 2 shown]
	v_mov_b32_e32 v35, v73
	v_dual_mov_b32 v34, v37 :: v_dual_mov_b32 v155, v143
	v_dual_mov_b32 v36, v74 :: v_dual_mov_b32 v157, v145
	;; [unrolled: 1-line block ×12, first 2 shown]
	v_mov_b32_e32 v55, v54
.LBB266_87:
	s_or_b32 exec_lo, exec_lo, s2
	v_mov_b32_e32 v40, v6
	s_mov_b32 s2, exec_lo
	v_cmpx_lt_f32_e32 v39, v6
	s_cbranch_execz .LBB266_89
; %bb.88:
	v_mov_b32_e32 v163, v56
	v_dual_mov_b32 v75, v159 :: v_dual_mov_b32 v80, v164
	v_dual_mov_b32 v80, v55 :: v_dual_mov_b32 v81, v165
	;; [unrolled: 1-line block ×7, first 2 shown]
	v_mov_b32_e32 v85, v169
	v_dual_mov_b32 v89, v149 :: v_dual_mov_b32 v92, v152
	v_dual_mov_b32 v91, v151 :: v_dual_mov_b32 v94, v154
	;; [unrolled: 1-line block ×6, first 2 shown]
	v_mov_b32_e32 v88, v148
	v_mov_b32_e32 v6, v39
	s_delay_alu instid0(VALU_DEP_3) | instskip(NEXT) | instid1(VALU_DEP_3)
	v_dual_mov_b32 v13, v75 :: v_dual_mov_b32 v14, v76
	v_dual_mov_b32 v25, v87 :: v_dual_mov_b32 v26, v88
	;; [unrolled: 1-line block ×30, first 2 shown]
	v_mov_b32_e32 v40, v39
	v_mov_b32_e32 v68, v67
	;; [unrolled: 1-line block ×3, first 2 shown]
.LBB266_89:
	s_or_b32 exec_lo, exec_lo, s2
	v_mov_b32_e32 v39, v7
	s_mov_b32 s2, exec_lo
	v_cmpx_lt_f32_e32 v40, v7
	s_cbranch_execz .LBB266_91
; %bb.90:
	v_mov_b32_e32 v116, v57
	v_dual_mov_b32 v6, v7 :: v_dual_mov_b32 v7, v40
	v_dual_mov_b32 v104, v69 :: v_dual_mov_b32 v13, v111
	v_mov_b32_e32 v22, v120
	v_dual_mov_b32 v22, v38 :: v_dual_mov_b32 v25, v99
	v_mov_b32_e32 v34, v108
	v_dual_mov_b32 v34, v37 :: v_dual_mov_b32 v87, v99
	v_dual_mov_b32 v16, v114 :: v_dual_mov_b32 v19, v117
	;; [unrolled: 1-line block ×12, first 2 shown]
	v_mov_b32_e32 v23, v61
	v_dual_mov_b32 v21, v59 :: v_dual_mov_b32 v24, v62
	v_dual_mov_b32 v27, v101 :: v_dual_mov_b32 v26, v100
	;; [unrolled: 1-line block ×3, first 2 shown]
	v_mov_b32_e32 v35, v73
	v_dual_mov_b32 v33, v71 :: v_dual_mov_b32 v36, v74
	v_dual_mov_b32 v89, v101 :: v_dual_mov_b32 v88, v100
	;; [unrolled: 1-line block ×9, first 2 shown]
	v_mov_b32_e32 v39, v40
	v_mov_b32_e32 v69, v68
	v_dual_mov_b32 v57, v56 :: v_dual_mov_b32 v94, v106
	v_dual_mov_b32 v97, v109 :: v_dual_mov_b32 v82, v118
	v_dual_mov_b32 v85, v121 :: v_dual_mov_b32 v84, v120
.LBB266_91:
	s_or_b32 exec_lo, exec_lo, s2
	v_mov_b32_e32 v40, v8
	s_mov_b32 s2, exec_lo
	v_cmpx_lt_f32_e32 v39, v8
	s_cbranch_execz .LBB266_93
; %bb.92:
	v_dual_mov_b32 v81, v58 :: v_dual_mov_b32 v82, v57
	v_dual_mov_b32 v83, v59 :: v_dual_mov_b32 v84, v38
	;; [unrolled: 1-line block ×19, first 2 shown]
	v_mov_b32_e32 v40, v39
.LBB266_93:
	s_or_b32 exec_lo, exec_lo, s2
	s_delay_alu instid0(VALU_DEP_1)
	v_cmp_lt_f32_e32 vcc_lo, v40, v9
	v_dual_mov_b32 v38, v2 :: v_dual_mov_b32 v41, v5
	v_dual_mov_b32 v42, v6 :: v_dual_mov_b32 v47, v11
	v_dual_cndmask_b32 v145, v33, v32 :: v_dual_cndmask_b32 v32, v32, v33
	v_dual_cndmask_b32 v146, v21, v20 :: v_dual_mov_b32 v39, v3
	v_dual_cndmask_b32 v20, v20, v21 :: v_dual_cndmask_b32 v45, v9, v40
	v_dual_cndmask_b32 v44, v8, v9 :: v_dual_mov_b32 v37, v1
	v_dual_mov_b32 v40, v4 :: v_dual_mov_b32 v43, v7
	v_mov_b32_e32 v46, v10
	v_mov_b32_e32 v48, v12
	s_mov_b32 s2, exec_lo
	v_cmpx_lt_f32_e32 v1, v2
	s_cbranch_execz .LBB266_95
; %bb.94:
	v_dual_mov_b32 v49, v38 :: v_dual_mov_b32 v50, v37
	v_dual_mov_b32 v51, v39 :: v_dual_mov_b32 v52, v40
	v_dual_mov_b32 v53, v41 :: v_dual_mov_b32 v54, v42
	v_dual_mov_b32 v55, v43 :: v_dual_mov_b32 v56, v44
	v_dual_mov_b32 v57, v45 :: v_dual_mov_b32 v58, v46
	v_dual_mov_b32 v59, v47 :: v_dual_mov_b32 v60, v48
	v_mov_b32_e32 v3, v25
	v_mov_b32_e32 v4, v13
	v_dual_mov_b32 v37, v49 :: v_dual_mov_b32 v40, v52
	v_swap_b32 v25, v26
	v_swap_b32 v13, v14
	v_dual_mov_b32 v38, v50 :: v_dual_mov_b32 v39, v51
	v_dual_mov_b32 v41, v53 :: v_dual_mov_b32 v42, v54
	;; [unrolled: 1-line block ×5, first 2 shown]
	v_mov_b32_e32 v2, v1
.LBB266_95:
	s_or_b32 exec_lo, exec_lo, s2
	v_mov_b32_e32 v21, v146
	v_dual_mov_b32 v33, v145 :: v_dual_mov_b32 v60, v24
	v_dual_mov_b32 v72, v36 :: v_dual_mov_b32 v61, v25
	;; [unrolled: 1-line block ×43, first 2 shown]
	v_mov_b32_e32 v97, v13
	v_mov_b32_e32 v1, v39
	s_mov_b32 s2, exec_lo
	v_dual_mov_b32 v95, v35 :: v_dual_mov_b32 v94, v34
	v_dual_mov_b32 v93, v33 :: v_dual_mov_b32 v92, v32
	;; [unrolled: 1-line block ×5, first 2 shown]
	v_cmpx_lt_f32_e32 v2, v39
	s_cbranch_execz .LBB266_97
; %bb.96:
	v_dual_mov_b32 v108, v24 :: v_dual_mov_b32 v107, v23
	v_dual_mov_b32 v98, v14 :: v_dual_mov_b32 v97, v13
	v_mov_b32_e32 v98, v15
	v_dual_mov_b32 v104, v20 :: v_dual_mov_b32 v103, v19
	v_dual_mov_b32 v100, v16 :: v_dual_mov_b32 v99, v15
	;; [unrolled: 1-line block ×26, first 2 shown]
	v_mov_b32_e32 v84, v144
	v_dual_mov_b32 v74, v134 :: v_dual_mov_b32 v77, v137
	v_mov_b32_e32 v75, v135
	v_dual_mov_b32 v38, v39 :: v_dual_mov_b32 v85, v121
	v_dual_mov_b32 v76, v136 :: v_dual_mov_b32 v79, v139
	;; [unrolled: 1-line block ×10, first 2 shown]
	v_mov_b32_e32 v39, v2
	v_dual_mov_b32 v49, v73 :: v_dual_mov_b32 v50, v74
	v_dual_mov_b32 v59, v83 :: v_dual_mov_b32 v60, v84
	;; [unrolled: 1-line block ×18, first 2 shown]
	v_mov_b32_e32 v70, v34
	v_dual_mov_b32 v72, v36 :: v_dual_mov_b32 v1, v2
	v_mov_b32_e32 v27, v26
	v_mov_b32_e32 v15, v14
.LBB266_97:
	s_or_b32 exec_lo, exec_lo, s2
	v_mov_b32_e32 v2, v40
	s_mov_b32 s2, exec_lo
	v_cmpx_lt_f32_e32 v1, v40
	s_cbranch_execz .LBB266_99
; %bb.98:
	v_mov_b32_e32 v99, v16
	v_mov_b32_e32 v144, v108
	;; [unrolled: 1-line block ×3, first 2 shown]
	v_dual_mov_b32 v136, v15 :: v_dual_mov_b32 v111, v28
	v_dual_mov_b32 v142, v106 :: v_dual_mov_b32 v133, v97
	;; [unrolled: 1-line block ×4, first 2 shown]
	v_mov_b32_e32 v135, v99
	v_dual_mov_b32 v125, v113 :: v_dual_mov_b32 v124, v112
	v_mov_b32_e32 v143, v107
	v_dual_mov_b32 v141, v105 :: v_dual_mov_b32 v140, v104
	v_dual_mov_b32 v139, v103 :: v_dual_mov_b32 v138, v102
	;; [unrolled: 1-line block ×18, first 2 shown]
	v_mov_b32_e32 v95, v131
	v_dual_mov_b32 v89, v29 :: v_dual_mov_b32 v88, v124
	v_dual_mov_b32 v49, v73 :: v_dual_mov_b32 v54, v78
	v_mov_b32_e32 v50, v74
	v_dual_mov_b32 v52, v76 :: v_dual_mov_b32 v61, v85
	s_delay_alu instid0(VALU_DEP_4)
	v_dual_mov_b32 v64, v88 :: v_dual_mov_b32 v51, v75
	v_dual_mov_b32 v56, v80 :: v_dual_mov_b32 v53, v77
	;; [unrolled: 1-line block ×12, first 2 shown]
	v_mov_b32_e32 v58, v22
	v_dual_mov_b32 v57, v146 :: v_dual_mov_b32 v60, v24
	v_dual_mov_b32 v59, v23 :: v_dual_mov_b32 v62, v86
	;; [unrolled: 1-line block ×5, first 2 shown]
	v_mov_b32_e32 v2, v1
	v_mov_b32_e32 v28, v27
	;; [unrolled: 1-line block ×3, first 2 shown]
.LBB266_99:
	s_or_b32 exec_lo, exec_lo, s2
	v_mov_b32_e32 v1, v41
	s_mov_b32 s2, exec_lo
	v_cmpx_lt_f32_e32 v2, v41
	s_cbranch_execz .LBB266_101
; %bb.100:
	v_mov_b32_e32 v100, v17
	v_mov_b32_e32 v73, v97
	;; [unrolled: 1-line block ×3, first 2 shown]
	v_dual_mov_b32 v77, v16 :: v_dual_mov_b32 v78, v102
	v_dual_mov_b32 v112, v29 :: v_dual_mov_b32 v75, v99
	;; [unrolled: 1-line block ×3, first 2 shown]
	v_mov_b32_e32 v84, v108
	v_dual_mov_b32 v74, v98 :: v_dual_mov_b32 v85, v109
	v_mov_b32_e32 v86, v110
	v_dual_mov_b32 v76, v100 :: v_dual_mov_b32 v79, v103
	v_dual_mov_b32 v80, v104 :: v_dual_mov_b32 v81, v105
	;; [unrolled: 1-line block ×8, first 2 shown]
	v_mov_b32_e32 v49, v73
	v_dual_mov_b32 v89, v28 :: v_dual_mov_b32 v50, v74
	v_dual_mov_b32 v59, v83 :: v_dual_mov_b32 v60, v84
	;; [unrolled: 1-line block ×32, first 2 shown]
	v_mov_b32_e32 v17, v16
.LBB266_101:
	s_or_b32 exec_lo, exec_lo, s2
	v_mov_b32_e32 v2, v42
	s_mov_b32 s2, exec_lo
	v_cmpx_lt_f32_e32 v1, v42
	s_cbranch_execz .LBB266_103
; %bb.102:
	v_mov_b32_e32 v137, v18
	v_mov_b32_e32 v125, v30
	v_dual_mov_b32 v41, v42 :: v_dual_mov_b32 v42, v1
	v_dual_mov_b32 v49, v133 :: v_dual_mov_b32 v50, v134
	;; [unrolled: 1-line block ×13, first 2 shown]
	v_mov_b32_e32 v66, v29
	v_dual_mov_b32 v85, v121 :: v_dual_mov_b32 v86, v122
	v_dual_mov_b32 v73, v133 :: v_dual_mov_b32 v74, v134
	v_dual_mov_b32 v52, v136 :: v_dual_mov_b32 v55, v19
	v_dual_mov_b32 v56, v20 :: v_dual_mov_b32 v57, v146
	v_mov_b32_e32 v64, v124
	v_dual_mov_b32 v58, v22 :: v_dual_mov_b32 v59, v23
	v_dual_mov_b32 v67, v31 :: v_dual_mov_b32 v68, v32
	;; [unrolled: 1-line block ×8, first 2 shown]
	v_mov_b32_e32 v2, v1
	v_mov_b32_e32 v30, v29
	v_dual_mov_b32 v18, v17 :: v_dual_mov_b32 v91, v127
	v_dual_mov_b32 v92, v128 :: v_dual_mov_b32 v93, v129
	;; [unrolled: 1-line block ×6, first 2 shown]
	v_mov_b32_e32 v84, v144
.LBB266_103:
	s_or_b32 exec_lo, exec_lo, s2
	v_mov_b32_e32 v1, v43
	s_mov_b32 s2, exec_lo
	v_cmpx_lt_f32_e32 v2, v43
	s_cbranch_execz .LBB266_105
; %bb.104:
	v_dual_mov_b32 v94, v34 :: v_dual_mov_b32 v95, v35
	v_dual_mov_b32 v78, v19 :: v_dual_mov_b32 v79, v18
	;; [unrolled: 1-line block ×6, first 2 shown]
	v_mov_b32_e32 v96, v36
	v_dual_mov_b32 v42, v43 :: v_dual_mov_b32 v43, v2
	v_dual_mov_b32 v84, v24 :: v_dual_mov_b32 v61, v85
	;; [unrolled: 1-line block ×14, first 2 shown]
.LBB266_105:
	s_or_b32 exec_lo, exec_lo, s2
	s_delay_alu instid0(VALU_DEP_1)
	v_cmp_lt_f32_e32 vcc_lo, v1, v44
	v_dual_mov_b32 v3, v39 :: v_dual_mov_b32 v10, v46
	v_dual_mov_b32 v5, v41 :: v_dual_mov_b32 v12, v48
	v_dual_cndmask_b32 v121, v68, v67 :: v_dual_mov_b32 v2, v38
	v_dual_cndmask_b32 v67, v67, v68 :: v_dual_cndmask_b32 v122, v56, v55
	v_dual_cndmask_b32 v55, v55, v56 :: v_dual_cndmask_b32 v8, v44, v1
	v_dual_cndmask_b32 v7, v43, v44 :: v_dual_mov_b32 v4, v40
	v_dual_mov_b32 v1, v37 :: v_dual_mov_b32 v6, v42
	v_mov_b32_e32 v9, v45
	v_mov_b32_e32 v11, v47
	s_mov_b32 s2, exec_lo
	v_cmpx_lt_f32_e32 v37, v38
	s_cbranch_execz .LBB266_107
; %bb.106:
	v_dual_mov_b32 v13, v2 :: v_dual_mov_b32 v14, v1
	v_dual_mov_b32 v15, v3 :: v_dual_mov_b32 v16, v4
	;; [unrolled: 1-line block ×6, first 2 shown]
	v_mov_b32_e32 v25, v61
	v_mov_b32_e32 v26, v49
	v_dual_mov_b32 v1, v13 :: v_dual_mov_b32 v4, v16
	v_swap_b32 v61, v62
	v_swap_b32 v49, v50
	v_dual_mov_b32 v2, v14 :: v_dual_mov_b32 v3, v15
	v_dual_mov_b32 v5, v17 :: v_dual_mov_b32 v6, v18
	;; [unrolled: 1-line block ×5, first 2 shown]
	v_mov_b32_e32 v38, v37
.LBB266_107:
	s_or_b32 exec_lo, exec_lo, s2
	v_mov_b32_e32 v56, v122
	v_mov_b32_e32 v68, v121
	v_mov_b32_e32 v25, v49
	v_dual_mov_b32 v27, v51 :: v_dual_mov_b32 v84, v72
	v_mov_b32_e32 v81, v69
	v_dual_mov_b32 v83, v71 :: v_dual_mov_b32 v96, v60
	v_dual_mov_b32 v91, v55 :: v_dual_mov_b32 v120, v72
	;; [unrolled: 1-line block ×31, first 2 shown]
	v_mov_b32_e32 v24, v60
	s_mov_b32 s2, exec_lo
	v_dual_mov_b32 v118, v70 :: v_dual_mov_b32 v115, v67
	v_dual_mov_b32 v116, v68 :: v_dual_mov_b32 v113, v65
	v_dual_mov_b32 v94, v58 :: v_dual_mov_b32 v89, v53
	v_cmpx_lt_f32_e32 v38, v3
	s_cbranch_execz .LBB266_109
; %bb.108:
	v_dual_mov_b32 v13, v49 :: v_dual_mov_b32 v14, v50
	v_dual_mov_b32 v23, v59 :: v_dual_mov_b32 v24, v60
	;; [unrolled: 1-line block ×30, first 2 shown]
	v_mov_b32_e32 v112, v64
	v_dual_mov_b32 v34, v94 :: v_dual_mov_b32 v35, v95
	v_dual_mov_b32 v35, v59 :: v_dual_mov_b32 v34, v58
	;; [unrolled: 1-line block ×15, first 2 shown]
	v_mov_b32_e32 v81, v69
	v_dual_mov_b32 v80, v121 :: v_dual_mov_b32 v83, v71
	v_mov_b32_e32 v82, v70
	v_dual_mov_b32 v84, v72 :: v_dual_mov_b32 v37, v38
	v_mov_b32_e32 v63, v62
	v_mov_b32_e32 v51, v50
.LBB266_109:
	s_or_b32 exec_lo, exec_lo, s2
	v_mov_b32_e32 v38, v4
	s_mov_b32 s2, exec_lo
	v_cmpx_lt_f32_e32 v37, v4
	s_cbranch_execz .LBB266_111
; %bb.110:
	v_mov_b32_e32 v15, v52
	v_mov_b32_e32 v96, v24
	;; [unrolled: 1-line block ×3, first 2 shown]
	v_dual_mov_b32 v88, v51 :: v_dual_mov_b32 v99, v64
	v_dual_mov_b32 v94, v22 :: v_dual_mov_b32 v85, v13
	;; [unrolled: 1-line block ×3, first 2 shown]
	v_mov_b32_e32 v95, v23
	v_dual_mov_b32 v93, v21 :: v_dual_mov_b32 v92, v20
	v_dual_mov_b32 v91, v19 :: v_dual_mov_b32 v90, v18
	;; [unrolled: 1-line block ×7, first 2 shown]
	v_mov_b32_e32 v87, v15
	v_dual_mov_b32 v111, v99 :: v_dual_mov_b32 v110, v98
	v_dual_mov_b32 v112, v63 :: v_dual_mov_b32 v25, v85
	;; [unrolled: 1-line block ×3, first 2 shown]
	s_delay_alu instid0(VALU_DEP_3)
	v_dual_mov_b32 v74, v110 :: v_dual_mov_b32 v29, v89
	v_dual_mov_b32 v30, v90 :: v_dual_mov_b32 v31, v91
	;; [unrolled: 1-line block ×8, first 2 shown]
	v_mov_b32_e32 v84, v120
	v_dual_mov_b32 v3, v4 :: v_dual_mov_b32 v4, v37
	v_dual_mov_b32 v27, v87 :: v_dual_mov_b32 v28, v88
	;; [unrolled: 1-line block ×11, first 2 shown]
	v_mov_b32_e32 v38, v37
	v_mov_b32_e32 v64, v63
	;; [unrolled: 1-line block ×3, first 2 shown]
.LBB266_111:
	s_or_b32 exec_lo, exec_lo, s2
	v_mov_b32_e32 v16, v5
	s_mov_b32 s2, exec_lo
	v_cmpx_lt_f32_e32 v38, v5
	s_cbranch_execz .LBB266_113
; %bb.112:
	v_mov_b32_e32 v100, v65
	v_mov_b32_e32 v16, v53
	v_dual_mov_b32 v4, v5 :: v_dual_mov_b32 v5, v38
	v_dual_mov_b32 v36, v24 :: v_dual_mov_b32 v33, v21
	;; [unrolled: 1-line block ×3, first 2 shown]
	v_mov_b32_e32 v31, v19
	v_dual_mov_b32 v35, v59 :: v_dual_mov_b32 v34, v58
	v_dual_mov_b32 v73, v97 :: v_dual_mov_b32 v32, v20
	;; [unrolled: 1-line block ×8, first 2 shown]
	v_mov_b32_e32 v77, v64
	v_dual_mov_b32 v84, v108 :: v_dual_mov_b32 v79, v67
	v_dual_mov_b32 v120, v108 :: v_dual_mov_b32 v115, v103
	;; [unrolled: 1-line block ×19, first 2 shown]
	v_mov_b32_e32 v88, v16
	v_dual_mov_b32 v86, v14 :: v_dual_mov_b32 v65, v64
	v_dual_mov_b32 v16, v38 :: v_dual_mov_b32 v53, v52
	;; [unrolled: 1-line block ×3, first 2 shown]
.LBB266_113:
	s_or_b32 exec_lo, exec_lo, s2
	v_mov_b32_e32 v13, v6
	s_mov_b32 s2, exec_lo
	v_cmpx_lt_f32_e32 v16, v6
	s_cbranch_execz .LBB266_115
; %bb.114:
	v_dual_mov_b32 v89, v54 :: v_dual_mov_b32 v90, v53
	v_dual_mov_b32 v91, v55 :: v_dual_mov_b32 v92, v122
	;; [unrolled: 1-line block ×21, first 2 shown]
	v_mov_b32_e32 v13, v16
.LBB266_115:
	s_or_b32 exec_lo, exec_lo, s2
	s_delay_alu instid0(VALU_DEP_1)
	v_cmp_lt_f32_e32 vcc_lo, v13, v7
	v_dual_mov_b32 v14, v2 :: v_dual_mov_b32 v17, v5
	v_dual_mov_b32 v16, v4 :: v_dual_mov_b32 v21, v9
	v_dual_cndmask_b32 v37, v79, v78 :: v_dual_cndmask_b32 v78, v78, v79
	v_cndmask_b32_e32 v38, v31, v30, vcc_lo
	v_dual_cndmask_b32 v30, v30, v31 :: v_dual_cndmask_b32 v19, v7, v13
	v_dual_cndmask_b32 v18, v6, v7 :: v_dual_mov_b32 v15, v3
	v_dual_mov_b32 v13, v1 :: v_dual_mov_b32 v20, v8
	v_dual_mov_b32 v23, v11 :: v_dual_mov_b32 v22, v10
	v_mov_b32_e32 v24, v12
	s_mov_b32 s2, exec_lo
	v_cmpx_lt_f32_e32 v1, v2
	s_cbranch_execz .LBB266_117
; %bb.116:
	v_dual_mov_b32 v2, v14 :: v_dual_mov_b32 v3, v13
	v_dual_mov_b32 v12, v23 :: v_dual_mov_b32 v13, v24
	;; [unrolled: 1-line block ×6, first 2 shown]
	v_mov_b32_e32 v24, v13
	v_mov_b32_e32 v31, v73
	v_dual_mov_b32 v39, v25 :: v_dual_mov_b32 v18, v7
	v_swap_b32 v73, v74
	v_swap_b32 v25, v26
	v_dual_mov_b32 v23, v12 :: v_dual_mov_b32 v20, v9
	v_dual_mov_b32 v22, v11 :: v_dual_mov_b32 v21, v10
	v_dual_mov_b32 v16, v5 :: v_dual_mov_b32 v19, v8
	v_dual_mov_b32 v14, v3 :: v_dual_mov_b32 v17, v6
	v_mov_b32_e32 v15, v4
	v_dual_mov_b32 v13, v2 :: v_dual_mov_b32 v2, v1
.LBB266_117:
	s_or_b32 exec_lo, exec_lo, s2
	v_mov_b32_e32 v31, v38
	v_dual_mov_b32 v79, v37 :: v_dual_mov_b32 v50, v36
	v_dual_mov_b32 v51, v73 :: v_dual_mov_b32 v52, v74
	;; [unrolled: 1-line block ×24, first 2 shown]
	v_mov_b32_e32 v85, v25
	v_mov_b32_e32 v1, v15
	s_mov_b32 s2, exec_lo
	v_cmpx_lt_f32_e32 v2, v15
	s_cbranch_execz .LBB266_119
; %bb.118:
	v_dual_mov_b32 v96, v36 :: v_dual_mov_b32 v95, v35
	v_dual_mov_b32 v86, v26 :: v_dual_mov_b32 v85, v25
	v_dual_mov_b32 v90, v30 :: v_dual_mov_b32 v89, v29
	v_dual_mov_b32 v88, v28 :: v_dual_mov_b32 v87, v27
	v_dual_mov_b32 v94, v34 :: v_dual_mov_b32 v93, v33
	v_dual_mov_b32 v92, v32 :: v_dual_mov_b32 v91, v31
	v_dual_mov_b32 v86, v27 :: v_dual_mov_b32 v87, v26
	v_dual_mov_b32 v39, v85 :: v_dual_mov_b32 v108, v84
	v_mov_b32_e32 v105, v81
	v_dual_mov_b32 v43, v89 :: v_dual_mov_b32 v44, v90
	v_dual_mov_b32 v100, v76 :: v_dual_mov_b32 v97, v73
	;; [unrolled: 1-line block ×6, first 2 shown]
	v_mov_b32_e32 v98, v74
	v_dual_mov_b32 v98, v75 :: v_dual_mov_b32 v99, v74
	v_dual_mov_b32 v49, v95 :: v_dual_mov_b32 v50, v96
	v_dual_mov_b32 v50, v36 :: v_dual_mov_b32 v51, v97
	v_dual_mov_b32 v41, v87 :: v_dual_mov_b32 v42, v88
	v_dual_mov_b32 v45, v91 :: v_dual_mov_b32 v46, v92
	v_dual_mov_b32 v47, v93 :: v_dual_mov_b32 v48, v94
	v_dual_mov_b32 v54, v100 :: v_dual_mov_b32 v55, v101
	v_dual_mov_b32 v56, v102 :: v_dual_mov_b32 v57, v103
	v_dual_mov_b32 v58, v104 :: v_dual_mov_b32 v59, v105
	v_dual_mov_b32 v60, v106 :: v_dual_mov_b32 v61, v107
	v_dual_mov_b32 v62, v108 :: v_dual_mov_b32 v55, v77
	v_dual_mov_b32 v14, v15 :: v_dual_mov_b32 v15, v2
	v_mov_b32_e32 v40, v86
	v_dual_mov_b32 v42, v28 :: v_dual_mov_b32 v43, v29
	v_dual_mov_b32 v45, v38 :: v_dual_mov_b32 v46, v32
	;; [unrolled: 1-line block ×9, first 2 shown]
	v_mov_b32_e32 v75, v74
	v_mov_b32_e32 v27, v26
.LBB266_119:
	s_or_b32 exec_lo, exec_lo, s2
	v_mov_b32_e32 v2, v16
	s_mov_b32 s2, exec_lo
	v_cmpx_lt_f32_e32 v1, v16
	s_cbranch_execz .LBB266_121
; %bb.120:
	v_mov_b32_e32 v87, v28
	v_mov_b32_e32 v99, v76
	v_dual_mov_b32 v15, v16 :: v_dual_mov_b32 v16, v1
	v_dual_mov_b32 v39, v85 :: v_dual_mov_b32 v42, v88
	;; [unrolled: 1-line block ×13, first 2 shown]
	v_mov_b32_e32 v56, v78
	v_mov_b32_e32 v40, v86
	v_dual_mov_b32 v42, v27 :: v_dual_mov_b32 v43, v29
	v_dual_mov_b32 v45, v38 :: v_dual_mov_b32 v46, v32
	;; [unrolled: 1-line block ×8, first 2 shown]
	v_mov_b32_e32 v2, v1
	v_mov_b32_e32 v76, v75
	;; [unrolled: 1-line block ×3, first 2 shown]
.LBB266_121:
	s_or_b32 exec_lo, exec_lo, s2
	v_mov_b32_e32 v1, v17
	s_mov_b32 s2, exec_lo
	v_cmpx_lt_f32_e32 v2, v17
	s_cbranch_execz .LBB266_123
; %bb.122:
	v_dual_mov_b32 v106, v82 :: v_dual_mov_b32 v107, v83
	v_dual_mov_b32 v88, v29 :: v_dual_mov_b32 v89, v28
	;; [unrolled: 1-line block ×8, first 2 shown]
	v_mov_b32_e32 v108, v84
	v_dual_mov_b32 v16, v17 :: v_dual_mov_b32 v17, v2
	v_dual_mov_b32 v96, v36 :: v_dual_mov_b32 v51, v97
	;; [unrolled: 1-line block ×14, first 2 shown]
.LBB266_123:
	s_or_b32 exec_lo, exec_lo, s2
	s_delay_alu instid0(VALU_DEP_1)
	v_cmp_lt_f32_e32 vcc_lo, v1, v18
	v_dual_mov_b32 v27, v13 :: v_dual_mov_b32 v34, v20
	v_dual_mov_b32 v29, v15 :: v_dual_mov_b32 v36, v22
	v_dual_cndmask_b32 v63, v56, v55 :: v_dual_cndmask_b32 v32, v18, v1
	v_dual_cndmask_b32 v55, v55, v56 :: v_dual_cndmask_b32 v64, v44, v43
	v_dual_cndmask_b32 v43, v43, v44 :: v_dual_mov_b32 v28, v14
	v_dual_cndmask_b32 v31, v17, v18 :: v_dual_mov_b32 v30, v16
	v_dual_mov_b32 v33, v19 :: v_dual_mov_b32 v38, v24
	v_mov_b32_e32 v35, v21
	v_mov_b32_e32 v37, v23
	s_mov_b32 s2, exec_lo
	v_cmpx_lt_f32_e32 v13, v14
	s_cbranch_execz .LBB266_125
; %bb.124:
	s_delay_alu instid0(VALU_DEP_2)
	v_dual_mov_b32 v11, v37 :: v_dual_mov_b32 v12, v38
	v_dual_mov_b32 v1, v28 :: v_dual_mov_b32 v2, v27
	;; [unrolled: 1-line block ×7, first 2 shown]
	s_delay_alu instid0(VALU_DEP_2)
	v_dual_mov_b32 v16, v39 :: v_dual_mov_b32 v35, v9
	v_swap_b32 v51, v52
	v_swap_b32 v39, v40
	v_dual_mov_b32 v37, v11 :: v_dual_mov_b32 v36, v10
	v_dual_mov_b32 v34, v8 :: v_dual_mov_b32 v33, v7
	;; [unrolled: 1-line block ×5, first 2 shown]
	v_mov_b32_e32 v14, v13
.LBB266_125:
	s_or_b32 exec_lo, exec_lo, s2
	v_mov_b32_e32 v44, v64
	v_mov_b32_e32 v56, v63
	;; [unrolled: 1-line block ×4, first 2 shown]
	v_dual_mov_b32 v15, v51 :: v_dual_mov_b32 v2, v40
	v_dual_mov_b32 v16, v52 :: v_dual_mov_b32 v17, v53
	;; [unrolled: 1-line block ×11, first 2 shown]
	v_mov_b32_e32 v12, v50
	s_mov_b32 s2, exec_lo
	v_cmpx_lt_f32_e32 v14, v29
	s_cbranch_execz .LBB266_127
; %bb.126:
	v_dual_mov_b32 v1, v39 :: v_dual_mov_b32 v2, v40
	v_dual_mov_b32 v11, v49 :: v_dual_mov_b32 v12, v50
	;; [unrolled: 1-line block ×25, first 2 shown]
	v_mov_b32_e32 v41, v40
.LBB266_127:
	s_or_b32 exec_lo, exec_lo, s2
	v_mov_b32_e32 v39, v30
	s_mov_b32 s2, exec_lo
	v_cmpx_lt_f32_e32 v13, v30
	s_cbranch_execz .LBB266_129
; %bb.128:
	v_dual_mov_b32 v29, v30 :: v_dual_mov_b32 v30, v13
	v_dual_mov_b32 v3, v42 :: v_dual_mov_b32 v4, v41
	;; [unrolled: 1-line block ×11, first 2 shown]
	v_mov_b32_e32 v39, v13
.LBB266_129:
	s_or_b32 exec_lo, exec_lo, s2
	s_delay_alu instid0(VALU_DEP_1)
	v_cmp_lt_f32_e32 vcc_lo, v39, v31
	v_dual_mov_b32 v40, v28 :: v_dual_mov_b32 v45, v33
	v_dual_mov_b32 v44, v32 :: v_dual_mov_b32 v47, v35
	v_dual_cndmask_b32 v13, v19, v18 :: v_dual_cndmask_b32 v18, v18, v19
	v_dual_cndmask_b32 v14, v5, v4 :: v_dual_cndmask_b32 v43, v31, v39
	v_dual_cndmask_b32 v4, v4, v5 :: v_dual_mov_b32 v39, v27
	v_dual_cndmask_b32 v42, v30, v31 :: v_dual_mov_b32 v41, v29
	v_dual_mov_b32 v46, v34 :: v_dual_mov_b32 v49, v37
	v_mov_b32_e32 v48, v36
	v_mov_b32_e32 v50, v38
	s_mov_b32 s2, exec_lo
	v_cmpx_lt_f32_e32 v27, v28
	s_cbranch_execz .LBB266_131
; %bb.130:
	v_dual_mov_b32 v28, v40 :: v_dual_mov_b32 v29, v39
	v_dual_mov_b32 v38, v49 :: v_dual_mov_b32 v39, v50
	;; [unrolled: 1-line block ×7, first 2 shown]
	v_mov_b32_e32 v5, v15
	v_swap_b32 v15, v16
	s_delay_alu instid0(VALU_DEP_4)
	v_mov_b32_e32 v48, v37
	v_swap_b32 v1, v2
	v_dual_mov_b32 v49, v38 :: v_dual_mov_b32 v46, v35
	v_dual_mov_b32 v47, v36 :: v_dual_mov_b32 v44, v33
	;; [unrolled: 1-line block ×4, first 2 shown]
	v_mov_b32_e32 v41, v30
	v_dual_mov_b32 v39, v28 :: v_dual_mov_b32 v28, v27
.LBB266_131:
	s_or_b32 exec_lo, exec_lo, s2
	v_mov_b32_e32 v5, v14
	v_mov_b32_e32 v19, v13
	v_mov_b32_e32 v27, v41
	s_mov_b32 s2, exec_lo
	v_cmpx_lt_f32_e32 v28, v41
	s_cbranch_execz .LBB266_133
; %bb.132:
	v_dual_mov_b32 v74, v26 :: v_dual_mov_b32 v73, v25
	v_dual_mov_b32 v62, v12 :: v_dual_mov_b32 v61, v11
	;; [unrolled: 1-line block ×22, first 2 shown]
	v_mov_b32_e32 v74, v26
	v_dual_mov_b32 v40, v41 :: v_dual_mov_b32 v41, v28
	v_dual_mov_b32 v62, v12 :: v_dual_mov_b32 v15, v63
	v_dual_mov_b32 v24, v72 :: v_dual_mov_b32 v1, v51
	v_dual_mov_b32 v16, v64 :: v_dual_mov_b32 v17, v65
	v_dual_mov_b32 v18, v66 :: v_dual_mov_b32 v21, v69
	v_dual_mov_b32 v19, v67 :: v_dual_mov_b32 v20, v68
	v_dual_mov_b32 v23, v71 :: v_dual_mov_b32 v22, v70
	v_dual_mov_b32 v25, v73 :: v_dual_mov_b32 v26, v74
	v_dual_mov_b32 v3, v53 :: v_dual_mov_b32 v2, v52
	v_dual_mov_b32 v5, v55 :: v_dual_mov_b32 v4, v54
	v_dual_mov_b32 v7, v57 :: v_dual_mov_b32 v6, v56
	v_dual_mov_b32 v9, v59 :: v_dual_mov_b32 v8, v58
	v_dual_mov_b32 v11, v61 :: v_dual_mov_b32 v10, v60
	v_dual_mov_b32 v12, v62 :: v_dual_mov_b32 v27, v28
.LBB266_133:
	s_or_b32 exec_lo, exec_lo, s2
	s_delay_alu instid0(VALU_DEP_1)
	v_cmp_lt_f32_e32 vcc_lo, v27, v42
	v_dual_mov_b32 v28, v23 :: v_dual_mov_b32 v29, v24
	v_dual_mov_b32 v30, v25 :: v_dual_mov_b32 v31, v26
	v_dual_cndmask_b32 v13, v18, v17 :: v_dual_cndmask_b32 v14, v4, v3
	v_dual_cndmask_b32 v51, v17, v18 :: v_dual_cndmask_b32 v56, v3, v4
	;; [unrolled: 1-line block ×3, first 2 shown]
	v_cmp_lt_f32_e32 vcc_lo, v39, v40
	v_dual_mov_b32 v4, v19 :: v_dual_mov_b32 v17, v20
	v_dual_mov_b32 v18, v21 :: v_dual_mov_b32 v27, v22
	;; [unrolled: 1-line block ×10, first 2 shown]
	v_mov_b32_e32 v59, v50
	s_and_saveexec_b32 s2, vcc_lo
	s_cbranch_execz .LBB266_135
; %bb.134:
	v_dual_mov_b32 v42, v40 :: v_dual_mov_b32 v27, v22
	v_dual_mov_b32 v4, v15 :: v_dual_mov_b32 v17, v20
	;; [unrolled: 1-line block ×3, first 2 shown]
	v_swap_b32 v15, v16
	v_swap_b32 v1, v2
	v_dual_mov_b32 v40, v39 :: v_dual_mov_b32 v29, v24
	v_dual_mov_b32 v4, v19 :: v_dual_mov_b32 v31, v26
	;; [unrolled: 1-line block ×11, first 2 shown]
	v_mov_b32_e32 v54, v46
	v_mov_b32_e32 v58, v49
.LBB266_135:
	s_or_b32 exec_lo, exec_lo, s2
	s_clause 0x1
	s_load_b32 s8, s[0:1], 0x28
	s_load_b128 s[4:7], s[0:1], 0x10
	s_waitcnt lgkmcnt(0)
	s_cmp_lt_i32 s8, 1
	s_cbranch_scc1 .LBB266_141
; %bb.136:
	v_cmp_lt_f32_e32 vcc_lo, v40, v60
	v_dual_mov_b32 v7, 0 :: v_dual_mov_b32 v6, 0
	s_mov_b32 s9, 0x76543210
	s_mov_b32 s10, s8
	v_dual_cndmask_b32 v5, v56, v2 :: v_dual_cndmask_b32 v12, v61, v60
	v_dual_cndmask_b32 v10, v2, v56 :: v_dual_cndmask_b32 v19, v16, v51
	v_cndmask_b32_e32 v2, v60, v40, vcc_lo
	v_cndmask_b32_e32 v8, v51, v16, vcc_lo
	s_delay_alu instid0(VALU_DEP_4) | instskip(NEXT) | instid1(VALU_DEP_1)
	v_cmp_lt_f32_e64 s2, v39, v12
	v_cndmask_b32_e64 v9, v10, v1, s2
	v_cndmask_b32_e64 v10, v1, v10, s2
	;; [unrolled: 1-line block ×6, first 2 shown]
	v_mov_b32_e32 v19, v0
	v_mov_b32_e32 v1, 0
.LBB266_137:                            ; =>This Inner Loop Header: Depth=1
	v_cmp_eq_u32_e32 vcc_lo, 1, v7
	v_cmp_eq_u32_e64 s2, 2, v7
	v_cmp_gt_u32_e64 s3, 12, v7
	v_dual_cndmask_b32 v20, v12, v11 :: v_dual_cndmask_b32 v21, v10, v9
	s_delay_alu instid0(VALU_DEP_1) | instskip(NEXT) | instid1(VALU_DEP_2)
	v_cndmask_b32_e64 v20, v20, v2, s2
	v_cndmask_b32_e64 v21, v21, v5, s2
	v_cndmask_b32_e32 v22, v15, v16, vcc_lo
	v_cmp_eq_u32_e32 vcc_lo, 3, v7
	s_delay_alu instid0(VALU_DEP_3) | instskip(NEXT) | instid1(VALU_DEP_3)
	v_cndmask_b32_e32 v21, v21, v14, vcc_lo
	v_cndmask_b32_e64 v22, v22, v8, s2
	v_cmp_eq_u32_e64 s2, 4, v7
	s_delay_alu instid0(VALU_DEP_2) | instskip(NEXT) | instid1(VALU_DEP_2)
	v_cndmask_b32_e32 v22, v22, v13, vcc_lo
	v_cndmask_b32_e64 v21, v21, v32, s2
	v_cndmask_b32_e32 v20, v20, v3, vcc_lo
	v_cmp_eq_u32_e32 vcc_lo, 5, v7
	s_delay_alu instid0(VALU_DEP_4) | instskip(NEXT) | instid1(VALU_DEP_4)
	v_cndmask_b32_e64 v22, v22, v4, s2
	v_cndmask_b32_e32 v21, v21, v33, vcc_lo
	s_delay_alu instid0(VALU_DEP_4) | instskip(SKIP_1) | instid1(VALU_DEP_4)
	v_cndmask_b32_e64 v20, v20, v42, s2
	v_cmp_eq_u32_e64 s2, 6, v7
	v_cndmask_b32_e32 v22, v22, v17, vcc_lo
	s_delay_alu instid0(VALU_DEP_3) | instskip(SKIP_1) | instid1(VALU_DEP_4)
	v_cndmask_b32_e32 v20, v20, v52, vcc_lo
	v_cmp_eq_u32_e32 vcc_lo, 7, v7
	v_cndmask_b32_e64 v21, v21, v34, s2
	s_delay_alu instid0(VALU_DEP_4) | instskip(NEXT) | instid1(VALU_DEP_4)
	v_cndmask_b32_e64 v22, v22, v18, s2
	v_cndmask_b32_e64 v20, v20, v53, s2
	v_cmp_eq_u32_e64 s2, 8, v7
	s_delay_alu instid0(VALU_DEP_4) | instskip(NEXT) | instid1(VALU_DEP_4)
	v_cndmask_b32_e32 v21, v21, v35, vcc_lo
	v_cndmask_b32_e32 v22, v22, v27, vcc_lo
	s_delay_alu instid0(VALU_DEP_4) | instskip(SKIP_1) | instid1(VALU_DEP_4)
	v_cndmask_b32_e32 v20, v20, v54, vcc_lo
	v_cmp_eq_u32_e32 vcc_lo, 9, v7
	v_cndmask_b32_e64 v21, v21, v36, s2
	s_delay_alu instid0(VALU_DEP_4) | instskip(NEXT) | instid1(VALU_DEP_4)
	v_cndmask_b32_e64 v22, v22, v28, s2
	v_cndmask_b32_e64 v20, v20, v55, s2
	v_cmp_eq_u32_e64 s2, 10, v7
	s_delay_alu instid0(VALU_DEP_4) | instskip(NEXT) | instid1(VALU_DEP_4)
	v_cndmask_b32_e32 v21, v21, v37, vcc_lo
	v_cndmask_b32_e32 v22, v22, v29, vcc_lo
	s_delay_alu instid0(VALU_DEP_4) | instskip(SKIP_1) | instid1(VALU_DEP_4)
	v_cndmask_b32_e32 v20, v20, v57, vcc_lo
	v_cmp_eq_u32_e32 vcc_lo, 11, v7
	v_cndmask_b32_e64 v21, v21, v38, s2
	s_delay_alu instid0(VALU_DEP_3) | instskip(NEXT) | instid1(VALU_DEP_1)
	v_cndmask_b32_e64 v20, v20, v58, s2
	v_dual_cndmask_b32 v21, v21, v41 :: v_dual_cndmask_b32 v20, v20, v59
	s_delay_alu instid0(VALU_DEP_1)
	v_cndmask_b32_e64 v20, 0xff800000, v20, s3
	;;#ASMSTART
	v_max_f32 v23, v20, v20 quad_perm:[1,0,3,2] row_mask:0xf bank_mask:0xf bound_ctrl:1
	;;#ASMEND
	;;#ASMSTART
	v_max_f32 v24, v23, v23 quad_perm:[2,3,0,1] row_mask:0xf bank_mask:0xf bound_ctrl:1
	;;#ASMEND
	;;#ASMSTART
	v_max_f32 v23, v24, v24 row_half_mirror row_mask:0xf bank_mask:0xf bound_ctrl:1
	;;#ASMEND
	;;#ASMSTART
	v_max_f32 v24, v23, v23 row_mirror row_mask:0xf bank_mask:0xf bound_ctrl:1
	;;#ASMEND
	v_permlanex16_b32 v23, v24, s9, 0xfedcba98 op_sel:[1,1]
	s_delay_alu instid0(VALU_DEP_1) | instskip(NEXT) | instid1(VALU_DEP_1)
	v_dual_max_f32 v24, v24, v24 :: v_dual_max_f32 v23, v23, v23
	v_max_f32_e32 v23, v24, v23
	v_cndmask_b32_e64 v22, v22, v30, s2
	s_delay_alu instid0(VALU_DEP_2) | instskip(SKIP_1) | instid1(VALU_DEP_2)
	v_cmp_eq_f32_e64 s2, v20, v23
	v_cndmask_b32_e64 v20, 0, v21, s3
	s_ctz_i32_b32 s11, s2
	s_cmp_lg_u32 s2, 0
	s_cselect_b32 s2, s11, 0
	s_add_i32 s10, s10, -1
	v_readlane_b32 s11, v20, s2
	v_cndmask_b32_e32 v20, v22, v31, vcc_lo
	s_delay_alu instid0(VALU_DEP_2)
	v_cmp_eq_u32_e32 vcc_lo, s11, v21
	s_and_b32 s2, s11, 31
	s_and_b32 vcc_lo, s3, vcc_lo
	s_cmp_eq_u32 s10, 0
	v_cndmask_b32_e32 v20, 0, v20, vcc_lo
	v_add_co_ci_u32_e32 v7, vcc_lo, 0, v7, vcc_lo
	s_delay_alu instid0(VALU_DEP_2) | instskip(SKIP_2) | instid1(VALU_DEP_2)
	v_readlane_b32 s3, v20, s2
	v_cmp_eq_u32_e64 s2, 0, v19
	v_add_nc_u32_e32 v19, -1, v19
	v_cndmask_b32_e64 v6, v6, s3, s2
	v_cndmask_b32_e64 v1, v1, s11, s2
	s_cbranch_scc0 .LBB266_137
; %bb.138:
	s_mov_b32 s2, exec_lo
	v_cmpx_gt_i32_e64 s8, v0
	s_cbranch_execz .LBB266_140
.LBB266_139:
	s_clause 0x1
	s_load_b64 s[2:3], s[0:1], 0x20
	s_load_b32 s8, s[0:1], 0x30
	s_ashr_i32 s0, s15, 31
	v_lshlrev_b32_e32 v0, 2, v0
	s_waitcnt lgkmcnt(0)
	s_mul_i32 s1, s15, s3
	s_mul_hi_u32 s3, s15, s2
	s_mul_i32 s0, s0, s2
	s_add_i32 s1, s3, s1
	v_mul_f32_e32 v2, s8, v6
	s_add_i32 s1, s1, s0
	s_mul_i32 s0, s15, s2
	s_delay_alu instid0(SALU_CYCLE_1) | instskip(NEXT) | instid1(SALU_CYCLE_1)
	s_lshl_b64 s[0:1], s[0:1], 2
	s_add_u32 s2, s4, s0
	s_addc_u32 s3, s5, s1
	s_add_u32 s0, s6, s0
	s_addc_u32 s1, s7, s1
	s_clause 0x1
	global_store_b32 v0, v2, s[2:3]
	global_store_b32 v0, v1, s[0:1]
.LBB266_140:
	s_endpgm
.LBB266_141:
	v_dual_mov_b32 v1, 0 :: v_dual_mov_b32 v6, 0
	s_mov_b32 s2, exec_lo
	v_cmpx_gt_i32_e64 s8, v0
	s_cbranch_execnz .LBB266_139
	s_branch .LBB266_140
	.section	.rodata,"a",@progbits
	.p2align	6, 0x0
	.amdhsa_kernel _ZN5aiter24topk_softplus_kernel_optI12hip_bfloat166__halfLi384ELb0ELi0EEEvPKT_PKT0_PfPimiif
		.amdhsa_group_segment_fixed_size 0
		.amdhsa_private_segment_fixed_size 196
		.amdhsa_kernarg_size 52
		.amdhsa_user_sgpr_count 15
		.amdhsa_user_sgpr_dispatch_ptr 0
		.amdhsa_user_sgpr_queue_ptr 0
		.amdhsa_user_sgpr_kernarg_segment_ptr 1
		.amdhsa_user_sgpr_dispatch_id 0
		.amdhsa_user_sgpr_private_segment_size 0
		.amdhsa_wavefront_size32 1
		.amdhsa_uses_dynamic_stack 0
		.amdhsa_enable_private_segment 1
		.amdhsa_system_sgpr_workgroup_id_x 1
		.amdhsa_system_sgpr_workgroup_id_y 0
		.amdhsa_system_sgpr_workgroup_id_z 0
		.amdhsa_system_sgpr_workgroup_info 0
		.amdhsa_system_vgpr_workitem_id 0
		.amdhsa_next_free_vgpr 183
		.amdhsa_next_free_sgpr 16
		.amdhsa_reserve_vcc 1
		.amdhsa_float_round_mode_32 0
		.amdhsa_float_round_mode_16_64 0
		.amdhsa_float_denorm_mode_32 3
		.amdhsa_float_denorm_mode_16_64 3
		.amdhsa_dx10_clamp 1
		.amdhsa_ieee_mode 1
		.amdhsa_fp16_overflow 0
		.amdhsa_workgroup_processor_mode 1
		.amdhsa_memory_ordered 1
		.amdhsa_forward_progress 0
		.amdhsa_shared_vgpr_count 0
		.amdhsa_exception_fp_ieee_invalid_op 0
		.amdhsa_exception_fp_denorm_src 0
		.amdhsa_exception_fp_ieee_div_zero 0
		.amdhsa_exception_fp_ieee_overflow 0
		.amdhsa_exception_fp_ieee_underflow 0
		.amdhsa_exception_fp_ieee_inexact 0
		.amdhsa_exception_int_div_zero 0
	.end_amdhsa_kernel
	.section	.text._ZN5aiter24topk_softplus_kernel_optI12hip_bfloat166__halfLi384ELb0ELi0EEEvPKT_PKT0_PfPimiif,"axG",@progbits,_ZN5aiter24topk_softplus_kernel_optI12hip_bfloat166__halfLi384ELb0ELi0EEEvPKT_PKT0_PfPimiif,comdat
.Lfunc_end266:
	.size	_ZN5aiter24topk_softplus_kernel_optI12hip_bfloat166__halfLi384ELb0ELi0EEEvPKT_PKT0_PfPimiif, .Lfunc_end266-_ZN5aiter24topk_softplus_kernel_optI12hip_bfloat166__halfLi384ELb0ELi0EEEvPKT_PKT0_PfPimiif
                                        ; -- End function
	.section	.AMDGPU.csdata,"",@progbits
; Kernel info:
; codeLenInByte = 30440
; NumSgprs: 18
; NumVgprs: 183
; ScratchSize: 196
; MemoryBound: 0
; FloatMode: 240
; IeeeMode: 1
; LDSByteSize: 0 bytes/workgroup (compile time only)
; SGPRBlocks: 2
; VGPRBlocks: 22
; NumSGPRsForWavesPerEU: 18
; NumVGPRsForWavesPerEU: 183
; Occupancy: 8
; WaveLimiterHint : 0
; COMPUTE_PGM_RSRC2:SCRATCH_EN: 1
; COMPUTE_PGM_RSRC2:USER_SGPR: 15
; COMPUTE_PGM_RSRC2:TRAP_HANDLER: 0
; COMPUTE_PGM_RSRC2:TGID_X_EN: 1
; COMPUTE_PGM_RSRC2:TGID_Y_EN: 0
; COMPUTE_PGM_RSRC2:TGID_Z_EN: 0
; COMPUTE_PGM_RSRC2:TIDIG_COMP_CNT: 0
	.section	.text._ZN5aiter20topk_softplus_kernelI12hip_bfloat166__halfDv4_fLb1ELi0EEEvPKT_PKT0_PfPimiiif,"axG",@progbits,_ZN5aiter20topk_softplus_kernelI12hip_bfloat166__halfDv4_fLb1ELi0EEEvPKT_PKT0_PfPimiiif,comdat
	.protected	_ZN5aiter20topk_softplus_kernelI12hip_bfloat166__halfDv4_fLb1ELi0EEEvPKT_PKT0_PfPimiiif ; -- Begin function _ZN5aiter20topk_softplus_kernelI12hip_bfloat166__halfDv4_fLb1ELi0EEEvPKT_PKT0_PfPimiiif
	.globl	_ZN5aiter20topk_softplus_kernelI12hip_bfloat166__halfDv4_fLb1ELi0EEEvPKT_PKT0_PfPimiiif
	.p2align	8
	.type	_ZN5aiter20topk_softplus_kernelI12hip_bfloat166__halfDv4_fLb1ELi0EEEvPKT_PKT0_PfPimiiif,@function
_ZN5aiter20topk_softplus_kernelI12hip_bfloat166__halfDv4_fLb1ELi0EEEvPKT_PKT0_PfPimiiif: ; @_ZN5aiter20topk_softplus_kernelI12hip_bfloat166__halfDv4_fLb1ELi0EEEvPKT_PKT0_PfPimiiif
; %bb.0:
	s_clause 0x1
	s_load_b64 s[12:13], s[0:1], 0x28
	s_load_b256 s[4:11], s[0:1], 0x0
	v_lshlrev_b32_e32 v11, 2, v0
	v_lshl_add_u32 v12, v0, 4, 0
	s_waitcnt lgkmcnt(0)
	s_ashr_i32 s2, s12, 31
	s_mul_i32 s16, s15, s12
	s_lshr_b32 s2, s2, 30
	s_ashr_i32 s17, s16, 31
	s_add_i32 s2, s12, s2
	s_delay_alu instid0(SALU_CYCLE_1) | instskip(NEXT) | instid1(SALU_CYCLE_1)
	s_ashr_i32 s14, s2, 2
	v_cmp_gt_i32_e64 s2, s14, v0
	s_delay_alu instid0(VALU_DEP_1)
	s_and_saveexec_b32 s18, s2
	s_cbranch_execz .LBB267_11
; %bb.1:
	s_load_b32 s3, s[0:1], 0x44
	s_cmp_lg_u64 s[6:7], 0
	v_dual_mov_b32 v6, 0 :: v_dual_lshlrev_b32 v1, 3, v0
	s_cselect_b32 s20, -1, 0
	v_dual_mov_b32 v14, v0 :: v_dual_lshlrev_b32 v5, 2, v0
	v_lshl_add_u32 v13, v0, 4, 0
	s_mov_b32 s19, 0
	s_waitcnt lgkmcnt(0)
	s_and_b32 s21, s3, 0xffff
	s_add_u32 s22, s6, 2
	s_addc_u32 s23, s7, 0
	s_add_u32 s24, s6, 4
	s_addc_u32 s25, s7, 0
	;; [unrolled: 2-line block ×3, first 2 shown]
	s_lshl_b64 s[28:29], s[16:17], 1
	s_delay_alu instid0(SALU_CYCLE_1) | instskip(SKIP_2) | instid1(VALU_DEP_1)
	s_add_u32 s3, s4, s28
	s_addc_u32 s28, s5, s29
	v_add_co_u32 v7, s3, s3, v1
	v_add_co_ci_u32_e64 v8, null, s28, 0, s3
	s_lshl_b32 s28, s21, 3
	s_lshl_b32 s29, s21, 2
	;; [unrolled: 1-line block ×3, first 2 shown]
	s_branch .LBB267_3
.LBB267_2:                              ;   in Loop: Header=BB267_3 Depth=1
	v_add_nc_u32_e32 v14, s21, v14
	v_add_co_u32 v7, s3, v7, s28
	ds_store_b128 v13, v[1:4]
	v_add_co_ci_u32_e64 v8, s3, 0, v8, s3
	v_cmp_le_i32_e32 vcc_lo, s14, v14
	v_add_nc_u32_e32 v5, s29, v5
	v_add_nc_u32_e32 v13, s30, v13
	s_or_b32 s19, vcc_lo, s19
	s_delay_alu instid0(SALU_CYCLE_1)
	s_and_not1_b32 exec_lo, exec_lo, s19
	s_cbranch_execz .LBB267_11
.LBB267_3:                              ; =>This Inner Loop Header: Depth=1
	global_load_b64 v[3:4], v[7:8], off
	s_waitcnt vmcnt(0)
	v_and_b32_e32 v1, 0xffff, v3
	s_delay_alu instid0(VALU_DEP_1) | instskip(NEXT) | instid1(VALU_DEP_1)
	v_cvt_f32_u32_e32 v1, v1
	v_mul_f32_e32 v2, 0x3fb8aa3b, v1
	s_delay_alu instid0(VALU_DEP_1) | instskip(SKIP_2) | instid1(VALU_DEP_2)
	v_cmp_gt_f32_e32 vcc_lo, 0xc2fc0000, v2
	v_cndmask_b32_e64 v2, 0, 0x42800000, vcc_lo
	v_cndmask_b32_e64 v9, 1.0, 0x1f800000, vcc_lo
	v_fmac_f32_e32 v2, 0x3fb8aa3b, v1
	s_delay_alu instid0(VALU_DEP_1) | instskip(SKIP_2) | instid1(VALU_DEP_1)
	v_exp_f32_e32 v2, v2
	s_waitcnt_depctr 0xfff
	v_fma_f32 v2, v2, v9, 1.0
	v_cmp_gt_f32_e32 vcc_lo, 0x800000, v2
	v_cndmask_b32_e64 v9, 1.0, 0x4f800000, vcc_lo
	s_delay_alu instid0(VALU_DEP_1) | instskip(SKIP_2) | instid1(VALU_DEP_3)
	v_mul_f32_e32 v2, v2, v9
	v_cndmask_b32_e64 v9, 0, 0x42000000, vcc_lo
	v_cmp_lt_u16_e32 vcc_lo, 20, v3
	v_log_f32_e32 v2, v2
	s_waitcnt_depctr 0xfff
	v_sub_f32_e32 v2, v2, v9
	s_delay_alu instid0(VALU_DEP_1) | instskip(NEXT) | instid1(VALU_DEP_1)
	v_mul_f32_e32 v2, 0x3f317218, v2
	v_cndmask_b32_e32 v1, v2, v1, vcc_lo
	s_delay_alu instid0(VALU_DEP_1) | instskip(SKIP_1) | instid1(VALU_DEP_2)
	v_mul_f32_e32 v2, 0x4f800000, v1
	v_cmp_gt_f32_e32 vcc_lo, 0xf800000, v1
	v_cndmask_b32_e32 v1, v1, v2, vcc_lo
	s_delay_alu instid0(VALU_DEP_1) | instskip(SKIP_3) | instid1(VALU_DEP_2)
	v_sqrt_f32_e32 v2, v1
	s_waitcnt_depctr 0xfff
	v_add_nc_u32_e32 v9, -1, v2
	v_add_nc_u32_e32 v10, 1, v2
	v_fma_f32 v15, -v9, v2, v1
	s_delay_alu instid0(VALU_DEP_2) | instskip(NEXT) | instid1(VALU_DEP_2)
	v_fma_f32 v16, -v10, v2, v1
	v_cmp_ge_f32_e64 s3, 0, v15
	s_delay_alu instid0(VALU_DEP_1) | instskip(NEXT) | instid1(VALU_DEP_3)
	v_cndmask_b32_e64 v2, v2, v9, s3
	v_cmp_lt_f32_e64 s3, 0, v16
	s_delay_alu instid0(VALU_DEP_1) | instskip(NEXT) | instid1(VALU_DEP_1)
	v_cndmask_b32_e64 v2, v2, v10, s3
	v_mul_f32_e32 v9, 0x37800000, v2
	s_delay_alu instid0(VALU_DEP_1) | instskip(SKIP_2) | instid1(VALU_DEP_3)
	v_cndmask_b32_e32 v2, v2, v9, vcc_lo
	v_cmp_class_f32_e64 vcc_lo, v1, 0x260
	v_lshlrev_b64 v[9:10], 1, v[5:6]
	v_cndmask_b32_e32 v1, v2, v1, vcc_lo
	s_and_not1_b32 vcc_lo, exec_lo, s20
	s_cbranch_vccnz .LBB267_5
; %bb.4:                                ;   in Loop: Header=BB267_3 Depth=1
	s_delay_alu instid0(VALU_DEP_2) | instskip(NEXT) | instid1(VALU_DEP_3)
	v_add_co_u32 v15, vcc_lo, s6, v9
	v_add_co_ci_u32_e32 v16, vcc_lo, s7, v10, vcc_lo
	global_load_u16 v2, v[15:16], off
	s_waitcnt vmcnt(0)
	v_cvt_f32_f16_e32 v2, v2
	s_delay_alu instid0(VALU_DEP_1)
	v_add_f32_e32 v1, v1, v2
.LBB267_5:                              ;   in Loop: Header=BB267_3 Depth=1
	v_lshrrev_b32_e32 v2, 16, v3
	s_delay_alu instid0(VALU_DEP_1) | instskip(NEXT) | instid1(VALU_DEP_1)
	v_cvt_f32_u32_e32 v3, v2
	v_mul_f32_e32 v15, 0x3fb8aa3b, v3
	s_delay_alu instid0(VALU_DEP_1) | instskip(SKIP_2) | instid1(VALU_DEP_2)
	v_cmp_gt_f32_e32 vcc_lo, 0xc2fc0000, v15
	v_cndmask_b32_e64 v15, 0, 0x42800000, vcc_lo
	v_cndmask_b32_e64 v16, 1.0, 0x1f800000, vcc_lo
	v_fmac_f32_e32 v15, 0x3fb8aa3b, v3
	s_delay_alu instid0(VALU_DEP_1) | instskip(SKIP_2) | instid1(VALU_DEP_1)
	v_exp_f32_e32 v15, v15
	s_waitcnt_depctr 0xfff
	v_fma_f32 v15, v15, v16, 1.0
	v_cmp_gt_f32_e32 vcc_lo, 0x800000, v15
	v_cndmask_b32_e64 v16, 1.0, 0x4f800000, vcc_lo
	s_delay_alu instid0(VALU_DEP_1) | instskip(SKIP_2) | instid1(VALU_DEP_3)
	v_mul_f32_e32 v15, v15, v16
	v_cndmask_b32_e64 v16, 0, 0x42000000, vcc_lo
	v_cmp_lt_u16_e32 vcc_lo, 20, v2
	v_log_f32_e32 v15, v15
	s_waitcnt_depctr 0xfff
	v_sub_f32_e32 v15, v15, v16
	s_delay_alu instid0(VALU_DEP_1) | instskip(NEXT) | instid1(VALU_DEP_1)
	v_mul_f32_e32 v15, 0x3f317218, v15
	v_cndmask_b32_e32 v2, v15, v3, vcc_lo
	s_delay_alu instid0(VALU_DEP_1) | instskip(SKIP_1) | instid1(VALU_DEP_2)
	v_mul_f32_e32 v3, 0x4f800000, v2
	v_cmp_gt_f32_e32 vcc_lo, 0xf800000, v2
	v_cndmask_b32_e32 v2, v2, v3, vcc_lo
	s_delay_alu instid0(VALU_DEP_1) | instskip(SKIP_3) | instid1(VALU_DEP_2)
	v_sqrt_f32_e32 v3, v2
	s_waitcnt_depctr 0xfff
	v_add_nc_u32_e32 v16, 1, v3
	v_add_nc_u32_e32 v15, -1, v3
	v_fma_f32 v18, -v16, v3, v2
	s_delay_alu instid0(VALU_DEP_2) | instskip(NEXT) | instid1(VALU_DEP_1)
	v_fma_f32 v17, -v15, v3, v2
	v_cmp_ge_f32_e64 s3, 0, v17
	s_delay_alu instid0(VALU_DEP_1) | instskip(NEXT) | instid1(VALU_DEP_4)
	v_cndmask_b32_e64 v3, v3, v15, s3
	v_cmp_lt_f32_e64 s3, 0, v18
	s_delay_alu instid0(VALU_DEP_1) | instskip(NEXT) | instid1(VALU_DEP_1)
	v_cndmask_b32_e64 v3, v3, v16, s3
	v_mul_f32_e32 v15, 0x37800000, v3
	s_delay_alu instid0(VALU_DEP_1) | instskip(SKIP_1) | instid1(VALU_DEP_2)
	v_cndmask_b32_e32 v3, v3, v15, vcc_lo
	v_cmp_class_f32_e64 vcc_lo, v2, 0x260
	v_cndmask_b32_e32 v2, v3, v2, vcc_lo
	s_and_not1_b32 vcc_lo, exec_lo, s20
	s_cbranch_vccnz .LBB267_7
; %bb.6:                                ;   in Loop: Header=BB267_3 Depth=1
	v_add_co_u32 v15, vcc_lo, s22, v9
	v_add_co_ci_u32_e32 v16, vcc_lo, s23, v10, vcc_lo
	global_load_u16 v3, v[15:16], off
	s_waitcnt vmcnt(0)
	v_cvt_f32_f16_e32 v3, v3
	s_delay_alu instid0(VALU_DEP_1)
	v_add_f32_e32 v2, v2, v3
.LBB267_7:                              ;   in Loop: Header=BB267_3 Depth=1
	v_and_b32_e32 v3, 0xffff, v4
	s_delay_alu instid0(VALU_DEP_1) | instskip(NEXT) | instid1(VALU_DEP_1)
	v_cvt_f32_u32_e32 v3, v3
	v_mul_f32_e32 v15, 0x3fb8aa3b, v3
	s_delay_alu instid0(VALU_DEP_1) | instskip(SKIP_2) | instid1(VALU_DEP_2)
	v_cmp_gt_f32_e32 vcc_lo, 0xc2fc0000, v15
	v_cndmask_b32_e64 v15, 0, 0x42800000, vcc_lo
	v_cndmask_b32_e64 v16, 1.0, 0x1f800000, vcc_lo
	v_fmac_f32_e32 v15, 0x3fb8aa3b, v3
	s_delay_alu instid0(VALU_DEP_1) | instskip(SKIP_2) | instid1(VALU_DEP_1)
	v_exp_f32_e32 v15, v15
	s_waitcnt_depctr 0xfff
	v_fma_f32 v15, v15, v16, 1.0
	v_cmp_gt_f32_e32 vcc_lo, 0x800000, v15
	v_cndmask_b32_e64 v16, 1.0, 0x4f800000, vcc_lo
	s_delay_alu instid0(VALU_DEP_1) | instskip(SKIP_2) | instid1(VALU_DEP_3)
	v_mul_f32_e32 v15, v15, v16
	v_cndmask_b32_e64 v16, 0, 0x42000000, vcc_lo
	v_cmp_lt_u16_e32 vcc_lo, 20, v4
	v_log_f32_e32 v15, v15
	s_waitcnt_depctr 0xfff
	v_sub_f32_e32 v15, v15, v16
	s_delay_alu instid0(VALU_DEP_1) | instskip(NEXT) | instid1(VALU_DEP_1)
	v_mul_f32_e32 v15, 0x3f317218, v15
	v_cndmask_b32_e32 v3, v15, v3, vcc_lo
	s_delay_alu instid0(VALU_DEP_1) | instskip(SKIP_1) | instid1(VALU_DEP_2)
	v_mul_f32_e32 v15, 0x4f800000, v3
	v_cmp_gt_f32_e32 vcc_lo, 0xf800000, v3
	v_cndmask_b32_e32 v3, v3, v15, vcc_lo
	s_delay_alu instid0(VALU_DEP_1) | instskip(SKIP_3) | instid1(VALU_DEP_2)
	v_sqrt_f32_e32 v15, v3
	s_waitcnt_depctr 0xfff
	v_add_nc_u32_e32 v16, -1, v15
	v_add_nc_u32_e32 v17, 1, v15
	v_fma_f32 v18, -v16, v15, v3
	s_delay_alu instid0(VALU_DEP_2) | instskip(NEXT) | instid1(VALU_DEP_2)
	v_fma_f32 v19, -v17, v15, v3
	v_cmp_ge_f32_e64 s3, 0, v18
	s_delay_alu instid0(VALU_DEP_1) | instskip(NEXT) | instid1(VALU_DEP_3)
	v_cndmask_b32_e64 v15, v15, v16, s3
	v_cmp_lt_f32_e64 s3, 0, v19
	s_delay_alu instid0(VALU_DEP_1) | instskip(NEXT) | instid1(VALU_DEP_1)
	v_cndmask_b32_e64 v15, v15, v17, s3
	v_mul_f32_e32 v16, 0x37800000, v15
	s_delay_alu instid0(VALU_DEP_1) | instskip(SKIP_1) | instid1(VALU_DEP_2)
	v_cndmask_b32_e32 v15, v15, v16, vcc_lo
	v_cmp_class_f32_e64 vcc_lo, v3, 0x260
	v_cndmask_b32_e32 v3, v15, v3, vcc_lo
	s_and_not1_b32 vcc_lo, exec_lo, s20
	s_cbranch_vccnz .LBB267_9
; %bb.8:                                ;   in Loop: Header=BB267_3 Depth=1
	v_add_co_u32 v15, vcc_lo, s24, v9
	v_add_co_ci_u32_e32 v16, vcc_lo, s25, v10, vcc_lo
	global_load_u16 v15, v[15:16], off
	s_waitcnt vmcnt(0)
	v_cvt_f32_f16_e32 v15, v15
	s_delay_alu instid0(VALU_DEP_1)
	v_add_f32_e32 v3, v3, v15
.LBB267_9:                              ;   in Loop: Header=BB267_3 Depth=1
	v_lshrrev_b32_e32 v4, 16, v4
	s_delay_alu instid0(VALU_DEP_1) | instskip(NEXT) | instid1(VALU_DEP_1)
	v_cvt_f32_u32_e32 v15, v4
	v_mul_f32_e32 v16, 0x3fb8aa3b, v15
	s_delay_alu instid0(VALU_DEP_1) | instskip(SKIP_2) | instid1(VALU_DEP_2)
	v_cmp_gt_f32_e32 vcc_lo, 0xc2fc0000, v16
	v_cndmask_b32_e64 v16, 0, 0x42800000, vcc_lo
	v_cndmask_b32_e64 v17, 1.0, 0x1f800000, vcc_lo
	v_fmac_f32_e32 v16, 0x3fb8aa3b, v15
	s_delay_alu instid0(VALU_DEP_1) | instskip(SKIP_2) | instid1(VALU_DEP_1)
	v_exp_f32_e32 v16, v16
	s_waitcnt_depctr 0xfff
	v_fma_f32 v16, v16, v17, 1.0
	v_cmp_gt_f32_e32 vcc_lo, 0x800000, v16
	v_cndmask_b32_e64 v17, 1.0, 0x4f800000, vcc_lo
	s_delay_alu instid0(VALU_DEP_1) | instskip(SKIP_2) | instid1(VALU_DEP_3)
	v_mul_f32_e32 v16, v16, v17
	v_cndmask_b32_e64 v17, 0, 0x42000000, vcc_lo
	v_cmp_lt_u16_e32 vcc_lo, 20, v4
	v_log_f32_e32 v16, v16
	s_waitcnt_depctr 0xfff
	v_sub_f32_e32 v16, v16, v17
	s_delay_alu instid0(VALU_DEP_1) | instskip(NEXT) | instid1(VALU_DEP_1)
	v_mul_f32_e32 v16, 0x3f317218, v16
	v_cndmask_b32_e32 v4, v16, v15, vcc_lo
	s_delay_alu instid0(VALU_DEP_1) | instskip(SKIP_1) | instid1(VALU_DEP_2)
	v_mul_f32_e32 v15, 0x4f800000, v4
	v_cmp_gt_f32_e32 vcc_lo, 0xf800000, v4
	v_cndmask_b32_e32 v4, v4, v15, vcc_lo
	s_delay_alu instid0(VALU_DEP_1) | instskip(SKIP_3) | instid1(VALU_DEP_2)
	v_sqrt_f32_e32 v15, v4
	s_waitcnt_depctr 0xfff
	v_add_nc_u32_e32 v16, -1, v15
	v_add_nc_u32_e32 v17, 1, v15
	v_fma_f32 v18, -v16, v15, v4
	s_delay_alu instid0(VALU_DEP_2) | instskip(NEXT) | instid1(VALU_DEP_2)
	v_fma_f32 v19, -v17, v15, v4
	v_cmp_ge_f32_e64 s3, 0, v18
	s_delay_alu instid0(VALU_DEP_1) | instskip(NEXT) | instid1(VALU_DEP_3)
	v_cndmask_b32_e64 v15, v15, v16, s3
	v_cmp_lt_f32_e64 s3, 0, v19
	s_delay_alu instid0(VALU_DEP_1) | instskip(NEXT) | instid1(VALU_DEP_1)
	v_cndmask_b32_e64 v15, v15, v17, s3
	v_mul_f32_e32 v16, 0x37800000, v15
	s_delay_alu instid0(VALU_DEP_1) | instskip(SKIP_1) | instid1(VALU_DEP_2)
	v_cndmask_b32_e32 v15, v15, v16, vcc_lo
	v_cmp_class_f32_e64 vcc_lo, v4, 0x260
	v_cndmask_b32_e32 v4, v15, v4, vcc_lo
	s_and_not1_b32 vcc_lo, exec_lo, s20
	s_cbranch_vccnz .LBB267_2
; %bb.10:                               ;   in Loop: Header=BB267_3 Depth=1
	v_add_co_u32 v9, vcc_lo, s26, v9
	v_add_co_ci_u32_e32 v10, vcc_lo, s27, v10, vcc_lo
	global_load_u16 v9, v[9:10], off
	s_waitcnt vmcnt(0)
	v_cvt_f32_f16_e32 v9, v9
	s_delay_alu instid0(VALU_DEP_1)
	v_add_f32_e32 v4, v4, v9
	s_branch .LBB267_2
.LBB267_11:
	s_or_b32 exec_lo, exec_lo, s18
	v_lshl_add_u32 v1, s14, 2, v0
	s_mov_b32 s18, exec_lo
	s_delay_alu instid0(VALU_DEP_1)
	v_cmpx_gt_i32_e64 s12, v1
	s_cbranch_execz .LBB267_16
; %bb.12:
	s_load_b32 s3, s[0:1], 0x44
	s_lshl_b64 s[16:17], s[16:17], 1
	v_lshlrev_b32_e32 v2, 2, v0
	s_add_u32 s4, s4, s16
	s_addc_u32 s5, s5, s17
	s_cmp_lg_u64 s[6:7], 0
	s_mov_b32 s19, 0
	s_cselect_b32 s16, -1, 0
	s_lshl_b32 s17, s14, 4
	s_delay_alu instid0(SALU_CYCLE_1) | instskip(SKIP_2) | instid1(SALU_CYCLE_1)
	v_add3_u32 v4, 0, s17, v2
	s_waitcnt lgkmcnt(0)
	s_and_b32 s17, s3, 0xffff
	s_lshl_b32 s20, s17, 2
	s_branch .LBB267_14
.LBB267_13:                             ;   in Loop: Header=BB267_14 Depth=1
	v_add_nc_u32_e32 v1, s17, v1
	v_add_nc_u32_e32 v4, s20, v4
	s_delay_alu instid0(VALU_DEP_2) | instskip(SKIP_1) | instid1(SALU_CYCLE_1)
	v_cmp_le_i32_e32 vcc_lo, s12, v1
	s_or_b32 s19, vcc_lo, s19
	s_and_not1_b32 exec_lo, exec_lo, s19
	s_cbranch_execz .LBB267_16
.LBB267_14:                             ; =>This Inner Loop Header: Depth=1
	v_ashrrev_i32_e32 v2, 31, v1
	s_delay_alu instid0(VALU_DEP_1) | instskip(NEXT) | instid1(VALU_DEP_1)
	v_lshlrev_b64 v[2:3], 1, v[1:2]
	v_add_co_u32 v5, vcc_lo, s4, v2
	s_delay_alu instid0(VALU_DEP_2) | instskip(SKIP_3) | instid1(VALU_DEP_1)
	v_add_co_ci_u32_e32 v6, vcc_lo, s5, v3, vcc_lo
	global_load_u16 v5, v[5:6], off
	s_waitcnt vmcnt(0)
	v_lshlrev_b32_e32 v5, 16, v5
	v_mul_f32_e32 v6, 0x3fb8aa3b, v5
	s_delay_alu instid0(VALU_DEP_1) | instskip(SKIP_2) | instid1(VALU_DEP_2)
	v_cmp_gt_f32_e32 vcc_lo, 0xc2fc0000, v6
	v_cndmask_b32_e64 v6, 0, 0x42800000, vcc_lo
	v_cndmask_b32_e64 v7, 1.0, 0x1f800000, vcc_lo
	v_fmac_f32_e32 v6, 0x3fb8aa3b, v5
	s_delay_alu instid0(VALU_DEP_1) | instskip(SKIP_2) | instid1(VALU_DEP_1)
	v_exp_f32_e32 v6, v6
	s_waitcnt_depctr 0xfff
	v_fma_f32 v6, v6, v7, 1.0
	v_cmp_gt_f32_e32 vcc_lo, 0x800000, v6
	v_cndmask_b32_e64 v7, 1.0, 0x4f800000, vcc_lo
	s_delay_alu instid0(VALU_DEP_1) | instskip(SKIP_2) | instid1(VALU_DEP_3)
	v_mul_f32_e32 v6, v6, v7
	v_cndmask_b32_e64 v7, 0, 0x42000000, vcc_lo
	v_cmp_lt_f32_e32 vcc_lo, 0x41a00000, v5
	v_log_f32_e32 v6, v6
	s_waitcnt_depctr 0xfff
	v_sub_f32_e32 v6, v6, v7
	s_delay_alu instid0(VALU_DEP_1) | instskip(NEXT) | instid1(VALU_DEP_1)
	v_mul_f32_e32 v6, 0x3f317218, v6
	v_cndmask_b32_e32 v5, v6, v5, vcc_lo
	s_delay_alu instid0(VALU_DEP_1) | instskip(SKIP_1) | instid1(VALU_DEP_2)
	v_mul_f32_e32 v6, 0x4f800000, v5
	v_cmp_gt_f32_e32 vcc_lo, 0xf800000, v5
	v_cndmask_b32_e32 v5, v5, v6, vcc_lo
	s_delay_alu instid0(VALU_DEP_1) | instskip(SKIP_3) | instid1(VALU_DEP_2)
	v_sqrt_f32_e32 v6, v5
	s_waitcnt_depctr 0xfff
	v_add_nc_u32_e32 v7, -1, v6
	v_add_nc_u32_e32 v8, 1, v6
	v_fma_f32 v9, -v7, v6, v5
	s_delay_alu instid0(VALU_DEP_2) | instskip(NEXT) | instid1(VALU_DEP_2)
	v_fma_f32 v10, -v8, v6, v5
	v_cmp_ge_f32_e64 s3, 0, v9
	s_delay_alu instid0(VALU_DEP_1) | instskip(NEXT) | instid1(VALU_DEP_3)
	v_cndmask_b32_e64 v6, v6, v7, s3
	v_cmp_lt_f32_e64 s3, 0, v10
	s_delay_alu instid0(VALU_DEP_1) | instskip(NEXT) | instid1(VALU_DEP_1)
	v_cndmask_b32_e64 v6, v6, v8, s3
	v_mul_f32_e32 v7, 0x37800000, v6
	s_delay_alu instid0(VALU_DEP_1) | instskip(SKIP_1) | instid1(VALU_DEP_2)
	v_cndmask_b32_e32 v6, v6, v7, vcc_lo
	v_cmp_class_f32_e64 vcc_lo, v5, 0x260
	v_cndmask_b32_e32 v5, v6, v5, vcc_lo
	s_and_not1_b32 vcc_lo, exec_lo, s16
	ds_store_b32 v4, v5
	s_cbranch_vccnz .LBB267_13
; %bb.15:                               ;   in Loop: Header=BB267_14 Depth=1
	v_add_co_u32 v2, vcc_lo, s6, v2
	v_add_co_ci_u32_e32 v3, vcc_lo, s7, v3, vcc_lo
	global_load_u16 v2, v[2:3], off
	s_waitcnt vmcnt(0)
	v_cvt_f32_f16_e32 v2, v2
	s_delay_alu instid0(VALU_DEP_1)
	v_add_f32_e32 v2, v5, v2
	ds_store_b32 v4, v2
	s_branch .LBB267_13
.LBB267_16:
	s_or_b32 exec_lo, exec_lo, s18
	v_mov_b32_e32 v2, 0
	s_cmp_lt_i32 s13, 1
	s_waitcnt lgkmcnt(0)
	s_barrier
	buffer_gl0_inv
	s_cbranch_scc1 .LBB267_25
; %bb.17:
	s_add_u32 s4, s0, 56
	s_addc_u32 s5, s1, 0
	v_dual_mov_b32 v2, 0 :: v_dual_mov_b32 v5, 0xff800000
	v_dual_mov_b32 v4, 0 :: v_dual_mov_b32 v1, 0
	v_mov_b32_e32 v3, 0
	s_cmp_lg_u64 s[6:7], 0
	s_mov_b32 s18, 0
	s_cselect_b32 s12, -1, 0
	s_mov_b32 s19, 0x76543210
	s_branch .LBB267_19
.LBB267_18:                             ;   in Loop: Header=BB267_19 Depth=1
	v_cmp_eq_u32_e32 vcc_lo, s18, v0
	s_delay_alu instid0(VALU_DEP_2)
	s_lshl_b32 s3, s16, 2
	s_add_i32 s18, s18, 1
	s_add_i32 s3, s3, 0
	v_add_f32_e32 v3, v3, v8
	v_cndmask_b32_e64 v1, v1, s16, vcc_lo
	v_mov_b32_e32 v6, s3
	v_cndmask_b32_e32 v2, v2, v8, vcc_lo
	s_cmp_eq_u32 s18, s13
	ds_store_b32 v6, v5
	s_cbranch_scc1 .LBB267_26
.LBB267_19:                             ; =>This Loop Header: Depth=1
                                        ;     Child Loop BB267_21 Depth 2
	v_dual_mov_b32 v6, s18 :: v_dual_mov_b32 v7, 0xff800000
	s_and_saveexec_b32 s16, s2
	s_cbranch_execz .LBB267_23
; %bb.20:                               ;   in Loop: Header=BB267_19 Depth=1
	s_load_b32 s3, s[4:5], 0xc
	v_dual_mov_b32 v6, s18 :: v_dual_mov_b32 v7, 0xff800000
	v_dual_mov_b32 v8, v12 :: v_dual_mov_b32 v9, v11
	v_mov_b32_e32 v10, v0
	s_mov_b32 s21, 0
	s_waitcnt lgkmcnt(0)
	s_and_b32 s17, s3, 0xffff
	s_delay_alu instid0(SALU_CYCLE_1)
	s_lshl_b32 s20, s17, 2
	s_lshl_b32 s22, s17, 4
	.p2align	6
.LBB267_21:                             ;   Parent Loop BB267_19 Depth=1
                                        ; =>  This Inner Loop Header: Depth=2
	ds_load_b128 v[13:16], v8
	v_add_nc_u32_e32 v8, s22, v8
	v_add_nc_u32_e32 v10, s17, v10
	s_delay_alu instid0(VALU_DEP_1) | instskip(NEXT) | instid1(VALU_DEP_1)
	v_cmp_le_i32_e64 s3, s14, v10
	s_or_b32 s21, s3, s21
	s_waitcnt lgkmcnt(0)
	v_cmp_gt_f32_e32 vcc_lo, v13, v7
	v_cndmask_b32_e32 v7, v7, v13, vcc_lo
	v_cndmask_b32_e32 v6, v6, v9, vcc_lo
	s_delay_alu instid0(VALU_DEP_2) | instskip(SKIP_2) | instid1(VALU_DEP_1)
	v_cmp_gt_f32_e32 vcc_lo, v14, v7
	v_dual_cndmask_b32 v7, v7, v14 :: v_dual_add_nc_u32 v14, 2, v9
	v_add_nc_u32_e32 v13, 1, v9
	v_cndmask_b32_e32 v6, v6, v13, vcc_lo
	s_delay_alu instid0(VALU_DEP_3) | instskip(SKIP_2) | instid1(VALU_DEP_4)
	v_cmp_gt_f32_e32 vcc_lo, v15, v7
	v_add_nc_u32_e32 v13, 3, v9
	v_add_nc_u32_e32 v9, s20, v9
	v_dual_cndmask_b32 v7, v7, v15 :: v_dual_cndmask_b32 v6, v6, v14
	s_delay_alu instid0(VALU_DEP_1) | instskip(NEXT) | instid1(VALU_DEP_2)
	v_cmp_gt_f32_e32 vcc_lo, v16, v7
	v_dual_cndmask_b32 v7, v7, v16 :: v_dual_cndmask_b32 v6, v6, v13
	s_and_not1_b32 exec_lo, exec_lo, s21
	s_cbranch_execnz .LBB267_21
; %bb.22:                               ;   in Loop: Header=BB267_19 Depth=1
	s_or_b32 exec_lo, exec_lo, s21
.LBB267_23:                             ;   in Loop: Header=BB267_19 Depth=1
	s_delay_alu instid0(SALU_CYCLE_1)
	s_or_b32 exec_lo, exec_lo, s16
	;;#ASMSTART
	v_max_f32 v8, v7, v7 quad_perm:[1,0,3,2] row_mask:0xf bank_mask:0xf bound_ctrl:1
	;;#ASMEND
	;;#ASMSTART
	v_max_f32 v9, v8, v8 quad_perm:[2,3,0,1] row_mask:0xf bank_mask:0xf bound_ctrl:1
	;;#ASMEND
	;;#ASMSTART
	v_max_f32 v8, v9, v9 row_half_mirror row_mask:0xf bank_mask:0xf bound_ctrl:1
	;;#ASMEND
	;;#ASMSTART
	v_max_f32 v9, v8, v8 row_mirror row_mask:0xf bank_mask:0xf bound_ctrl:1
	;;#ASMEND
	v_permlanex16_b32 v8, v9, s19, 0xfedcba98 op_sel:[1,1]
	s_delay_alu instid0(VALU_DEP_1) | instskip(NEXT) | instid1(VALU_DEP_1)
	v_dual_max_f32 v9, v9, v9 :: v_dual_max_f32 v8, v8, v8
	v_max_f32_e32 v8, v9, v8
	s_delay_alu instid0(VALU_DEP_1)
	v_cmp_eq_f32_e32 vcc_lo, v7, v8
	s_ctz_i32_b32 s3, vcc_lo
	s_cmp_lg_u32 vcc_lo, 0
	s_cselect_b32 s3, s3, 0
	s_and_b32 vcc_lo, exec_lo, s12
	v_readlane_b32 s16, v6, s3
	s_cbranch_vccz .LBB267_18
; %bb.24:                               ;   in Loop: Header=BB267_19 Depth=1
	s_delay_alu instid0(VALU_DEP_1) | instskip(NEXT) | instid1(SALU_CYCLE_1)
	s_ashr_i32 s17, s16, 31
	s_lshl_b64 s[20:21], s[16:17], 1
	s_delay_alu instid0(SALU_CYCLE_1) | instskip(SKIP_4) | instid1(VALU_DEP_1)
	s_add_u32 s20, s6, s20
	s_addc_u32 s21, s7, s21
	global_load_u16 v6, v4, s[20:21]
	s_waitcnt vmcnt(0)
	v_cvt_f32_f16_e32 v6, v6
	v_sub_f32_e32 v8, v8, v6
	s_branch .LBB267_18
.LBB267_25:
	v_mov_b32_e32 v1, 0
	v_mov_b32_e32 v3, 0
.LBB267_26:
	s_mov_b32 s2, exec_lo
	v_cmpx_gt_i32_e64 s13, v0
	s_cbranch_execz .LBB267_29
; %bb.27:
	s_clause 0x1
	s_load_b32 s2, s[0:1], 0x34
	s_load_b32 s3, s[0:1], 0x44
	v_max_f32_e32 v3, v3, v3
	s_load_b64 s[0:1], s[0:1], 0x20
	s_ashr_i32 s4, s15, 31
	s_delay_alu instid0(VALU_DEP_1) | instskip(SKIP_1) | instid1(VALU_DEP_1)
	v_max_f32_e32 v3, 0x1e3ce508, v3
	s_waitcnt lgkmcnt(0)
	v_div_scale_f32 v4, null, v3, v3, s2
	v_div_scale_f32 v7, vcc_lo, s2, v3, s2
	s_mul_i32 s1, s15, s1
	s_delay_alu instid0(VALU_DEP_2) | instskip(SKIP_4) | instid1(VALU_DEP_1)
	v_rcp_f32_e32 v5, v4
	s_mul_i32 s4, s4, s0
	s_and_b32 s3, s3, 0xffff
	s_waitcnt_depctr 0xfff
	v_fma_f32 v6, -v4, v5, 1.0
	v_fmac_f32_e32 v5, v6, v5
	s_delay_alu instid0(VALU_DEP_1) | instskip(NEXT) | instid1(VALU_DEP_1)
	v_mul_f32_e32 v6, v7, v5
	v_fma_f32 v8, -v4, v6, v7
	s_delay_alu instid0(VALU_DEP_1) | instskip(NEXT) | instid1(VALU_DEP_1)
	v_fmac_f32_e32 v6, v8, v5
	v_fma_f32 v4, -v4, v6, v7
	s_delay_alu instid0(VALU_DEP_1) | instskip(NEXT) | instid1(VALU_DEP_1)
	v_div_fmas_f32 v4, v4, v5, v6
	v_div_fixup_f32 v3, v4, v3, s2
	s_mul_hi_u32 s2, s15, s0
	s_delay_alu instid0(SALU_CYCLE_1) | instskip(SKIP_1) | instid1(VALU_DEP_1)
	s_add_i32 s1, s2, s1
	s_mul_i32 s2, s15, s0
	v_mul_f32_e32 v2, v2, v3
	s_add_i32 s1, s1, s4
	s_mov_b32 s4, 0
	.p2align	6
.LBB267_28:                             ; =>This Inner Loop Header: Depth=1
	v_ashrrev_i32_e32 v4, 31, v0
	v_add_co_u32 v3, vcc_lo, s2, v0
	v_add_nc_u32_e32 v0, s3, v0
	s_delay_alu instid0(VALU_DEP_3) | instskip(NEXT) | instid1(VALU_DEP_2)
	v_add_co_ci_u32_e32 v4, vcc_lo, s1, v4, vcc_lo
	v_cmp_le_i32_e32 vcc_lo, s13, v0
	s_delay_alu instid0(VALU_DEP_2) | instskip(SKIP_1) | instid1(VALU_DEP_1)
	v_lshlrev_b64 v[3:4], 2, v[3:4]
	s_or_b32 s4, vcc_lo, s4
	v_add_co_u32 v5, s0, s8, v3
	s_delay_alu instid0(VALU_DEP_1) | instskip(SKIP_1) | instid1(VALU_DEP_1)
	v_add_co_ci_u32_e64 v6, s0, s9, v4, s0
	v_add_co_u32 v3, s0, s10, v3
	v_add_co_ci_u32_e64 v4, s0, s11, v4, s0
	global_store_b32 v[5:6], v2, off
	global_store_b32 v[3:4], v1, off
	s_and_not1_b32 exec_lo, exec_lo, s4
	s_cbranch_execnz .LBB267_28
.LBB267_29:
	s_nop 0
	s_sendmsg sendmsg(MSG_DEALLOC_VGPRS)
	s_endpgm
	.section	.rodata,"a",@progbits
	.p2align	6, 0x0
	.amdhsa_kernel _ZN5aiter20topk_softplus_kernelI12hip_bfloat166__halfDv4_fLb1ELi0EEEvPKT_PKT0_PfPimiiif
		.amdhsa_group_segment_fixed_size 0
		.amdhsa_private_segment_fixed_size 0
		.amdhsa_kernarg_size 312
		.amdhsa_user_sgpr_count 15
		.amdhsa_user_sgpr_dispatch_ptr 0
		.amdhsa_user_sgpr_queue_ptr 0
		.amdhsa_user_sgpr_kernarg_segment_ptr 1
		.amdhsa_user_sgpr_dispatch_id 0
		.amdhsa_user_sgpr_private_segment_size 0
		.amdhsa_wavefront_size32 1
		.amdhsa_uses_dynamic_stack 0
		.amdhsa_enable_private_segment 0
		.amdhsa_system_sgpr_workgroup_id_x 1
		.amdhsa_system_sgpr_workgroup_id_y 0
		.amdhsa_system_sgpr_workgroup_id_z 0
		.amdhsa_system_sgpr_workgroup_info 0
		.amdhsa_system_vgpr_workitem_id 0
		.amdhsa_next_free_vgpr 20
		.amdhsa_next_free_sgpr 31
		.amdhsa_reserve_vcc 1
		.amdhsa_float_round_mode_32 0
		.amdhsa_float_round_mode_16_64 0
		.amdhsa_float_denorm_mode_32 3
		.amdhsa_float_denorm_mode_16_64 3
		.amdhsa_dx10_clamp 1
		.amdhsa_ieee_mode 1
		.amdhsa_fp16_overflow 0
		.amdhsa_workgroup_processor_mode 1
		.amdhsa_memory_ordered 1
		.amdhsa_forward_progress 0
		.amdhsa_shared_vgpr_count 0
		.amdhsa_exception_fp_ieee_invalid_op 0
		.amdhsa_exception_fp_denorm_src 0
		.amdhsa_exception_fp_ieee_div_zero 0
		.amdhsa_exception_fp_ieee_overflow 0
		.amdhsa_exception_fp_ieee_underflow 0
		.amdhsa_exception_fp_ieee_inexact 0
		.amdhsa_exception_int_div_zero 0
	.end_amdhsa_kernel
	.section	.text._ZN5aiter20topk_softplus_kernelI12hip_bfloat166__halfDv4_fLb1ELi0EEEvPKT_PKT0_PfPimiiif,"axG",@progbits,_ZN5aiter20topk_softplus_kernelI12hip_bfloat166__halfDv4_fLb1ELi0EEEvPKT_PKT0_PfPimiiif,comdat
.Lfunc_end267:
	.size	_ZN5aiter20topk_softplus_kernelI12hip_bfloat166__halfDv4_fLb1ELi0EEEvPKT_PKT0_PfPimiiif, .Lfunc_end267-_ZN5aiter20topk_softplus_kernelI12hip_bfloat166__halfDv4_fLb1ELi0EEEvPKT_PKT0_PfPimiiif
                                        ; -- End function
	.section	.AMDGPU.csdata,"",@progbits
; Kernel info:
; codeLenInByte = 3052
; NumSgprs: 33
; NumVgprs: 20
; ScratchSize: 0
; MemoryBound: 0
; FloatMode: 240
; IeeeMode: 1
; LDSByteSize: 0 bytes/workgroup (compile time only)
; SGPRBlocks: 4
; VGPRBlocks: 2
; NumSGPRsForWavesPerEU: 33
; NumVGPRsForWavesPerEU: 20
; Occupancy: 16
; WaveLimiterHint : 0
; COMPUTE_PGM_RSRC2:SCRATCH_EN: 0
; COMPUTE_PGM_RSRC2:USER_SGPR: 15
; COMPUTE_PGM_RSRC2:TRAP_HANDLER: 0
; COMPUTE_PGM_RSRC2:TGID_X_EN: 1
; COMPUTE_PGM_RSRC2:TGID_Y_EN: 0
; COMPUTE_PGM_RSRC2:TGID_Z_EN: 0
; COMPUTE_PGM_RSRC2:TIDIG_COMP_CNT: 0
	.section	.text._ZN5aiter20topk_softplus_kernelI12hip_bfloat166__halfDv4_fLb0ELi0EEEvPKT_PKT0_PfPimiiif,"axG",@progbits,_ZN5aiter20topk_softplus_kernelI12hip_bfloat166__halfDv4_fLb0ELi0EEEvPKT_PKT0_PfPimiiif,comdat
	.protected	_ZN5aiter20topk_softplus_kernelI12hip_bfloat166__halfDv4_fLb0ELi0EEEvPKT_PKT0_PfPimiiif ; -- Begin function _ZN5aiter20topk_softplus_kernelI12hip_bfloat166__halfDv4_fLb0ELi0EEEvPKT_PKT0_PfPimiiif
	.globl	_ZN5aiter20topk_softplus_kernelI12hip_bfloat166__halfDv4_fLb0ELi0EEEvPKT_PKT0_PfPimiiif
	.p2align	8
	.type	_ZN5aiter20topk_softplus_kernelI12hip_bfloat166__halfDv4_fLb0ELi0EEEvPKT_PKT0_PfPimiiif,@function
_ZN5aiter20topk_softplus_kernelI12hip_bfloat166__halfDv4_fLb0ELi0EEEvPKT_PKT0_PfPimiiif: ; @_ZN5aiter20topk_softplus_kernelI12hip_bfloat166__halfDv4_fLb0ELi0EEEvPKT_PKT0_PfPimiiif
; %bb.0:
	s_clause 0x1
	s_load_b64 s[12:13], s[0:1], 0x28
	s_load_b256 s[4:11], s[0:1], 0x0
	v_lshlrev_b32_e32 v11, 2, v0
	v_lshl_add_u32 v12, v0, 4, 0
	s_waitcnt lgkmcnt(0)
	s_ashr_i32 s2, s12, 31
	s_mul_i32 s16, s15, s12
	s_lshr_b32 s2, s2, 30
	s_ashr_i32 s17, s16, 31
	s_add_i32 s2, s12, s2
	s_delay_alu instid0(SALU_CYCLE_1) | instskip(NEXT) | instid1(SALU_CYCLE_1)
	s_ashr_i32 s14, s2, 2
	v_cmp_gt_i32_e64 s2, s14, v0
	s_delay_alu instid0(VALU_DEP_1)
	s_and_saveexec_b32 s18, s2
	s_cbranch_execz .LBB268_11
; %bb.1:
	s_load_b32 s3, s[0:1], 0x44
	s_cmp_lg_u64 s[6:7], 0
	v_dual_mov_b32 v6, 0 :: v_dual_lshlrev_b32 v1, 3, v0
	s_cselect_b32 s20, -1, 0
	v_dual_mov_b32 v14, v0 :: v_dual_lshlrev_b32 v5, 2, v0
	v_lshl_add_u32 v13, v0, 4, 0
	s_mov_b32 s19, 0
	s_waitcnt lgkmcnt(0)
	s_and_b32 s21, s3, 0xffff
	s_add_u32 s22, s6, 2
	s_addc_u32 s23, s7, 0
	s_add_u32 s24, s6, 4
	s_addc_u32 s25, s7, 0
	;; [unrolled: 2-line block ×3, first 2 shown]
	s_lshl_b64 s[28:29], s[16:17], 1
	s_delay_alu instid0(SALU_CYCLE_1) | instskip(SKIP_2) | instid1(VALU_DEP_1)
	s_add_u32 s3, s4, s28
	s_addc_u32 s28, s5, s29
	v_add_co_u32 v7, s3, s3, v1
	v_add_co_ci_u32_e64 v8, null, s28, 0, s3
	s_lshl_b32 s28, s21, 3
	s_lshl_b32 s29, s21, 2
	;; [unrolled: 1-line block ×3, first 2 shown]
	s_branch .LBB268_3
.LBB268_2:                              ;   in Loop: Header=BB268_3 Depth=1
	v_add_nc_u32_e32 v14, s21, v14
	v_add_co_u32 v7, s3, v7, s28
	ds_store_b128 v13, v[1:4]
	v_add_co_ci_u32_e64 v8, s3, 0, v8, s3
	v_cmp_le_i32_e32 vcc_lo, s14, v14
	v_add_nc_u32_e32 v5, s29, v5
	v_add_nc_u32_e32 v13, s30, v13
	s_or_b32 s19, vcc_lo, s19
	s_delay_alu instid0(SALU_CYCLE_1)
	s_and_not1_b32 exec_lo, exec_lo, s19
	s_cbranch_execz .LBB268_11
.LBB268_3:                              ; =>This Inner Loop Header: Depth=1
	global_load_b64 v[3:4], v[7:8], off
	s_waitcnt vmcnt(0)
	v_and_b32_e32 v1, 0xffff, v3
	s_delay_alu instid0(VALU_DEP_1) | instskip(NEXT) | instid1(VALU_DEP_1)
	v_cvt_f32_u32_e32 v1, v1
	v_mul_f32_e32 v2, 0x3fb8aa3b, v1
	s_delay_alu instid0(VALU_DEP_1) | instskip(SKIP_2) | instid1(VALU_DEP_2)
	v_cmp_gt_f32_e32 vcc_lo, 0xc2fc0000, v2
	v_cndmask_b32_e64 v2, 0, 0x42800000, vcc_lo
	v_cndmask_b32_e64 v9, 1.0, 0x1f800000, vcc_lo
	v_fmac_f32_e32 v2, 0x3fb8aa3b, v1
	s_delay_alu instid0(VALU_DEP_1) | instskip(SKIP_2) | instid1(VALU_DEP_1)
	v_exp_f32_e32 v2, v2
	s_waitcnt_depctr 0xfff
	v_fma_f32 v2, v2, v9, 1.0
	v_cmp_gt_f32_e32 vcc_lo, 0x800000, v2
	v_cndmask_b32_e64 v9, 1.0, 0x4f800000, vcc_lo
	s_delay_alu instid0(VALU_DEP_1) | instskip(SKIP_2) | instid1(VALU_DEP_3)
	v_mul_f32_e32 v2, v2, v9
	v_cndmask_b32_e64 v9, 0, 0x42000000, vcc_lo
	v_cmp_lt_u16_e32 vcc_lo, 20, v3
	v_log_f32_e32 v2, v2
	s_waitcnt_depctr 0xfff
	v_sub_f32_e32 v2, v2, v9
	s_delay_alu instid0(VALU_DEP_1) | instskip(NEXT) | instid1(VALU_DEP_1)
	v_mul_f32_e32 v2, 0x3f317218, v2
	v_cndmask_b32_e32 v1, v2, v1, vcc_lo
	s_delay_alu instid0(VALU_DEP_1) | instskip(SKIP_1) | instid1(VALU_DEP_2)
	v_mul_f32_e32 v2, 0x4f800000, v1
	v_cmp_gt_f32_e32 vcc_lo, 0xf800000, v1
	v_cndmask_b32_e32 v1, v1, v2, vcc_lo
	s_delay_alu instid0(VALU_DEP_1) | instskip(SKIP_3) | instid1(VALU_DEP_2)
	v_sqrt_f32_e32 v2, v1
	s_waitcnt_depctr 0xfff
	v_add_nc_u32_e32 v9, -1, v2
	v_add_nc_u32_e32 v10, 1, v2
	v_fma_f32 v15, -v9, v2, v1
	s_delay_alu instid0(VALU_DEP_2) | instskip(NEXT) | instid1(VALU_DEP_2)
	v_fma_f32 v16, -v10, v2, v1
	v_cmp_ge_f32_e64 s3, 0, v15
	s_delay_alu instid0(VALU_DEP_1) | instskip(NEXT) | instid1(VALU_DEP_3)
	v_cndmask_b32_e64 v2, v2, v9, s3
	v_cmp_lt_f32_e64 s3, 0, v16
	s_delay_alu instid0(VALU_DEP_1) | instskip(NEXT) | instid1(VALU_DEP_1)
	v_cndmask_b32_e64 v2, v2, v10, s3
	v_mul_f32_e32 v9, 0x37800000, v2
	s_delay_alu instid0(VALU_DEP_1) | instskip(SKIP_2) | instid1(VALU_DEP_3)
	v_cndmask_b32_e32 v2, v2, v9, vcc_lo
	v_cmp_class_f32_e64 vcc_lo, v1, 0x260
	v_lshlrev_b64 v[9:10], 1, v[5:6]
	v_cndmask_b32_e32 v1, v2, v1, vcc_lo
	s_and_not1_b32 vcc_lo, exec_lo, s20
	s_cbranch_vccnz .LBB268_5
; %bb.4:                                ;   in Loop: Header=BB268_3 Depth=1
	s_delay_alu instid0(VALU_DEP_2) | instskip(NEXT) | instid1(VALU_DEP_3)
	v_add_co_u32 v15, vcc_lo, s6, v9
	v_add_co_ci_u32_e32 v16, vcc_lo, s7, v10, vcc_lo
	global_load_u16 v2, v[15:16], off
	s_waitcnt vmcnt(0)
	v_cvt_f32_f16_e32 v2, v2
	s_delay_alu instid0(VALU_DEP_1)
	v_add_f32_e32 v1, v1, v2
.LBB268_5:                              ;   in Loop: Header=BB268_3 Depth=1
	v_lshrrev_b32_e32 v2, 16, v3
	s_delay_alu instid0(VALU_DEP_1) | instskip(NEXT) | instid1(VALU_DEP_1)
	v_cvt_f32_u32_e32 v3, v2
	v_mul_f32_e32 v15, 0x3fb8aa3b, v3
	s_delay_alu instid0(VALU_DEP_1) | instskip(SKIP_2) | instid1(VALU_DEP_2)
	v_cmp_gt_f32_e32 vcc_lo, 0xc2fc0000, v15
	v_cndmask_b32_e64 v15, 0, 0x42800000, vcc_lo
	v_cndmask_b32_e64 v16, 1.0, 0x1f800000, vcc_lo
	v_fmac_f32_e32 v15, 0x3fb8aa3b, v3
	s_delay_alu instid0(VALU_DEP_1) | instskip(SKIP_2) | instid1(VALU_DEP_1)
	v_exp_f32_e32 v15, v15
	s_waitcnt_depctr 0xfff
	v_fma_f32 v15, v15, v16, 1.0
	v_cmp_gt_f32_e32 vcc_lo, 0x800000, v15
	v_cndmask_b32_e64 v16, 1.0, 0x4f800000, vcc_lo
	s_delay_alu instid0(VALU_DEP_1) | instskip(SKIP_2) | instid1(VALU_DEP_3)
	v_mul_f32_e32 v15, v15, v16
	v_cndmask_b32_e64 v16, 0, 0x42000000, vcc_lo
	v_cmp_lt_u16_e32 vcc_lo, 20, v2
	v_log_f32_e32 v15, v15
	s_waitcnt_depctr 0xfff
	v_sub_f32_e32 v15, v15, v16
	s_delay_alu instid0(VALU_DEP_1) | instskip(NEXT) | instid1(VALU_DEP_1)
	v_mul_f32_e32 v15, 0x3f317218, v15
	v_cndmask_b32_e32 v2, v15, v3, vcc_lo
	s_delay_alu instid0(VALU_DEP_1) | instskip(SKIP_1) | instid1(VALU_DEP_2)
	v_mul_f32_e32 v3, 0x4f800000, v2
	v_cmp_gt_f32_e32 vcc_lo, 0xf800000, v2
	v_cndmask_b32_e32 v2, v2, v3, vcc_lo
	s_delay_alu instid0(VALU_DEP_1) | instskip(SKIP_3) | instid1(VALU_DEP_2)
	v_sqrt_f32_e32 v3, v2
	s_waitcnt_depctr 0xfff
	v_add_nc_u32_e32 v16, 1, v3
	v_add_nc_u32_e32 v15, -1, v3
	v_fma_f32 v18, -v16, v3, v2
	s_delay_alu instid0(VALU_DEP_2) | instskip(NEXT) | instid1(VALU_DEP_1)
	v_fma_f32 v17, -v15, v3, v2
	v_cmp_ge_f32_e64 s3, 0, v17
	s_delay_alu instid0(VALU_DEP_1) | instskip(NEXT) | instid1(VALU_DEP_4)
	v_cndmask_b32_e64 v3, v3, v15, s3
	v_cmp_lt_f32_e64 s3, 0, v18
	s_delay_alu instid0(VALU_DEP_1) | instskip(NEXT) | instid1(VALU_DEP_1)
	v_cndmask_b32_e64 v3, v3, v16, s3
	v_mul_f32_e32 v15, 0x37800000, v3
	s_delay_alu instid0(VALU_DEP_1) | instskip(SKIP_1) | instid1(VALU_DEP_2)
	v_cndmask_b32_e32 v3, v3, v15, vcc_lo
	v_cmp_class_f32_e64 vcc_lo, v2, 0x260
	v_cndmask_b32_e32 v2, v3, v2, vcc_lo
	s_and_not1_b32 vcc_lo, exec_lo, s20
	s_cbranch_vccnz .LBB268_7
; %bb.6:                                ;   in Loop: Header=BB268_3 Depth=1
	v_add_co_u32 v15, vcc_lo, s22, v9
	v_add_co_ci_u32_e32 v16, vcc_lo, s23, v10, vcc_lo
	global_load_u16 v3, v[15:16], off
	s_waitcnt vmcnt(0)
	v_cvt_f32_f16_e32 v3, v3
	s_delay_alu instid0(VALU_DEP_1)
	v_add_f32_e32 v2, v2, v3
.LBB268_7:                              ;   in Loop: Header=BB268_3 Depth=1
	v_and_b32_e32 v3, 0xffff, v4
	s_delay_alu instid0(VALU_DEP_1) | instskip(NEXT) | instid1(VALU_DEP_1)
	v_cvt_f32_u32_e32 v3, v3
	v_mul_f32_e32 v15, 0x3fb8aa3b, v3
	s_delay_alu instid0(VALU_DEP_1) | instskip(SKIP_2) | instid1(VALU_DEP_2)
	v_cmp_gt_f32_e32 vcc_lo, 0xc2fc0000, v15
	v_cndmask_b32_e64 v15, 0, 0x42800000, vcc_lo
	v_cndmask_b32_e64 v16, 1.0, 0x1f800000, vcc_lo
	v_fmac_f32_e32 v15, 0x3fb8aa3b, v3
	s_delay_alu instid0(VALU_DEP_1) | instskip(SKIP_2) | instid1(VALU_DEP_1)
	v_exp_f32_e32 v15, v15
	s_waitcnt_depctr 0xfff
	v_fma_f32 v15, v15, v16, 1.0
	v_cmp_gt_f32_e32 vcc_lo, 0x800000, v15
	v_cndmask_b32_e64 v16, 1.0, 0x4f800000, vcc_lo
	s_delay_alu instid0(VALU_DEP_1) | instskip(SKIP_2) | instid1(VALU_DEP_3)
	v_mul_f32_e32 v15, v15, v16
	v_cndmask_b32_e64 v16, 0, 0x42000000, vcc_lo
	v_cmp_lt_u16_e32 vcc_lo, 20, v4
	v_log_f32_e32 v15, v15
	s_waitcnt_depctr 0xfff
	v_sub_f32_e32 v15, v15, v16
	s_delay_alu instid0(VALU_DEP_1) | instskip(NEXT) | instid1(VALU_DEP_1)
	v_mul_f32_e32 v15, 0x3f317218, v15
	v_cndmask_b32_e32 v3, v15, v3, vcc_lo
	s_delay_alu instid0(VALU_DEP_1) | instskip(SKIP_1) | instid1(VALU_DEP_2)
	v_mul_f32_e32 v15, 0x4f800000, v3
	v_cmp_gt_f32_e32 vcc_lo, 0xf800000, v3
	v_cndmask_b32_e32 v3, v3, v15, vcc_lo
	s_delay_alu instid0(VALU_DEP_1) | instskip(SKIP_3) | instid1(VALU_DEP_2)
	v_sqrt_f32_e32 v15, v3
	s_waitcnt_depctr 0xfff
	v_add_nc_u32_e32 v16, -1, v15
	v_add_nc_u32_e32 v17, 1, v15
	v_fma_f32 v18, -v16, v15, v3
	s_delay_alu instid0(VALU_DEP_2) | instskip(NEXT) | instid1(VALU_DEP_2)
	v_fma_f32 v19, -v17, v15, v3
	v_cmp_ge_f32_e64 s3, 0, v18
	s_delay_alu instid0(VALU_DEP_1) | instskip(NEXT) | instid1(VALU_DEP_3)
	v_cndmask_b32_e64 v15, v15, v16, s3
	v_cmp_lt_f32_e64 s3, 0, v19
	s_delay_alu instid0(VALU_DEP_1) | instskip(NEXT) | instid1(VALU_DEP_1)
	v_cndmask_b32_e64 v15, v15, v17, s3
	v_mul_f32_e32 v16, 0x37800000, v15
	s_delay_alu instid0(VALU_DEP_1) | instskip(SKIP_1) | instid1(VALU_DEP_2)
	v_cndmask_b32_e32 v15, v15, v16, vcc_lo
	v_cmp_class_f32_e64 vcc_lo, v3, 0x260
	v_cndmask_b32_e32 v3, v15, v3, vcc_lo
	s_and_not1_b32 vcc_lo, exec_lo, s20
	s_cbranch_vccnz .LBB268_9
; %bb.8:                                ;   in Loop: Header=BB268_3 Depth=1
	v_add_co_u32 v15, vcc_lo, s24, v9
	v_add_co_ci_u32_e32 v16, vcc_lo, s25, v10, vcc_lo
	global_load_u16 v15, v[15:16], off
	s_waitcnt vmcnt(0)
	v_cvt_f32_f16_e32 v15, v15
	s_delay_alu instid0(VALU_DEP_1)
	v_add_f32_e32 v3, v3, v15
.LBB268_9:                              ;   in Loop: Header=BB268_3 Depth=1
	v_lshrrev_b32_e32 v4, 16, v4
	s_delay_alu instid0(VALU_DEP_1) | instskip(NEXT) | instid1(VALU_DEP_1)
	v_cvt_f32_u32_e32 v15, v4
	v_mul_f32_e32 v16, 0x3fb8aa3b, v15
	s_delay_alu instid0(VALU_DEP_1) | instskip(SKIP_2) | instid1(VALU_DEP_2)
	v_cmp_gt_f32_e32 vcc_lo, 0xc2fc0000, v16
	v_cndmask_b32_e64 v16, 0, 0x42800000, vcc_lo
	v_cndmask_b32_e64 v17, 1.0, 0x1f800000, vcc_lo
	v_fmac_f32_e32 v16, 0x3fb8aa3b, v15
	s_delay_alu instid0(VALU_DEP_1) | instskip(SKIP_2) | instid1(VALU_DEP_1)
	v_exp_f32_e32 v16, v16
	s_waitcnt_depctr 0xfff
	v_fma_f32 v16, v16, v17, 1.0
	v_cmp_gt_f32_e32 vcc_lo, 0x800000, v16
	v_cndmask_b32_e64 v17, 1.0, 0x4f800000, vcc_lo
	s_delay_alu instid0(VALU_DEP_1) | instskip(SKIP_2) | instid1(VALU_DEP_3)
	v_mul_f32_e32 v16, v16, v17
	v_cndmask_b32_e64 v17, 0, 0x42000000, vcc_lo
	v_cmp_lt_u16_e32 vcc_lo, 20, v4
	v_log_f32_e32 v16, v16
	s_waitcnt_depctr 0xfff
	v_sub_f32_e32 v16, v16, v17
	s_delay_alu instid0(VALU_DEP_1) | instskip(NEXT) | instid1(VALU_DEP_1)
	v_mul_f32_e32 v16, 0x3f317218, v16
	v_cndmask_b32_e32 v4, v16, v15, vcc_lo
	s_delay_alu instid0(VALU_DEP_1) | instskip(SKIP_1) | instid1(VALU_DEP_2)
	v_mul_f32_e32 v15, 0x4f800000, v4
	v_cmp_gt_f32_e32 vcc_lo, 0xf800000, v4
	v_cndmask_b32_e32 v4, v4, v15, vcc_lo
	s_delay_alu instid0(VALU_DEP_1) | instskip(SKIP_3) | instid1(VALU_DEP_2)
	v_sqrt_f32_e32 v15, v4
	s_waitcnt_depctr 0xfff
	v_add_nc_u32_e32 v16, -1, v15
	v_add_nc_u32_e32 v17, 1, v15
	v_fma_f32 v18, -v16, v15, v4
	s_delay_alu instid0(VALU_DEP_2) | instskip(NEXT) | instid1(VALU_DEP_2)
	v_fma_f32 v19, -v17, v15, v4
	v_cmp_ge_f32_e64 s3, 0, v18
	s_delay_alu instid0(VALU_DEP_1) | instskip(NEXT) | instid1(VALU_DEP_3)
	v_cndmask_b32_e64 v15, v15, v16, s3
	v_cmp_lt_f32_e64 s3, 0, v19
	s_delay_alu instid0(VALU_DEP_1) | instskip(NEXT) | instid1(VALU_DEP_1)
	v_cndmask_b32_e64 v15, v15, v17, s3
	v_mul_f32_e32 v16, 0x37800000, v15
	s_delay_alu instid0(VALU_DEP_1) | instskip(SKIP_1) | instid1(VALU_DEP_2)
	v_cndmask_b32_e32 v15, v15, v16, vcc_lo
	v_cmp_class_f32_e64 vcc_lo, v4, 0x260
	v_cndmask_b32_e32 v4, v15, v4, vcc_lo
	s_and_not1_b32 vcc_lo, exec_lo, s20
	s_cbranch_vccnz .LBB268_2
; %bb.10:                               ;   in Loop: Header=BB268_3 Depth=1
	v_add_co_u32 v9, vcc_lo, s26, v9
	v_add_co_ci_u32_e32 v10, vcc_lo, s27, v10, vcc_lo
	global_load_u16 v9, v[9:10], off
	s_waitcnt vmcnt(0)
	v_cvt_f32_f16_e32 v9, v9
	s_delay_alu instid0(VALU_DEP_1)
	v_add_f32_e32 v4, v4, v9
	s_branch .LBB268_2
.LBB268_11:
	s_or_b32 exec_lo, exec_lo, s18
	v_lshl_add_u32 v1, s14, 2, v0
	s_mov_b32 s18, exec_lo
	s_delay_alu instid0(VALU_DEP_1)
	v_cmpx_gt_i32_e64 s12, v1
	s_cbranch_execz .LBB268_16
; %bb.12:
	s_load_b32 s3, s[0:1], 0x44
	s_lshl_b64 s[16:17], s[16:17], 1
	v_lshlrev_b32_e32 v2, 2, v0
	s_add_u32 s4, s4, s16
	s_addc_u32 s5, s5, s17
	s_cmp_lg_u64 s[6:7], 0
	s_mov_b32 s19, 0
	s_cselect_b32 s16, -1, 0
	s_lshl_b32 s17, s14, 4
	s_delay_alu instid0(SALU_CYCLE_1) | instskip(SKIP_2) | instid1(SALU_CYCLE_1)
	v_add3_u32 v4, 0, s17, v2
	s_waitcnt lgkmcnt(0)
	s_and_b32 s17, s3, 0xffff
	s_lshl_b32 s20, s17, 2
	s_branch .LBB268_14
.LBB268_13:                             ;   in Loop: Header=BB268_14 Depth=1
	v_add_nc_u32_e32 v1, s17, v1
	v_add_nc_u32_e32 v4, s20, v4
	s_delay_alu instid0(VALU_DEP_2) | instskip(SKIP_1) | instid1(SALU_CYCLE_1)
	v_cmp_le_i32_e32 vcc_lo, s12, v1
	s_or_b32 s19, vcc_lo, s19
	s_and_not1_b32 exec_lo, exec_lo, s19
	s_cbranch_execz .LBB268_16
.LBB268_14:                             ; =>This Inner Loop Header: Depth=1
	v_ashrrev_i32_e32 v2, 31, v1
	s_delay_alu instid0(VALU_DEP_1) | instskip(NEXT) | instid1(VALU_DEP_1)
	v_lshlrev_b64 v[2:3], 1, v[1:2]
	v_add_co_u32 v5, vcc_lo, s4, v2
	s_delay_alu instid0(VALU_DEP_2) | instskip(SKIP_3) | instid1(VALU_DEP_1)
	v_add_co_ci_u32_e32 v6, vcc_lo, s5, v3, vcc_lo
	global_load_u16 v5, v[5:6], off
	s_waitcnt vmcnt(0)
	v_lshlrev_b32_e32 v5, 16, v5
	v_mul_f32_e32 v6, 0x3fb8aa3b, v5
	s_delay_alu instid0(VALU_DEP_1) | instskip(SKIP_2) | instid1(VALU_DEP_2)
	v_cmp_gt_f32_e32 vcc_lo, 0xc2fc0000, v6
	v_cndmask_b32_e64 v6, 0, 0x42800000, vcc_lo
	v_cndmask_b32_e64 v7, 1.0, 0x1f800000, vcc_lo
	v_fmac_f32_e32 v6, 0x3fb8aa3b, v5
	s_delay_alu instid0(VALU_DEP_1) | instskip(SKIP_2) | instid1(VALU_DEP_1)
	v_exp_f32_e32 v6, v6
	s_waitcnt_depctr 0xfff
	v_fma_f32 v6, v6, v7, 1.0
	v_cmp_gt_f32_e32 vcc_lo, 0x800000, v6
	v_cndmask_b32_e64 v7, 1.0, 0x4f800000, vcc_lo
	s_delay_alu instid0(VALU_DEP_1) | instskip(SKIP_2) | instid1(VALU_DEP_3)
	v_mul_f32_e32 v6, v6, v7
	v_cndmask_b32_e64 v7, 0, 0x42000000, vcc_lo
	v_cmp_lt_f32_e32 vcc_lo, 0x41a00000, v5
	v_log_f32_e32 v6, v6
	s_waitcnt_depctr 0xfff
	v_sub_f32_e32 v6, v6, v7
	s_delay_alu instid0(VALU_DEP_1) | instskip(NEXT) | instid1(VALU_DEP_1)
	v_mul_f32_e32 v6, 0x3f317218, v6
	v_cndmask_b32_e32 v5, v6, v5, vcc_lo
	s_delay_alu instid0(VALU_DEP_1) | instskip(SKIP_1) | instid1(VALU_DEP_2)
	v_mul_f32_e32 v6, 0x4f800000, v5
	v_cmp_gt_f32_e32 vcc_lo, 0xf800000, v5
	v_cndmask_b32_e32 v5, v5, v6, vcc_lo
	s_delay_alu instid0(VALU_DEP_1) | instskip(SKIP_3) | instid1(VALU_DEP_2)
	v_sqrt_f32_e32 v6, v5
	s_waitcnt_depctr 0xfff
	v_add_nc_u32_e32 v7, -1, v6
	v_add_nc_u32_e32 v8, 1, v6
	v_fma_f32 v9, -v7, v6, v5
	s_delay_alu instid0(VALU_DEP_2) | instskip(NEXT) | instid1(VALU_DEP_2)
	v_fma_f32 v10, -v8, v6, v5
	v_cmp_ge_f32_e64 s3, 0, v9
	s_delay_alu instid0(VALU_DEP_1) | instskip(NEXT) | instid1(VALU_DEP_3)
	v_cndmask_b32_e64 v6, v6, v7, s3
	v_cmp_lt_f32_e64 s3, 0, v10
	s_delay_alu instid0(VALU_DEP_1) | instskip(NEXT) | instid1(VALU_DEP_1)
	v_cndmask_b32_e64 v6, v6, v8, s3
	v_mul_f32_e32 v7, 0x37800000, v6
	s_delay_alu instid0(VALU_DEP_1) | instskip(SKIP_1) | instid1(VALU_DEP_2)
	v_cndmask_b32_e32 v6, v6, v7, vcc_lo
	v_cmp_class_f32_e64 vcc_lo, v5, 0x260
	v_cndmask_b32_e32 v5, v6, v5, vcc_lo
	s_and_not1_b32 vcc_lo, exec_lo, s16
	ds_store_b32 v4, v5
	s_cbranch_vccnz .LBB268_13
; %bb.15:                               ;   in Loop: Header=BB268_14 Depth=1
	v_add_co_u32 v2, vcc_lo, s6, v2
	v_add_co_ci_u32_e32 v3, vcc_lo, s7, v3, vcc_lo
	global_load_u16 v2, v[2:3], off
	s_waitcnt vmcnt(0)
	v_cvt_f32_f16_e32 v2, v2
	s_delay_alu instid0(VALU_DEP_1)
	v_add_f32_e32 v2, v5, v2
	ds_store_b32 v4, v2
	s_branch .LBB268_13
.LBB268_16:
	s_or_b32 exec_lo, exec_lo, s18
	s_cmp_lt_i32 s13, 1
	s_waitcnt lgkmcnt(0)
	s_barrier
	buffer_gl0_inv
	s_cbranch_scc1 .LBB268_25
; %bb.17:
	s_add_u32 s4, s0, 56
	s_addc_u32 s5, s1, 0
	v_dual_mov_b32 v3, 0 :: v_dual_mov_b32 v4, 0xff800000
	v_dual_mov_b32 v1, 0 :: v_dual_mov_b32 v2, 0
	s_cmp_lg_u64 s[6:7], 0
	s_mov_b32 s18, 0
	s_cselect_b32 s12, -1, 0
	s_mov_b32 s19, 0x76543210
	s_branch .LBB268_19
.LBB268_18:                             ;   in Loop: Header=BB268_19 Depth=1
	v_cmp_eq_u32_e32 vcc_lo, s18, v0
	s_delay_alu instid0(VALU_DEP_2)
	s_lshl_b32 s3, s16, 2
	s_add_i32 s18, s18, 1
	s_add_i32 s3, s3, 0
	s_cmp_eq_u32 s18, s13
	v_cndmask_b32_e64 v1, v1, s16, vcc_lo
	v_dual_mov_b32 v5, s3 :: v_dual_cndmask_b32 v2, v2, v7
	ds_store_b32 v5, v4
	s_cbranch_scc1 .LBB268_26
.LBB268_19:                             ; =>This Loop Header: Depth=1
                                        ;     Child Loop BB268_21 Depth 2
	v_dual_mov_b32 v5, s18 :: v_dual_mov_b32 v6, 0xff800000
	s_and_saveexec_b32 s16, s2
	s_cbranch_execz .LBB268_23
; %bb.20:                               ;   in Loop: Header=BB268_19 Depth=1
	s_load_b32 s3, s[4:5], 0xc
	v_dual_mov_b32 v5, s18 :: v_dual_mov_b32 v6, 0xff800000
	v_dual_mov_b32 v7, v12 :: v_dual_mov_b32 v8, v11
	v_mov_b32_e32 v9, v0
	s_mov_b32 s21, 0
	s_waitcnt lgkmcnt(0)
	s_and_b32 s17, s3, 0xffff
	s_delay_alu instid0(SALU_CYCLE_1)
	s_lshl_b32 s20, s17, 2
	s_lshl_b32 s22, s17, 4
	.p2align	6
.LBB268_21:                             ;   Parent Loop BB268_19 Depth=1
                                        ; =>  This Inner Loop Header: Depth=2
	ds_load_b128 v[13:16], v7
	v_add_nc_u32_e32 v7, s22, v7
	s_waitcnt lgkmcnt(0)
	v_cmp_gt_f32_e32 vcc_lo, v13, v6
	v_dual_cndmask_b32 v6, v6, v13 :: v_dual_cndmask_b32 v5, v5, v8
	v_add_nc_u32_e32 v13, 2, v8
	v_add_nc_u32_e32 v10, 1, v8
	s_delay_alu instid0(VALU_DEP_3) | instskip(SKIP_1) | instid1(VALU_DEP_3)
	v_cmp_gt_f32_e32 vcc_lo, v14, v6
	v_cndmask_b32_e32 v6, v6, v14, vcc_lo
	v_dual_cndmask_b32 v5, v5, v10 :: v_dual_add_nc_u32 v10, 3, v8
	s_delay_alu instid0(VALU_DEP_2) | instskip(NEXT) | instid1(VALU_DEP_2)
	v_cmp_gt_f32_e32 vcc_lo, v15, v6
	v_dual_cndmask_b32 v6, v6, v15 :: v_dual_cndmask_b32 v5, v5, v13
	s_delay_alu instid0(VALU_DEP_1) | instskip(SKIP_1) | instid1(VALU_DEP_3)
	v_cmp_gt_f32_e32 vcc_lo, v16, v6
	v_add_nc_u32_e32 v9, s17, v9
	v_dual_cndmask_b32 v5, v5, v10 :: v_dual_add_nc_u32 v8, s20, v8
	v_cndmask_b32_e32 v6, v6, v16, vcc_lo
	s_delay_alu instid0(VALU_DEP_3) | instskip(NEXT) | instid1(VALU_DEP_1)
	v_cmp_le_i32_e64 s3, s14, v9
	s_or_b32 s21, s3, s21
	s_delay_alu instid0(SALU_CYCLE_1)
	s_and_not1_b32 exec_lo, exec_lo, s21
	s_cbranch_execnz .LBB268_21
; %bb.22:                               ;   in Loop: Header=BB268_19 Depth=1
	s_or_b32 exec_lo, exec_lo, s21
.LBB268_23:                             ;   in Loop: Header=BB268_19 Depth=1
	s_delay_alu instid0(SALU_CYCLE_1)
	s_or_b32 exec_lo, exec_lo, s16
	;;#ASMSTART
	v_max_f32 v7, v6, v6 quad_perm:[1,0,3,2] row_mask:0xf bank_mask:0xf bound_ctrl:1
	;;#ASMEND
	;;#ASMSTART
	v_max_f32 v8, v7, v7 quad_perm:[2,3,0,1] row_mask:0xf bank_mask:0xf bound_ctrl:1
	;;#ASMEND
	;;#ASMSTART
	v_max_f32 v7, v8, v8 row_half_mirror row_mask:0xf bank_mask:0xf bound_ctrl:1
	;;#ASMEND
	;;#ASMSTART
	v_max_f32 v8, v7, v7 row_mirror row_mask:0xf bank_mask:0xf bound_ctrl:1
	;;#ASMEND
	v_permlanex16_b32 v7, v8, s19, 0xfedcba98 op_sel:[1,1]
	s_delay_alu instid0(VALU_DEP_1) | instskip(NEXT) | instid1(VALU_DEP_1)
	v_dual_max_f32 v8, v8, v8 :: v_dual_max_f32 v7, v7, v7
	v_max_f32_e32 v7, v8, v7
	s_delay_alu instid0(VALU_DEP_1)
	v_cmp_eq_f32_e32 vcc_lo, v6, v7
	s_ctz_i32_b32 s3, vcc_lo
	s_cmp_lg_u32 vcc_lo, 0
	s_cselect_b32 s3, s3, 0
	s_and_b32 vcc_lo, exec_lo, s12
	v_readlane_b32 s16, v5, s3
	s_cbranch_vccz .LBB268_18
; %bb.24:                               ;   in Loop: Header=BB268_19 Depth=1
	s_delay_alu instid0(VALU_DEP_1) | instskip(NEXT) | instid1(SALU_CYCLE_1)
	s_ashr_i32 s17, s16, 31
	s_lshl_b64 s[20:21], s[16:17], 1
	s_delay_alu instid0(SALU_CYCLE_1) | instskip(SKIP_4) | instid1(VALU_DEP_1)
	s_add_u32 s20, s6, s20
	s_addc_u32 s21, s7, s21
	global_load_u16 v5, v3, s[20:21]
	s_waitcnt vmcnt(0)
	v_cvt_f32_f16_e32 v5, v5
	v_sub_f32_e32 v7, v7, v5
	s_branch .LBB268_18
.LBB268_25:
	v_dual_mov_b32 v2, 0 :: v_dual_mov_b32 v1, 0
.LBB268_26:
	s_mov_b32 s2, exec_lo
	v_cmpx_gt_i32_e64 s13, v0
	s_cbranch_execz .LBB268_29
; %bb.27:
	s_clause 0x2
	s_load_b32 s4, s[0:1], 0x34
	s_load_b64 s[2:3], s[0:1], 0x20
	s_load_b32 s0, s[0:1], 0x44
	s_ashr_i32 s1, s15, 31
	s_waitcnt lgkmcnt(0)
	v_mul_f32_e32 v2, s4, v2
	s_mul_i32 s3, s15, s3
	s_mul_hi_u32 s4, s15, s2
	s_mul_i32 s5, s1, s2
	s_add_i32 s3, s4, s3
	s_mul_i32 s1, s15, s2
	s_and_b32 s2, s0, 0xffff
	s_add_i32 s3, s3, s5
	s_mov_b32 s4, 0
	.p2align	6
.LBB268_28:                             ; =>This Inner Loop Header: Depth=1
	v_ashrrev_i32_e32 v4, 31, v0
	v_add_co_u32 v3, vcc_lo, s1, v0
	v_add_nc_u32_e32 v0, s2, v0
	s_delay_alu instid0(VALU_DEP_3) | instskip(NEXT) | instid1(VALU_DEP_2)
	v_add_co_ci_u32_e32 v4, vcc_lo, s3, v4, vcc_lo
	v_cmp_le_i32_e32 vcc_lo, s13, v0
	s_delay_alu instid0(VALU_DEP_2) | instskip(SKIP_1) | instid1(VALU_DEP_1)
	v_lshlrev_b64 v[3:4], 2, v[3:4]
	s_or_b32 s4, vcc_lo, s4
	v_add_co_u32 v5, s0, s8, v3
	s_delay_alu instid0(VALU_DEP_1) | instskip(SKIP_1) | instid1(VALU_DEP_1)
	v_add_co_ci_u32_e64 v6, s0, s9, v4, s0
	v_add_co_u32 v3, s0, s10, v3
	v_add_co_ci_u32_e64 v4, s0, s11, v4, s0
	global_store_b32 v[5:6], v2, off
	global_store_b32 v[3:4], v1, off
	s_and_not1_b32 exec_lo, exec_lo, s4
	s_cbranch_execnz .LBB268_28
.LBB268_29:
	s_nop 0
	s_sendmsg sendmsg(MSG_DEALLOC_VGPRS)
	s_endpgm
	.section	.rodata,"a",@progbits
	.p2align	6, 0x0
	.amdhsa_kernel _ZN5aiter20topk_softplus_kernelI12hip_bfloat166__halfDv4_fLb0ELi0EEEvPKT_PKT0_PfPimiiif
		.amdhsa_group_segment_fixed_size 0
		.amdhsa_private_segment_fixed_size 0
		.amdhsa_kernarg_size 312
		.amdhsa_user_sgpr_count 15
		.amdhsa_user_sgpr_dispatch_ptr 0
		.amdhsa_user_sgpr_queue_ptr 0
		.amdhsa_user_sgpr_kernarg_segment_ptr 1
		.amdhsa_user_sgpr_dispatch_id 0
		.amdhsa_user_sgpr_private_segment_size 0
		.amdhsa_wavefront_size32 1
		.amdhsa_uses_dynamic_stack 0
		.amdhsa_enable_private_segment 0
		.amdhsa_system_sgpr_workgroup_id_x 1
		.amdhsa_system_sgpr_workgroup_id_y 0
		.amdhsa_system_sgpr_workgroup_id_z 0
		.amdhsa_system_sgpr_workgroup_info 0
		.amdhsa_system_vgpr_workitem_id 0
		.amdhsa_next_free_vgpr 20
		.amdhsa_next_free_sgpr 31
		.amdhsa_reserve_vcc 1
		.amdhsa_float_round_mode_32 0
		.amdhsa_float_round_mode_16_64 0
		.amdhsa_float_denorm_mode_32 3
		.amdhsa_float_denorm_mode_16_64 3
		.amdhsa_dx10_clamp 1
		.amdhsa_ieee_mode 1
		.amdhsa_fp16_overflow 0
		.amdhsa_workgroup_processor_mode 1
		.amdhsa_memory_ordered 1
		.amdhsa_forward_progress 0
		.amdhsa_shared_vgpr_count 0
		.amdhsa_exception_fp_ieee_invalid_op 0
		.amdhsa_exception_fp_denorm_src 0
		.amdhsa_exception_fp_ieee_div_zero 0
		.amdhsa_exception_fp_ieee_overflow 0
		.amdhsa_exception_fp_ieee_underflow 0
		.amdhsa_exception_fp_ieee_inexact 0
		.amdhsa_exception_int_div_zero 0
	.end_amdhsa_kernel
	.section	.text._ZN5aiter20topk_softplus_kernelI12hip_bfloat166__halfDv4_fLb0ELi0EEEvPKT_PKT0_PfPimiiif,"axG",@progbits,_ZN5aiter20topk_softplus_kernelI12hip_bfloat166__halfDv4_fLb0ELi0EEEvPKT_PKT0_PfPimiiif,comdat
.Lfunc_end268:
	.size	_ZN5aiter20topk_softplus_kernelI12hip_bfloat166__halfDv4_fLb0ELi0EEEvPKT_PKT0_PfPimiiif, .Lfunc_end268-_ZN5aiter20topk_softplus_kernelI12hip_bfloat166__halfDv4_fLb0ELi0EEEvPKT_PKT0_PfPimiiif
                                        ; -- End function
	.section	.AMDGPU.csdata,"",@progbits
; Kernel info:
; codeLenInByte = 2932
; NumSgprs: 33
; NumVgprs: 20
; ScratchSize: 0
; MemoryBound: 0
; FloatMode: 240
; IeeeMode: 1
; LDSByteSize: 0 bytes/workgroup (compile time only)
; SGPRBlocks: 4
; VGPRBlocks: 2
; NumSGPRsForWavesPerEU: 33
; NumVGPRsForWavesPerEU: 20
; Occupancy: 16
; WaveLimiterHint : 0
; COMPUTE_PGM_RSRC2:SCRATCH_EN: 0
; COMPUTE_PGM_RSRC2:USER_SGPR: 15
; COMPUTE_PGM_RSRC2:TRAP_HANDLER: 0
; COMPUTE_PGM_RSRC2:TGID_X_EN: 1
; COMPUTE_PGM_RSRC2:TGID_Y_EN: 0
; COMPUTE_PGM_RSRC2:TGID_Z_EN: 0
; COMPUTE_PGM_RSRC2:TIDIG_COMP_CNT: 0
	.section	.text._ZN5aiter20topk_softplus_kernelI12hip_bfloat166__halfDv2_fLb1ELi0EEEvPKT_PKT0_PfPimiiif,"axG",@progbits,_ZN5aiter20topk_softplus_kernelI12hip_bfloat166__halfDv2_fLb1ELi0EEEvPKT_PKT0_PfPimiiif,comdat
	.protected	_ZN5aiter20topk_softplus_kernelI12hip_bfloat166__halfDv2_fLb1ELi0EEEvPKT_PKT0_PfPimiiif ; -- Begin function _ZN5aiter20topk_softplus_kernelI12hip_bfloat166__halfDv2_fLb1ELi0EEEvPKT_PKT0_PfPimiiif
	.globl	_ZN5aiter20topk_softplus_kernelI12hip_bfloat166__halfDv2_fLb1ELi0EEEvPKT_PKT0_PfPimiiif
	.p2align	8
	.type	_ZN5aiter20topk_softplus_kernelI12hip_bfloat166__halfDv2_fLb1ELi0EEEvPKT_PKT0_PfPimiiif,@function
_ZN5aiter20topk_softplus_kernelI12hip_bfloat166__halfDv2_fLb1ELi0EEEvPKT_PKT0_PfPimiiif: ; @_ZN5aiter20topk_softplus_kernelI12hip_bfloat166__halfDv2_fLb1ELi0EEEvPKT_PKT0_PfPimiiif
; %bb.0:
	s_clause 0x1
	s_load_b64 s[12:13], s[0:1], 0x28
	s_load_b256 s[4:11], s[0:1], 0x0
	v_lshl_add_u32 v4, v0, 3, 0
	s_waitcnt lgkmcnt(0)
	s_lshr_b32 s3, s12, 31
	s_mul_i32 s2, s15, s12
	s_add_i32 s14, s12, s3
	s_ashr_i32 s3, s2, 31
	s_ashr_i32 s14, s14, 1
	s_lshl_b64 s[16:17], s[2:3], 1
	v_cmp_gt_i32_e64 s2, s14, v0
	s_add_u32 s4, s4, s16
	s_addc_u32 s5, s5, s17
	s_delay_alu instid0(VALU_DEP_1)
	s_and_saveexec_b32 s16, s2
	s_cbranch_execz .LBB269_7
; %bb.1:
	s_load_b32 s3, s[0:1], 0x44
	s_cmp_lg_u64 s[6:7], 0
	v_lshlrev_b32_e32 v3, 2, v0
	v_mov_b32_e32 v5, 0
	v_lshl_add_u32 v6, v0, 3, 0
	v_mov_b32_e32 v7, v0
	s_cselect_b32 s17, -1, 0
	s_mov_b32 s19, 0
	s_waitcnt lgkmcnt(0)
	s_and_b32 s18, s3, 0xffff
	s_delay_alu instid0(SALU_CYCLE_1)
	s_lshl_b32 s20, s18, 2
	s_lshl_b32 s21, s18, 3
	s_branch .LBB269_3
.LBB269_2:                              ;   in Loop: Header=BB269_3 Depth=1
	v_add_nc_u32_e32 v7, s18, v7
	v_add_co_u32 v3, s3, v3, s20
	ds_store_b64 v6, v[1:2]
	v_add_co_ci_u32_e64 v5, s3, 0, v5, s3
	v_cmp_le_i32_e32 vcc_lo, s14, v7
	v_add_nc_u32_e32 v6, s21, v6
	s_or_b32 s19, vcc_lo, s19
	s_delay_alu instid0(SALU_CYCLE_1)
	s_and_not1_b32 exec_lo, exec_lo, s19
	s_cbranch_execz .LBB269_7
.LBB269_3:                              ; =>This Inner Loop Header: Depth=1
	v_add_co_u32 v1, vcc_lo, s4, v3
	v_add_co_ci_u32_e32 v2, vcc_lo, s5, v5, vcc_lo
	global_load_b32 v2, v[1:2], off
	s_waitcnt vmcnt(0)
	v_and_b32_e32 v1, 0xffff, v2
	s_delay_alu instid0(VALU_DEP_1) | instskip(NEXT) | instid1(VALU_DEP_1)
	v_cvt_f32_u32_e32 v1, v1
	v_mul_f32_e32 v8, 0x3fb8aa3b, v1
	s_delay_alu instid0(VALU_DEP_1) | instskip(SKIP_2) | instid1(VALU_DEP_2)
	v_cmp_gt_f32_e32 vcc_lo, 0xc2fc0000, v8
	v_cndmask_b32_e64 v8, 0, 0x42800000, vcc_lo
	v_cndmask_b32_e64 v9, 1.0, 0x1f800000, vcc_lo
	v_fmac_f32_e32 v8, 0x3fb8aa3b, v1
	s_delay_alu instid0(VALU_DEP_1) | instskip(SKIP_2) | instid1(VALU_DEP_1)
	v_exp_f32_e32 v8, v8
	s_waitcnt_depctr 0xfff
	v_fma_f32 v8, v8, v9, 1.0
	v_cmp_gt_f32_e32 vcc_lo, 0x800000, v8
	v_cndmask_b32_e64 v9, 1.0, 0x4f800000, vcc_lo
	s_delay_alu instid0(VALU_DEP_1) | instskip(SKIP_2) | instid1(VALU_DEP_3)
	v_mul_f32_e32 v8, v8, v9
	v_cndmask_b32_e64 v9, 0, 0x42000000, vcc_lo
	v_cmp_lt_u16_e32 vcc_lo, 20, v2
	v_log_f32_e32 v8, v8
	s_waitcnt_depctr 0xfff
	v_sub_f32_e32 v8, v8, v9
	s_delay_alu instid0(VALU_DEP_1) | instskip(NEXT) | instid1(VALU_DEP_1)
	v_mul_f32_e32 v8, 0x3f317218, v8
	v_cndmask_b32_e32 v1, v8, v1, vcc_lo
	s_delay_alu instid0(VALU_DEP_1) | instskip(SKIP_1) | instid1(VALU_DEP_2)
	v_mul_f32_e32 v8, 0x4f800000, v1
	v_cmp_gt_f32_e32 vcc_lo, 0xf800000, v1
	v_cndmask_b32_e32 v1, v1, v8, vcc_lo
	s_delay_alu instid0(VALU_DEP_1) | instskip(SKIP_3) | instid1(VALU_DEP_2)
	v_sqrt_f32_e32 v8, v1
	s_waitcnt_depctr 0xfff
	v_add_nc_u32_e32 v9, -1, v8
	v_add_nc_u32_e32 v10, 1, v8
	v_fma_f32 v11, -v9, v8, v1
	s_delay_alu instid0(VALU_DEP_2) | instskip(NEXT) | instid1(VALU_DEP_2)
	v_fma_f32 v12, -v10, v8, v1
	v_cmp_ge_f32_e64 s3, 0, v11
	s_delay_alu instid0(VALU_DEP_1) | instskip(NEXT) | instid1(VALU_DEP_3)
	v_cndmask_b32_e64 v8, v8, v9, s3
	v_cmp_lt_f32_e64 s3, 0, v12
	s_delay_alu instid0(VALU_DEP_1) | instskip(NEXT) | instid1(VALU_DEP_1)
	v_cndmask_b32_e64 v8, v8, v10, s3
	v_mul_f32_e32 v9, 0x37800000, v8
	s_delay_alu instid0(VALU_DEP_1) | instskip(SKIP_1) | instid1(VALU_DEP_2)
	v_cndmask_b32_e32 v8, v8, v9, vcc_lo
	v_cmp_class_f32_e64 vcc_lo, v1, 0x260
	v_cndmask_b32_e32 v1, v8, v1, vcc_lo
	s_and_not1_b32 vcc_lo, exec_lo, s17
	s_cbranch_vccnz .LBB269_5
; %bb.4:                                ;   in Loop: Header=BB269_3 Depth=1
	v_add_co_u32 v8, vcc_lo, s6, v3
	v_add_co_ci_u32_e32 v9, vcc_lo, s7, v5, vcc_lo
	global_load_u16 v8, v[8:9], off
	s_waitcnt vmcnt(0)
	v_cvt_f32_f16_e32 v8, v8
	s_delay_alu instid0(VALU_DEP_1)
	v_add_f32_e32 v1, v1, v8
.LBB269_5:                              ;   in Loop: Header=BB269_3 Depth=1
	v_lshrrev_b32_e32 v2, 16, v2
	s_delay_alu instid0(VALU_DEP_1) | instskip(NEXT) | instid1(VALU_DEP_1)
	v_cvt_f32_u32_e32 v8, v2
	v_mul_f32_e32 v9, 0x3fb8aa3b, v8
	s_delay_alu instid0(VALU_DEP_1) | instskip(SKIP_2) | instid1(VALU_DEP_2)
	v_cmp_gt_f32_e32 vcc_lo, 0xc2fc0000, v9
	v_cndmask_b32_e64 v9, 0, 0x42800000, vcc_lo
	v_cndmask_b32_e64 v10, 1.0, 0x1f800000, vcc_lo
	v_fmac_f32_e32 v9, 0x3fb8aa3b, v8
	s_delay_alu instid0(VALU_DEP_1) | instskip(SKIP_2) | instid1(VALU_DEP_1)
	v_exp_f32_e32 v9, v9
	s_waitcnt_depctr 0xfff
	v_fma_f32 v9, v9, v10, 1.0
	v_cmp_gt_f32_e32 vcc_lo, 0x800000, v9
	v_cndmask_b32_e64 v10, 1.0, 0x4f800000, vcc_lo
	s_delay_alu instid0(VALU_DEP_1) | instskip(SKIP_2) | instid1(VALU_DEP_3)
	v_mul_f32_e32 v9, v9, v10
	v_cndmask_b32_e64 v10, 0, 0x42000000, vcc_lo
	v_cmp_lt_u16_e32 vcc_lo, 20, v2
	v_log_f32_e32 v9, v9
	s_waitcnt_depctr 0xfff
	v_sub_f32_e32 v9, v9, v10
	s_delay_alu instid0(VALU_DEP_1) | instskip(NEXT) | instid1(VALU_DEP_1)
	v_mul_f32_e32 v9, 0x3f317218, v9
	v_cndmask_b32_e32 v2, v9, v8, vcc_lo
	s_delay_alu instid0(VALU_DEP_1) | instskip(SKIP_1) | instid1(VALU_DEP_2)
	v_mul_f32_e32 v8, 0x4f800000, v2
	v_cmp_gt_f32_e32 vcc_lo, 0xf800000, v2
	v_cndmask_b32_e32 v2, v2, v8, vcc_lo
	s_delay_alu instid0(VALU_DEP_1) | instskip(SKIP_3) | instid1(VALU_DEP_2)
	v_sqrt_f32_e32 v8, v2
	s_waitcnt_depctr 0xfff
	v_add_nc_u32_e32 v10, 1, v8
	v_add_nc_u32_e32 v9, -1, v8
	v_fma_f32 v12, -v10, v8, v2
	s_delay_alu instid0(VALU_DEP_2) | instskip(NEXT) | instid1(VALU_DEP_1)
	v_fma_f32 v11, -v9, v8, v2
	v_cmp_ge_f32_e64 s3, 0, v11
	s_delay_alu instid0(VALU_DEP_1) | instskip(NEXT) | instid1(VALU_DEP_4)
	v_cndmask_b32_e64 v8, v8, v9, s3
	v_cmp_lt_f32_e64 s3, 0, v12
	s_delay_alu instid0(VALU_DEP_1) | instskip(NEXT) | instid1(VALU_DEP_1)
	v_cndmask_b32_e64 v8, v8, v10, s3
	v_mul_f32_e32 v9, 0x37800000, v8
	s_delay_alu instid0(VALU_DEP_1) | instskip(SKIP_1) | instid1(VALU_DEP_2)
	v_cndmask_b32_e32 v8, v8, v9, vcc_lo
	v_cmp_class_f32_e64 vcc_lo, v2, 0x260
	v_cndmask_b32_e32 v2, v8, v2, vcc_lo
	s_and_not1_b32 vcc_lo, exec_lo, s17
	s_cbranch_vccnz .LBB269_2
; %bb.6:                                ;   in Loop: Header=BB269_3 Depth=1
	v_add_co_u32 v8, vcc_lo, s6, v3
	v_add_co_ci_u32_e32 v9, vcc_lo, s7, v5, vcc_lo
	global_load_u16 v8, v[8:9], off offset:2
	s_waitcnt vmcnt(0)
	v_cvt_f32_f16_e32 v8, v8
	s_delay_alu instid0(VALU_DEP_1)
	v_add_f32_e32 v2, v2, v8
	s_branch .LBB269_2
.LBB269_7:
	s_or_b32 exec_lo, exec_lo, s16
	v_lshl_add_u32 v1, s14, 1, v0
	s_mov_b32 s16, exec_lo
	s_delay_alu instid0(VALU_DEP_1)
	v_cmpx_gt_i32_e64 s12, v1
	s_cbranch_execz .LBB269_12
; %bb.8:
	s_load_b32 s3, s[0:1], 0x44
	v_lshlrev_b32_e32 v2, 2, v0
	s_cmp_lg_u64 s[6:7], 0
	s_mov_b32 s19, 0
	s_cselect_b32 s17, -1, 0
	s_lshl_b32 s18, s14, 3
	s_delay_alu instid0(SALU_CYCLE_1) | instskip(SKIP_2) | instid1(SALU_CYCLE_1)
	v_add3_u32 v5, 0, s18, v2
	s_waitcnt lgkmcnt(0)
	s_and_b32 s18, s3, 0xffff
	s_lshl_b32 s20, s18, 2
	s_branch .LBB269_10
.LBB269_9:                              ;   in Loop: Header=BB269_10 Depth=1
	v_add_nc_u32_e32 v1, s18, v1
	v_add_nc_u32_e32 v5, s20, v5
	s_delay_alu instid0(VALU_DEP_2) | instskip(SKIP_1) | instid1(SALU_CYCLE_1)
	v_cmp_le_i32_e32 vcc_lo, s12, v1
	s_or_b32 s19, vcc_lo, s19
	s_and_not1_b32 exec_lo, exec_lo, s19
	s_cbranch_execz .LBB269_12
.LBB269_10:                             ; =>This Inner Loop Header: Depth=1
	v_ashrrev_i32_e32 v2, 31, v1
	s_delay_alu instid0(VALU_DEP_1) | instskip(NEXT) | instid1(VALU_DEP_1)
	v_lshlrev_b64 v[2:3], 1, v[1:2]
	v_add_co_u32 v6, vcc_lo, s4, v2
	s_delay_alu instid0(VALU_DEP_2) | instskip(SKIP_3) | instid1(VALU_DEP_1)
	v_add_co_ci_u32_e32 v7, vcc_lo, s5, v3, vcc_lo
	global_load_u16 v6, v[6:7], off
	s_waitcnt vmcnt(0)
	v_lshlrev_b32_e32 v6, 16, v6
	v_mul_f32_e32 v7, 0x3fb8aa3b, v6
	s_delay_alu instid0(VALU_DEP_1) | instskip(SKIP_2) | instid1(VALU_DEP_2)
	v_cmp_gt_f32_e32 vcc_lo, 0xc2fc0000, v7
	v_cndmask_b32_e64 v7, 0, 0x42800000, vcc_lo
	v_cndmask_b32_e64 v8, 1.0, 0x1f800000, vcc_lo
	v_fmac_f32_e32 v7, 0x3fb8aa3b, v6
	s_delay_alu instid0(VALU_DEP_1) | instskip(SKIP_2) | instid1(VALU_DEP_1)
	v_exp_f32_e32 v7, v7
	s_waitcnt_depctr 0xfff
	v_fma_f32 v7, v7, v8, 1.0
	v_cmp_gt_f32_e32 vcc_lo, 0x800000, v7
	v_cndmask_b32_e64 v8, 1.0, 0x4f800000, vcc_lo
	s_delay_alu instid0(VALU_DEP_1) | instskip(SKIP_2) | instid1(VALU_DEP_3)
	v_mul_f32_e32 v7, v7, v8
	v_cndmask_b32_e64 v8, 0, 0x42000000, vcc_lo
	v_cmp_lt_f32_e32 vcc_lo, 0x41a00000, v6
	v_log_f32_e32 v7, v7
	s_waitcnt_depctr 0xfff
	v_sub_f32_e32 v7, v7, v8
	s_delay_alu instid0(VALU_DEP_1) | instskip(NEXT) | instid1(VALU_DEP_1)
	v_mul_f32_e32 v7, 0x3f317218, v7
	v_cndmask_b32_e32 v6, v7, v6, vcc_lo
	s_delay_alu instid0(VALU_DEP_1) | instskip(SKIP_1) | instid1(VALU_DEP_2)
	v_mul_f32_e32 v7, 0x4f800000, v6
	v_cmp_gt_f32_e32 vcc_lo, 0xf800000, v6
	v_cndmask_b32_e32 v6, v6, v7, vcc_lo
	s_delay_alu instid0(VALU_DEP_1) | instskip(SKIP_3) | instid1(VALU_DEP_2)
	v_sqrt_f32_e32 v7, v6
	s_waitcnt_depctr 0xfff
	v_add_nc_u32_e32 v8, -1, v7
	v_add_nc_u32_e32 v9, 1, v7
	v_fma_f32 v10, -v8, v7, v6
	s_delay_alu instid0(VALU_DEP_2) | instskip(NEXT) | instid1(VALU_DEP_2)
	v_fma_f32 v11, -v9, v7, v6
	v_cmp_ge_f32_e64 s3, 0, v10
	s_delay_alu instid0(VALU_DEP_1) | instskip(NEXT) | instid1(VALU_DEP_3)
	v_cndmask_b32_e64 v7, v7, v8, s3
	v_cmp_lt_f32_e64 s3, 0, v11
	s_delay_alu instid0(VALU_DEP_1) | instskip(NEXT) | instid1(VALU_DEP_1)
	v_cndmask_b32_e64 v7, v7, v9, s3
	v_mul_f32_e32 v8, 0x37800000, v7
	s_delay_alu instid0(VALU_DEP_1) | instskip(SKIP_1) | instid1(VALU_DEP_2)
	v_cndmask_b32_e32 v7, v7, v8, vcc_lo
	v_cmp_class_f32_e64 vcc_lo, v6, 0x260
	v_cndmask_b32_e32 v6, v7, v6, vcc_lo
	s_and_not1_b32 vcc_lo, exec_lo, s17
	ds_store_b32 v5, v6
	s_cbranch_vccnz .LBB269_9
; %bb.11:                               ;   in Loop: Header=BB269_10 Depth=1
	v_add_co_u32 v2, vcc_lo, s6, v2
	v_add_co_ci_u32_e32 v3, vcc_lo, s7, v3, vcc_lo
	global_load_u16 v2, v[2:3], off
	s_waitcnt vmcnt(0)
	v_cvt_f32_f16_e32 v2, v2
	s_delay_alu instid0(VALU_DEP_1)
	v_add_f32_e32 v2, v6, v2
	ds_store_b32 v5, v2
	s_branch .LBB269_9
.LBB269_12:
	s_or_b32 exec_lo, exec_lo, s16
	v_mov_b32_e32 v2, 0
	s_cmp_lt_i32 s13, 1
	s_waitcnt lgkmcnt(0)
	s_barrier
	buffer_gl0_inv
	s_cbranch_scc1 .LBB269_21
; %bb.13:
	s_add_u32 s4, s0, 56
	s_addc_u32 s5, s1, 0
	v_dual_mov_b32 v2, 0 :: v_dual_lshlrev_b32 v5, 1, v0
	v_dual_mov_b32 v6, 0 :: v_dual_mov_b32 v7, 0xff800000
	v_mov_b32_e32 v1, 0
	v_mov_b32_e32 v3, 0
	s_cmp_lg_u64 s[6:7], 0
	s_mov_b32 s18, 0
	s_cselect_b32 s12, -1, 0
	s_mov_b32 s19, 0x76543210
	s_branch .LBB269_15
.LBB269_14:                             ;   in Loop: Header=BB269_15 Depth=1
	v_cmp_eq_u32_e32 vcc_lo, s18, v0
	s_delay_alu instid0(VALU_DEP_2)
	s_lshl_b32 s3, s16, 2
	s_add_i32 s18, s18, 1
	s_add_i32 s3, s3, 0
	v_add_f32_e32 v3, v3, v10
	v_cndmask_b32_e64 v1, v1, s16, vcc_lo
	v_mov_b32_e32 v8, s3
	v_cndmask_b32_e32 v2, v2, v10, vcc_lo
	s_cmp_eq_u32 s18, s13
	ds_store_b32 v8, v7
	s_cbranch_scc1 .LBB269_22
.LBB269_15:                             ; =>This Loop Header: Depth=1
                                        ;     Child Loop BB269_17 Depth 2
	v_dual_mov_b32 v8, s18 :: v_dual_mov_b32 v9, 0xff800000
	s_and_saveexec_b32 s16, s2
	s_cbranch_execz .LBB269_19
; %bb.16:                               ;   in Loop: Header=BB269_15 Depth=1
	s_load_b32 s3, s[4:5], 0xc
	v_dual_mov_b32 v8, s18 :: v_dual_mov_b32 v9, 0xff800000
	v_dual_mov_b32 v10, v4 :: v_dual_mov_b32 v11, v5
	v_mov_b32_e32 v12, v0
	s_mov_b32 s21, 0
	s_waitcnt lgkmcnt(0)
	s_and_b32 s17, s3, 0xffff
	s_delay_alu instid0(SALU_CYCLE_1)
	s_lshl_b32 s20, s17, 1
	s_lshl_b32 s22, s17, 3
	.p2align	6
.LBB269_17:                             ;   Parent Loop BB269_15 Depth=1
                                        ; =>  This Inner Loop Header: Depth=2
	ds_load_b64 v[13:14], v10
	v_add_nc_u32_e32 v10, s22, v10
	v_add_nc_u32_e32 v12, s17, v12
	s_delay_alu instid0(VALU_DEP_1) | instskip(NEXT) | instid1(VALU_DEP_1)
	v_cmp_le_i32_e64 s3, s14, v12
	s_or_b32 s21, s3, s21
	s_waitcnt lgkmcnt(0)
	v_cmp_gt_f32_e32 vcc_lo, v13, v9
	v_cndmask_b32_e32 v9, v9, v13, vcc_lo
	v_add_nc_u32_e32 v13, 1, v11
	v_cndmask_b32_e32 v8, v8, v11, vcc_lo
	s_delay_alu instid0(VALU_DEP_3) | instskip(SKIP_1) | instid1(VALU_DEP_3)
	v_cmp_gt_f32_e32 vcc_lo, v14, v9
	v_cndmask_b32_e32 v9, v9, v14, vcc_lo
	v_dual_cndmask_b32 v8, v8, v13 :: v_dual_add_nc_u32 v11, s20, v11
	s_and_not1_b32 exec_lo, exec_lo, s21
	s_cbranch_execnz .LBB269_17
; %bb.18:                               ;   in Loop: Header=BB269_15 Depth=1
	s_or_b32 exec_lo, exec_lo, s21
.LBB269_19:                             ;   in Loop: Header=BB269_15 Depth=1
	s_delay_alu instid0(SALU_CYCLE_1)
	s_or_b32 exec_lo, exec_lo, s16
	;;#ASMSTART
	v_max_f32 v10, v9, v9 quad_perm:[1,0,3,2] row_mask:0xf bank_mask:0xf bound_ctrl:1
	;;#ASMEND
	;;#ASMSTART
	v_max_f32 v11, v10, v10 quad_perm:[2,3,0,1] row_mask:0xf bank_mask:0xf bound_ctrl:1
	;;#ASMEND
	;;#ASMSTART
	v_max_f32 v10, v11, v11 row_half_mirror row_mask:0xf bank_mask:0xf bound_ctrl:1
	;;#ASMEND
	;;#ASMSTART
	v_max_f32 v11, v10, v10 row_mirror row_mask:0xf bank_mask:0xf bound_ctrl:1
	;;#ASMEND
	v_permlanex16_b32 v10, v11, s19, 0xfedcba98 op_sel:[1,1]
	s_delay_alu instid0(VALU_DEP_1) | instskip(NEXT) | instid1(VALU_DEP_1)
	v_dual_max_f32 v11, v11, v11 :: v_dual_max_f32 v10, v10, v10
	v_max_f32_e32 v10, v11, v10
	s_delay_alu instid0(VALU_DEP_1)
	v_cmp_eq_f32_e32 vcc_lo, v9, v10
	s_ctz_i32_b32 s3, vcc_lo
	s_cmp_lg_u32 vcc_lo, 0
	s_cselect_b32 s3, s3, 0
	s_and_b32 vcc_lo, exec_lo, s12
	v_readlane_b32 s16, v8, s3
	s_cbranch_vccz .LBB269_14
; %bb.20:                               ;   in Loop: Header=BB269_15 Depth=1
	s_delay_alu instid0(VALU_DEP_1) | instskip(NEXT) | instid1(SALU_CYCLE_1)
	s_ashr_i32 s17, s16, 31
	s_lshl_b64 s[20:21], s[16:17], 1
	s_delay_alu instid0(SALU_CYCLE_1) | instskip(SKIP_4) | instid1(VALU_DEP_1)
	s_add_u32 s20, s6, s20
	s_addc_u32 s21, s7, s21
	global_load_u16 v8, v6, s[20:21]
	s_waitcnt vmcnt(0)
	v_cvt_f32_f16_e32 v8, v8
	v_sub_f32_e32 v10, v10, v8
	s_branch .LBB269_14
.LBB269_21:
	v_mov_b32_e32 v1, 0
	v_mov_b32_e32 v3, 0
.LBB269_22:
	s_mov_b32 s2, exec_lo
	v_cmpx_gt_i32_e64 s13, v0
	s_cbranch_execz .LBB269_25
; %bb.23:
	s_clause 0x1
	s_load_b32 s2, s[0:1], 0x34
	s_load_b32 s3, s[0:1], 0x44
	v_max_f32_e32 v3, v3, v3
	s_load_b64 s[0:1], s[0:1], 0x20
	s_ashr_i32 s4, s15, 31
	s_delay_alu instid0(VALU_DEP_1) | instskip(SKIP_1) | instid1(VALU_DEP_1)
	v_max_f32_e32 v3, 0x1e3ce508, v3
	s_waitcnt lgkmcnt(0)
	v_div_scale_f32 v4, null, v3, v3, s2
	v_div_scale_f32 v7, vcc_lo, s2, v3, s2
	s_mul_i32 s1, s15, s1
	s_delay_alu instid0(VALU_DEP_2) | instskip(SKIP_4) | instid1(VALU_DEP_1)
	v_rcp_f32_e32 v5, v4
	s_mul_i32 s4, s4, s0
	s_and_b32 s3, s3, 0xffff
	s_waitcnt_depctr 0xfff
	v_fma_f32 v6, -v4, v5, 1.0
	v_fmac_f32_e32 v5, v6, v5
	s_delay_alu instid0(VALU_DEP_1) | instskip(NEXT) | instid1(VALU_DEP_1)
	v_mul_f32_e32 v6, v7, v5
	v_fma_f32 v8, -v4, v6, v7
	s_delay_alu instid0(VALU_DEP_1) | instskip(NEXT) | instid1(VALU_DEP_1)
	v_fmac_f32_e32 v6, v8, v5
	v_fma_f32 v4, -v4, v6, v7
	s_delay_alu instid0(VALU_DEP_1) | instskip(NEXT) | instid1(VALU_DEP_1)
	v_div_fmas_f32 v4, v4, v5, v6
	v_div_fixup_f32 v3, v4, v3, s2
	s_mul_hi_u32 s2, s15, s0
	s_delay_alu instid0(SALU_CYCLE_1) | instskip(SKIP_1) | instid1(VALU_DEP_1)
	s_add_i32 s1, s2, s1
	s_mul_i32 s2, s15, s0
	v_mul_f32_e32 v2, v2, v3
	s_add_i32 s1, s1, s4
	s_mov_b32 s4, 0
	.p2align	6
.LBB269_24:                             ; =>This Inner Loop Header: Depth=1
	v_ashrrev_i32_e32 v4, 31, v0
	v_add_co_u32 v3, vcc_lo, s2, v0
	v_add_nc_u32_e32 v0, s3, v0
	s_delay_alu instid0(VALU_DEP_3) | instskip(NEXT) | instid1(VALU_DEP_2)
	v_add_co_ci_u32_e32 v4, vcc_lo, s1, v4, vcc_lo
	v_cmp_le_i32_e32 vcc_lo, s13, v0
	s_delay_alu instid0(VALU_DEP_2) | instskip(SKIP_1) | instid1(VALU_DEP_1)
	v_lshlrev_b64 v[3:4], 2, v[3:4]
	s_or_b32 s4, vcc_lo, s4
	v_add_co_u32 v5, s0, s8, v3
	s_delay_alu instid0(VALU_DEP_1) | instskip(SKIP_1) | instid1(VALU_DEP_1)
	v_add_co_ci_u32_e64 v6, s0, s9, v4, s0
	v_add_co_u32 v3, s0, s10, v3
	v_add_co_ci_u32_e64 v4, s0, s11, v4, s0
	global_store_b32 v[5:6], v2, off
	global_store_b32 v[3:4], v1, off
	s_and_not1_b32 exec_lo, exec_lo, s4
	s_cbranch_execnz .LBB269_24
.LBB269_25:
	s_nop 0
	s_sendmsg sendmsg(MSG_DEALLOC_VGPRS)
	s_endpgm
	.section	.rodata,"a",@progbits
	.p2align	6, 0x0
	.amdhsa_kernel _ZN5aiter20topk_softplus_kernelI12hip_bfloat166__halfDv2_fLb1ELi0EEEvPKT_PKT0_PfPimiiif
		.amdhsa_group_segment_fixed_size 0
		.amdhsa_private_segment_fixed_size 0
		.amdhsa_kernarg_size 312
		.amdhsa_user_sgpr_count 15
		.amdhsa_user_sgpr_dispatch_ptr 0
		.amdhsa_user_sgpr_queue_ptr 0
		.amdhsa_user_sgpr_kernarg_segment_ptr 1
		.amdhsa_user_sgpr_dispatch_id 0
		.amdhsa_user_sgpr_private_segment_size 0
		.amdhsa_wavefront_size32 1
		.amdhsa_uses_dynamic_stack 0
		.amdhsa_enable_private_segment 0
		.amdhsa_system_sgpr_workgroup_id_x 1
		.amdhsa_system_sgpr_workgroup_id_y 0
		.amdhsa_system_sgpr_workgroup_id_z 0
		.amdhsa_system_sgpr_workgroup_info 0
		.amdhsa_system_vgpr_workitem_id 0
		.amdhsa_next_free_vgpr 15
		.amdhsa_next_free_sgpr 23
		.amdhsa_reserve_vcc 1
		.amdhsa_float_round_mode_32 0
		.amdhsa_float_round_mode_16_64 0
		.amdhsa_float_denorm_mode_32 3
		.amdhsa_float_denorm_mode_16_64 3
		.amdhsa_dx10_clamp 1
		.amdhsa_ieee_mode 1
		.amdhsa_fp16_overflow 0
		.amdhsa_workgroup_processor_mode 1
		.amdhsa_memory_ordered 1
		.amdhsa_forward_progress 0
		.amdhsa_shared_vgpr_count 0
		.amdhsa_exception_fp_ieee_invalid_op 0
		.amdhsa_exception_fp_denorm_src 0
		.amdhsa_exception_fp_ieee_div_zero 0
		.amdhsa_exception_fp_ieee_overflow 0
		.amdhsa_exception_fp_ieee_underflow 0
		.amdhsa_exception_fp_ieee_inexact 0
		.amdhsa_exception_int_div_zero 0
	.end_amdhsa_kernel
	.section	.text._ZN5aiter20topk_softplus_kernelI12hip_bfloat166__halfDv2_fLb1ELi0EEEvPKT_PKT0_PfPimiiif,"axG",@progbits,_ZN5aiter20topk_softplus_kernelI12hip_bfloat166__halfDv2_fLb1ELi0EEEvPKT_PKT0_PfPimiiif,comdat
.Lfunc_end269:
	.size	_ZN5aiter20topk_softplus_kernelI12hip_bfloat166__halfDv2_fLb1ELi0EEEvPKT_PKT0_PfPimiiif, .Lfunc_end269-_ZN5aiter20topk_softplus_kernelI12hip_bfloat166__halfDv2_fLb1ELi0EEEvPKT_PKT0_PfPimiiif
                                        ; -- End function
	.section	.AMDGPU.csdata,"",@progbits
; Kernel info:
; codeLenInByte = 2264
; NumSgprs: 25
; NumVgprs: 15
; ScratchSize: 0
; MemoryBound: 0
; FloatMode: 240
; IeeeMode: 1
; LDSByteSize: 0 bytes/workgroup (compile time only)
; SGPRBlocks: 3
; VGPRBlocks: 1
; NumSGPRsForWavesPerEU: 25
; NumVGPRsForWavesPerEU: 15
; Occupancy: 16
; WaveLimiterHint : 0
; COMPUTE_PGM_RSRC2:SCRATCH_EN: 0
; COMPUTE_PGM_RSRC2:USER_SGPR: 15
; COMPUTE_PGM_RSRC2:TRAP_HANDLER: 0
; COMPUTE_PGM_RSRC2:TGID_X_EN: 1
; COMPUTE_PGM_RSRC2:TGID_Y_EN: 0
; COMPUTE_PGM_RSRC2:TGID_Z_EN: 0
; COMPUTE_PGM_RSRC2:TIDIG_COMP_CNT: 0
	.section	.text._ZN5aiter20topk_softplus_kernelI12hip_bfloat166__halfDv2_fLb0ELi0EEEvPKT_PKT0_PfPimiiif,"axG",@progbits,_ZN5aiter20topk_softplus_kernelI12hip_bfloat166__halfDv2_fLb0ELi0EEEvPKT_PKT0_PfPimiiif,comdat
	.protected	_ZN5aiter20topk_softplus_kernelI12hip_bfloat166__halfDv2_fLb0ELi0EEEvPKT_PKT0_PfPimiiif ; -- Begin function _ZN5aiter20topk_softplus_kernelI12hip_bfloat166__halfDv2_fLb0ELi0EEEvPKT_PKT0_PfPimiiif
	.globl	_ZN5aiter20topk_softplus_kernelI12hip_bfloat166__halfDv2_fLb0ELi0EEEvPKT_PKT0_PfPimiiif
	.p2align	8
	.type	_ZN5aiter20topk_softplus_kernelI12hip_bfloat166__halfDv2_fLb0ELi0EEEvPKT_PKT0_PfPimiiif,@function
_ZN5aiter20topk_softplus_kernelI12hip_bfloat166__halfDv2_fLb0ELi0EEEvPKT_PKT0_PfPimiiif: ; @_ZN5aiter20topk_softplus_kernelI12hip_bfloat166__halfDv2_fLb0ELi0EEEvPKT_PKT0_PfPimiiif
; %bb.0:
	s_clause 0x1
	s_load_b64 s[12:13], s[0:1], 0x28
	s_load_b256 s[4:11], s[0:1], 0x0
	v_lshl_add_u32 v4, v0, 3, 0
	s_waitcnt lgkmcnt(0)
	s_lshr_b32 s3, s12, 31
	s_mul_i32 s2, s15, s12
	s_add_i32 s14, s12, s3
	s_ashr_i32 s3, s2, 31
	s_ashr_i32 s14, s14, 1
	s_lshl_b64 s[16:17], s[2:3], 1
	v_cmp_gt_i32_e64 s2, s14, v0
	s_add_u32 s4, s4, s16
	s_addc_u32 s5, s5, s17
	s_delay_alu instid0(VALU_DEP_1)
	s_and_saveexec_b32 s16, s2
	s_cbranch_execz .LBB270_7
; %bb.1:
	s_load_b32 s3, s[0:1], 0x44
	s_cmp_lg_u64 s[6:7], 0
	v_lshlrev_b32_e32 v3, 2, v0
	v_mov_b32_e32 v5, 0
	v_lshl_add_u32 v6, v0, 3, 0
	v_mov_b32_e32 v7, v0
	s_cselect_b32 s17, -1, 0
	s_mov_b32 s19, 0
	s_waitcnt lgkmcnt(0)
	s_and_b32 s18, s3, 0xffff
	s_delay_alu instid0(SALU_CYCLE_1)
	s_lshl_b32 s20, s18, 2
	s_lshl_b32 s21, s18, 3
	s_branch .LBB270_3
.LBB270_2:                              ;   in Loop: Header=BB270_3 Depth=1
	v_add_nc_u32_e32 v7, s18, v7
	v_add_co_u32 v3, s3, v3, s20
	ds_store_b64 v6, v[1:2]
	v_add_co_ci_u32_e64 v5, s3, 0, v5, s3
	v_cmp_le_i32_e32 vcc_lo, s14, v7
	v_add_nc_u32_e32 v6, s21, v6
	s_or_b32 s19, vcc_lo, s19
	s_delay_alu instid0(SALU_CYCLE_1)
	s_and_not1_b32 exec_lo, exec_lo, s19
	s_cbranch_execz .LBB270_7
.LBB270_3:                              ; =>This Inner Loop Header: Depth=1
	v_add_co_u32 v1, vcc_lo, s4, v3
	v_add_co_ci_u32_e32 v2, vcc_lo, s5, v5, vcc_lo
	global_load_b32 v2, v[1:2], off
	s_waitcnt vmcnt(0)
	v_and_b32_e32 v1, 0xffff, v2
	s_delay_alu instid0(VALU_DEP_1) | instskip(NEXT) | instid1(VALU_DEP_1)
	v_cvt_f32_u32_e32 v1, v1
	v_mul_f32_e32 v8, 0x3fb8aa3b, v1
	s_delay_alu instid0(VALU_DEP_1) | instskip(SKIP_2) | instid1(VALU_DEP_2)
	v_cmp_gt_f32_e32 vcc_lo, 0xc2fc0000, v8
	v_cndmask_b32_e64 v8, 0, 0x42800000, vcc_lo
	v_cndmask_b32_e64 v9, 1.0, 0x1f800000, vcc_lo
	v_fmac_f32_e32 v8, 0x3fb8aa3b, v1
	s_delay_alu instid0(VALU_DEP_1) | instskip(SKIP_2) | instid1(VALU_DEP_1)
	v_exp_f32_e32 v8, v8
	s_waitcnt_depctr 0xfff
	v_fma_f32 v8, v8, v9, 1.0
	v_cmp_gt_f32_e32 vcc_lo, 0x800000, v8
	v_cndmask_b32_e64 v9, 1.0, 0x4f800000, vcc_lo
	s_delay_alu instid0(VALU_DEP_1) | instskip(SKIP_2) | instid1(VALU_DEP_3)
	v_mul_f32_e32 v8, v8, v9
	v_cndmask_b32_e64 v9, 0, 0x42000000, vcc_lo
	v_cmp_lt_u16_e32 vcc_lo, 20, v2
	v_log_f32_e32 v8, v8
	s_waitcnt_depctr 0xfff
	v_sub_f32_e32 v8, v8, v9
	s_delay_alu instid0(VALU_DEP_1) | instskip(NEXT) | instid1(VALU_DEP_1)
	v_mul_f32_e32 v8, 0x3f317218, v8
	v_cndmask_b32_e32 v1, v8, v1, vcc_lo
	s_delay_alu instid0(VALU_DEP_1) | instskip(SKIP_1) | instid1(VALU_DEP_2)
	v_mul_f32_e32 v8, 0x4f800000, v1
	v_cmp_gt_f32_e32 vcc_lo, 0xf800000, v1
	v_cndmask_b32_e32 v1, v1, v8, vcc_lo
	s_delay_alu instid0(VALU_DEP_1) | instskip(SKIP_3) | instid1(VALU_DEP_2)
	v_sqrt_f32_e32 v8, v1
	s_waitcnt_depctr 0xfff
	v_add_nc_u32_e32 v9, -1, v8
	v_add_nc_u32_e32 v10, 1, v8
	v_fma_f32 v11, -v9, v8, v1
	s_delay_alu instid0(VALU_DEP_2) | instskip(NEXT) | instid1(VALU_DEP_2)
	v_fma_f32 v12, -v10, v8, v1
	v_cmp_ge_f32_e64 s3, 0, v11
	s_delay_alu instid0(VALU_DEP_1) | instskip(NEXT) | instid1(VALU_DEP_3)
	v_cndmask_b32_e64 v8, v8, v9, s3
	v_cmp_lt_f32_e64 s3, 0, v12
	s_delay_alu instid0(VALU_DEP_1) | instskip(NEXT) | instid1(VALU_DEP_1)
	v_cndmask_b32_e64 v8, v8, v10, s3
	v_mul_f32_e32 v9, 0x37800000, v8
	s_delay_alu instid0(VALU_DEP_1) | instskip(SKIP_1) | instid1(VALU_DEP_2)
	v_cndmask_b32_e32 v8, v8, v9, vcc_lo
	v_cmp_class_f32_e64 vcc_lo, v1, 0x260
	v_cndmask_b32_e32 v1, v8, v1, vcc_lo
	s_and_not1_b32 vcc_lo, exec_lo, s17
	s_cbranch_vccnz .LBB270_5
; %bb.4:                                ;   in Loop: Header=BB270_3 Depth=1
	v_add_co_u32 v8, vcc_lo, s6, v3
	v_add_co_ci_u32_e32 v9, vcc_lo, s7, v5, vcc_lo
	global_load_u16 v8, v[8:9], off
	s_waitcnt vmcnt(0)
	v_cvt_f32_f16_e32 v8, v8
	s_delay_alu instid0(VALU_DEP_1)
	v_add_f32_e32 v1, v1, v8
.LBB270_5:                              ;   in Loop: Header=BB270_3 Depth=1
	v_lshrrev_b32_e32 v2, 16, v2
	s_delay_alu instid0(VALU_DEP_1) | instskip(NEXT) | instid1(VALU_DEP_1)
	v_cvt_f32_u32_e32 v8, v2
	v_mul_f32_e32 v9, 0x3fb8aa3b, v8
	s_delay_alu instid0(VALU_DEP_1) | instskip(SKIP_2) | instid1(VALU_DEP_2)
	v_cmp_gt_f32_e32 vcc_lo, 0xc2fc0000, v9
	v_cndmask_b32_e64 v9, 0, 0x42800000, vcc_lo
	v_cndmask_b32_e64 v10, 1.0, 0x1f800000, vcc_lo
	v_fmac_f32_e32 v9, 0x3fb8aa3b, v8
	s_delay_alu instid0(VALU_DEP_1) | instskip(SKIP_2) | instid1(VALU_DEP_1)
	v_exp_f32_e32 v9, v9
	s_waitcnt_depctr 0xfff
	v_fma_f32 v9, v9, v10, 1.0
	v_cmp_gt_f32_e32 vcc_lo, 0x800000, v9
	v_cndmask_b32_e64 v10, 1.0, 0x4f800000, vcc_lo
	s_delay_alu instid0(VALU_DEP_1) | instskip(SKIP_2) | instid1(VALU_DEP_3)
	v_mul_f32_e32 v9, v9, v10
	v_cndmask_b32_e64 v10, 0, 0x42000000, vcc_lo
	v_cmp_lt_u16_e32 vcc_lo, 20, v2
	v_log_f32_e32 v9, v9
	s_waitcnt_depctr 0xfff
	v_sub_f32_e32 v9, v9, v10
	s_delay_alu instid0(VALU_DEP_1) | instskip(NEXT) | instid1(VALU_DEP_1)
	v_mul_f32_e32 v9, 0x3f317218, v9
	v_cndmask_b32_e32 v2, v9, v8, vcc_lo
	s_delay_alu instid0(VALU_DEP_1) | instskip(SKIP_1) | instid1(VALU_DEP_2)
	v_mul_f32_e32 v8, 0x4f800000, v2
	v_cmp_gt_f32_e32 vcc_lo, 0xf800000, v2
	v_cndmask_b32_e32 v2, v2, v8, vcc_lo
	s_delay_alu instid0(VALU_DEP_1) | instskip(SKIP_3) | instid1(VALU_DEP_2)
	v_sqrt_f32_e32 v8, v2
	s_waitcnt_depctr 0xfff
	v_add_nc_u32_e32 v10, 1, v8
	v_add_nc_u32_e32 v9, -1, v8
	v_fma_f32 v12, -v10, v8, v2
	s_delay_alu instid0(VALU_DEP_2) | instskip(NEXT) | instid1(VALU_DEP_1)
	v_fma_f32 v11, -v9, v8, v2
	v_cmp_ge_f32_e64 s3, 0, v11
	s_delay_alu instid0(VALU_DEP_1) | instskip(NEXT) | instid1(VALU_DEP_4)
	v_cndmask_b32_e64 v8, v8, v9, s3
	v_cmp_lt_f32_e64 s3, 0, v12
	s_delay_alu instid0(VALU_DEP_1) | instskip(NEXT) | instid1(VALU_DEP_1)
	v_cndmask_b32_e64 v8, v8, v10, s3
	v_mul_f32_e32 v9, 0x37800000, v8
	s_delay_alu instid0(VALU_DEP_1) | instskip(SKIP_1) | instid1(VALU_DEP_2)
	v_cndmask_b32_e32 v8, v8, v9, vcc_lo
	v_cmp_class_f32_e64 vcc_lo, v2, 0x260
	v_cndmask_b32_e32 v2, v8, v2, vcc_lo
	s_and_not1_b32 vcc_lo, exec_lo, s17
	s_cbranch_vccnz .LBB270_2
; %bb.6:                                ;   in Loop: Header=BB270_3 Depth=1
	v_add_co_u32 v8, vcc_lo, s6, v3
	v_add_co_ci_u32_e32 v9, vcc_lo, s7, v5, vcc_lo
	global_load_u16 v8, v[8:9], off offset:2
	s_waitcnt vmcnt(0)
	v_cvt_f32_f16_e32 v8, v8
	s_delay_alu instid0(VALU_DEP_1)
	v_add_f32_e32 v2, v2, v8
	s_branch .LBB270_2
.LBB270_7:
	s_or_b32 exec_lo, exec_lo, s16
	v_lshl_add_u32 v1, s14, 1, v0
	s_mov_b32 s16, exec_lo
	s_delay_alu instid0(VALU_DEP_1)
	v_cmpx_gt_i32_e64 s12, v1
	s_cbranch_execz .LBB270_12
; %bb.8:
	s_load_b32 s3, s[0:1], 0x44
	v_lshlrev_b32_e32 v2, 2, v0
	s_cmp_lg_u64 s[6:7], 0
	s_mov_b32 s19, 0
	s_cselect_b32 s17, -1, 0
	s_lshl_b32 s18, s14, 3
	s_delay_alu instid0(SALU_CYCLE_1) | instskip(SKIP_2) | instid1(SALU_CYCLE_1)
	v_add3_u32 v5, 0, s18, v2
	s_waitcnt lgkmcnt(0)
	s_and_b32 s18, s3, 0xffff
	s_lshl_b32 s20, s18, 2
	s_branch .LBB270_10
.LBB270_9:                              ;   in Loop: Header=BB270_10 Depth=1
	v_add_nc_u32_e32 v1, s18, v1
	v_add_nc_u32_e32 v5, s20, v5
	s_delay_alu instid0(VALU_DEP_2) | instskip(SKIP_1) | instid1(SALU_CYCLE_1)
	v_cmp_le_i32_e32 vcc_lo, s12, v1
	s_or_b32 s19, vcc_lo, s19
	s_and_not1_b32 exec_lo, exec_lo, s19
	s_cbranch_execz .LBB270_12
.LBB270_10:                             ; =>This Inner Loop Header: Depth=1
	v_ashrrev_i32_e32 v2, 31, v1
	s_delay_alu instid0(VALU_DEP_1) | instskip(NEXT) | instid1(VALU_DEP_1)
	v_lshlrev_b64 v[2:3], 1, v[1:2]
	v_add_co_u32 v6, vcc_lo, s4, v2
	s_delay_alu instid0(VALU_DEP_2) | instskip(SKIP_3) | instid1(VALU_DEP_1)
	v_add_co_ci_u32_e32 v7, vcc_lo, s5, v3, vcc_lo
	global_load_u16 v6, v[6:7], off
	s_waitcnt vmcnt(0)
	v_lshlrev_b32_e32 v6, 16, v6
	v_mul_f32_e32 v7, 0x3fb8aa3b, v6
	s_delay_alu instid0(VALU_DEP_1) | instskip(SKIP_2) | instid1(VALU_DEP_2)
	v_cmp_gt_f32_e32 vcc_lo, 0xc2fc0000, v7
	v_cndmask_b32_e64 v7, 0, 0x42800000, vcc_lo
	v_cndmask_b32_e64 v8, 1.0, 0x1f800000, vcc_lo
	v_fmac_f32_e32 v7, 0x3fb8aa3b, v6
	s_delay_alu instid0(VALU_DEP_1) | instskip(SKIP_2) | instid1(VALU_DEP_1)
	v_exp_f32_e32 v7, v7
	s_waitcnt_depctr 0xfff
	v_fma_f32 v7, v7, v8, 1.0
	v_cmp_gt_f32_e32 vcc_lo, 0x800000, v7
	v_cndmask_b32_e64 v8, 1.0, 0x4f800000, vcc_lo
	s_delay_alu instid0(VALU_DEP_1) | instskip(SKIP_2) | instid1(VALU_DEP_3)
	v_mul_f32_e32 v7, v7, v8
	v_cndmask_b32_e64 v8, 0, 0x42000000, vcc_lo
	v_cmp_lt_f32_e32 vcc_lo, 0x41a00000, v6
	v_log_f32_e32 v7, v7
	s_waitcnt_depctr 0xfff
	v_sub_f32_e32 v7, v7, v8
	s_delay_alu instid0(VALU_DEP_1) | instskip(NEXT) | instid1(VALU_DEP_1)
	v_mul_f32_e32 v7, 0x3f317218, v7
	v_cndmask_b32_e32 v6, v7, v6, vcc_lo
	s_delay_alu instid0(VALU_DEP_1) | instskip(SKIP_1) | instid1(VALU_DEP_2)
	v_mul_f32_e32 v7, 0x4f800000, v6
	v_cmp_gt_f32_e32 vcc_lo, 0xf800000, v6
	v_cndmask_b32_e32 v6, v6, v7, vcc_lo
	s_delay_alu instid0(VALU_DEP_1) | instskip(SKIP_3) | instid1(VALU_DEP_2)
	v_sqrt_f32_e32 v7, v6
	s_waitcnt_depctr 0xfff
	v_add_nc_u32_e32 v8, -1, v7
	v_add_nc_u32_e32 v9, 1, v7
	v_fma_f32 v10, -v8, v7, v6
	s_delay_alu instid0(VALU_DEP_2) | instskip(NEXT) | instid1(VALU_DEP_2)
	v_fma_f32 v11, -v9, v7, v6
	v_cmp_ge_f32_e64 s3, 0, v10
	s_delay_alu instid0(VALU_DEP_1) | instskip(NEXT) | instid1(VALU_DEP_3)
	v_cndmask_b32_e64 v7, v7, v8, s3
	v_cmp_lt_f32_e64 s3, 0, v11
	s_delay_alu instid0(VALU_DEP_1) | instskip(NEXT) | instid1(VALU_DEP_1)
	v_cndmask_b32_e64 v7, v7, v9, s3
	v_mul_f32_e32 v8, 0x37800000, v7
	s_delay_alu instid0(VALU_DEP_1) | instskip(SKIP_1) | instid1(VALU_DEP_2)
	v_cndmask_b32_e32 v7, v7, v8, vcc_lo
	v_cmp_class_f32_e64 vcc_lo, v6, 0x260
	v_cndmask_b32_e32 v6, v7, v6, vcc_lo
	s_and_not1_b32 vcc_lo, exec_lo, s17
	ds_store_b32 v5, v6
	s_cbranch_vccnz .LBB270_9
; %bb.11:                               ;   in Loop: Header=BB270_10 Depth=1
	v_add_co_u32 v2, vcc_lo, s6, v2
	v_add_co_ci_u32_e32 v3, vcc_lo, s7, v3, vcc_lo
	global_load_u16 v2, v[2:3], off
	s_waitcnt vmcnt(0)
	v_cvt_f32_f16_e32 v2, v2
	s_delay_alu instid0(VALU_DEP_1)
	v_add_f32_e32 v2, v6, v2
	ds_store_b32 v5, v2
	s_branch .LBB270_9
.LBB270_12:
	s_or_b32 exec_lo, exec_lo, s16
	s_cmp_lt_i32 s13, 1
	s_waitcnt lgkmcnt(0)
	s_barrier
	buffer_gl0_inv
	s_cbranch_scc1 .LBB270_21
; %bb.13:
	s_add_u32 s4, s0, 56
	s_addc_u32 s5, s1, 0
	v_dual_mov_b32 v6, 0xff800000 :: v_dual_lshlrev_b32 v3, 1, v0
	v_dual_mov_b32 v5, 0 :: v_dual_mov_b32 v2, 0
	v_mov_b32_e32 v1, 0
	s_cmp_lg_u64 s[6:7], 0
	s_mov_b32 s18, 0
	s_cselect_b32 s12, -1, 0
	s_mov_b32 s19, 0x76543210
	s_branch .LBB270_15
.LBB270_14:                             ;   in Loop: Header=BB270_15 Depth=1
	v_cmp_eq_u32_e32 vcc_lo, s18, v0
	s_delay_alu instid0(VALU_DEP_2)
	s_lshl_b32 s3, s16, 2
	s_add_i32 s18, s18, 1
	s_add_i32 s3, s3, 0
	s_cmp_eq_u32 s18, s13
	v_cndmask_b32_e64 v1, v1, s16, vcc_lo
	v_dual_mov_b32 v7, s3 :: v_dual_cndmask_b32 v2, v2, v9
	ds_store_b32 v7, v6
	s_cbranch_scc1 .LBB270_22
.LBB270_15:                             ; =>This Loop Header: Depth=1
                                        ;     Child Loop BB270_17 Depth 2
	v_dual_mov_b32 v7, s18 :: v_dual_mov_b32 v8, 0xff800000
	s_and_saveexec_b32 s16, s2
	s_cbranch_execz .LBB270_19
; %bb.16:                               ;   in Loop: Header=BB270_15 Depth=1
	s_load_b32 s3, s[4:5], 0xc
	v_dual_mov_b32 v7, s18 :: v_dual_mov_b32 v8, 0xff800000
	v_dual_mov_b32 v9, v4 :: v_dual_mov_b32 v10, v3
	v_mov_b32_e32 v11, v0
	s_mov_b32 s21, 0
	s_waitcnt lgkmcnt(0)
	s_and_b32 s17, s3, 0xffff
	s_delay_alu instid0(SALU_CYCLE_1)
	s_lshl_b32 s20, s17, 1
	s_lshl_b32 s22, s17, 3
	.p2align	6
.LBB270_17:                             ;   Parent Loop BB270_15 Depth=1
                                        ; =>  This Inner Loop Header: Depth=2
	ds_load_b64 v[12:13], v9
	v_add_nc_u32_e32 v9, s22, v9
	v_add_nc_u32_e32 v11, s17, v11
	s_delay_alu instid0(VALU_DEP_1) | instskip(NEXT) | instid1(VALU_DEP_1)
	v_cmp_le_i32_e64 s3, s14, v11
	s_or_b32 s21, s3, s21
	s_waitcnt lgkmcnt(0)
	v_cmp_gt_f32_e32 vcc_lo, v12, v8
	v_cndmask_b32_e32 v8, v8, v12, vcc_lo
	v_add_nc_u32_e32 v12, 1, v10
	v_cndmask_b32_e32 v7, v7, v10, vcc_lo
	s_delay_alu instid0(VALU_DEP_3) | instskip(SKIP_1) | instid1(VALU_DEP_3)
	v_cmp_gt_f32_e32 vcc_lo, v13, v8
	v_cndmask_b32_e32 v8, v8, v13, vcc_lo
	v_dual_cndmask_b32 v7, v7, v12 :: v_dual_add_nc_u32 v10, s20, v10
	s_and_not1_b32 exec_lo, exec_lo, s21
	s_cbranch_execnz .LBB270_17
; %bb.18:                               ;   in Loop: Header=BB270_15 Depth=1
	s_or_b32 exec_lo, exec_lo, s21
.LBB270_19:                             ;   in Loop: Header=BB270_15 Depth=1
	s_delay_alu instid0(SALU_CYCLE_1)
	s_or_b32 exec_lo, exec_lo, s16
	;;#ASMSTART
	v_max_f32 v9, v8, v8 quad_perm:[1,0,3,2] row_mask:0xf bank_mask:0xf bound_ctrl:1
	;;#ASMEND
	;;#ASMSTART
	v_max_f32 v10, v9, v9 quad_perm:[2,3,0,1] row_mask:0xf bank_mask:0xf bound_ctrl:1
	;;#ASMEND
	;;#ASMSTART
	v_max_f32 v9, v10, v10 row_half_mirror row_mask:0xf bank_mask:0xf bound_ctrl:1
	;;#ASMEND
	;;#ASMSTART
	v_max_f32 v10, v9, v9 row_mirror row_mask:0xf bank_mask:0xf bound_ctrl:1
	;;#ASMEND
	v_permlanex16_b32 v9, v10, s19, 0xfedcba98 op_sel:[1,1]
	s_delay_alu instid0(VALU_DEP_1) | instskip(NEXT) | instid1(VALU_DEP_1)
	v_dual_max_f32 v10, v10, v10 :: v_dual_max_f32 v9, v9, v9
	v_max_f32_e32 v9, v10, v9
	s_delay_alu instid0(VALU_DEP_1)
	v_cmp_eq_f32_e32 vcc_lo, v8, v9
	s_ctz_i32_b32 s3, vcc_lo
	s_cmp_lg_u32 vcc_lo, 0
	s_cselect_b32 s3, s3, 0
	s_and_b32 vcc_lo, exec_lo, s12
	v_readlane_b32 s16, v7, s3
	s_cbranch_vccz .LBB270_14
; %bb.20:                               ;   in Loop: Header=BB270_15 Depth=1
	s_delay_alu instid0(VALU_DEP_1) | instskip(NEXT) | instid1(SALU_CYCLE_1)
	s_ashr_i32 s17, s16, 31
	s_lshl_b64 s[20:21], s[16:17], 1
	s_delay_alu instid0(SALU_CYCLE_1) | instskip(SKIP_4) | instid1(VALU_DEP_1)
	s_add_u32 s20, s6, s20
	s_addc_u32 s21, s7, s21
	global_load_u16 v7, v5, s[20:21]
	s_waitcnt vmcnt(0)
	v_cvt_f32_f16_e32 v7, v7
	v_sub_f32_e32 v9, v9, v7
	s_branch .LBB270_14
.LBB270_21:
	v_dual_mov_b32 v2, 0 :: v_dual_mov_b32 v1, 0
.LBB270_22:
	s_mov_b32 s2, exec_lo
	v_cmpx_gt_i32_e64 s13, v0
	s_cbranch_execz .LBB270_25
; %bb.23:
	s_clause 0x2
	s_load_b32 s4, s[0:1], 0x34
	s_load_b64 s[2:3], s[0:1], 0x20
	s_load_b32 s0, s[0:1], 0x44
	s_ashr_i32 s1, s15, 31
	s_waitcnt lgkmcnt(0)
	v_mul_f32_e32 v2, s4, v2
	s_mul_i32 s3, s15, s3
	s_mul_hi_u32 s4, s15, s2
	s_mul_i32 s5, s1, s2
	s_add_i32 s3, s4, s3
	s_mul_i32 s1, s15, s2
	s_and_b32 s2, s0, 0xffff
	s_add_i32 s3, s3, s5
	s_mov_b32 s4, 0
	.p2align	6
.LBB270_24:                             ; =>This Inner Loop Header: Depth=1
	v_ashrrev_i32_e32 v4, 31, v0
	v_add_co_u32 v3, vcc_lo, s1, v0
	v_add_nc_u32_e32 v0, s2, v0
	s_delay_alu instid0(VALU_DEP_3) | instskip(NEXT) | instid1(VALU_DEP_2)
	v_add_co_ci_u32_e32 v4, vcc_lo, s3, v4, vcc_lo
	v_cmp_le_i32_e32 vcc_lo, s13, v0
	s_delay_alu instid0(VALU_DEP_2) | instskip(SKIP_1) | instid1(VALU_DEP_1)
	v_lshlrev_b64 v[3:4], 2, v[3:4]
	s_or_b32 s4, vcc_lo, s4
	v_add_co_u32 v5, s0, s8, v3
	s_delay_alu instid0(VALU_DEP_1) | instskip(SKIP_1) | instid1(VALU_DEP_1)
	v_add_co_ci_u32_e64 v6, s0, s9, v4, s0
	v_add_co_u32 v3, s0, s10, v3
	v_add_co_ci_u32_e64 v4, s0, s11, v4, s0
	global_store_b32 v[5:6], v2, off
	global_store_b32 v[3:4], v1, off
	s_and_not1_b32 exec_lo, exec_lo, s4
	s_cbranch_execnz .LBB270_24
.LBB270_25:
	s_nop 0
	s_sendmsg sendmsg(MSG_DEALLOC_VGPRS)
	s_endpgm
	.section	.rodata,"a",@progbits
	.p2align	6, 0x0
	.amdhsa_kernel _ZN5aiter20topk_softplus_kernelI12hip_bfloat166__halfDv2_fLb0ELi0EEEvPKT_PKT0_PfPimiiif
		.amdhsa_group_segment_fixed_size 0
		.amdhsa_private_segment_fixed_size 0
		.amdhsa_kernarg_size 312
		.amdhsa_user_sgpr_count 15
		.amdhsa_user_sgpr_dispatch_ptr 0
		.amdhsa_user_sgpr_queue_ptr 0
		.amdhsa_user_sgpr_kernarg_segment_ptr 1
		.amdhsa_user_sgpr_dispatch_id 0
		.amdhsa_user_sgpr_private_segment_size 0
		.amdhsa_wavefront_size32 1
		.amdhsa_uses_dynamic_stack 0
		.amdhsa_enable_private_segment 0
		.amdhsa_system_sgpr_workgroup_id_x 1
		.amdhsa_system_sgpr_workgroup_id_y 0
		.amdhsa_system_sgpr_workgroup_id_z 0
		.amdhsa_system_sgpr_workgroup_info 0
		.amdhsa_system_vgpr_workitem_id 0
		.amdhsa_next_free_vgpr 14
		.amdhsa_next_free_sgpr 23
		.amdhsa_reserve_vcc 1
		.amdhsa_float_round_mode_32 0
		.amdhsa_float_round_mode_16_64 0
		.amdhsa_float_denorm_mode_32 3
		.amdhsa_float_denorm_mode_16_64 3
		.amdhsa_dx10_clamp 1
		.amdhsa_ieee_mode 1
		.amdhsa_fp16_overflow 0
		.amdhsa_workgroup_processor_mode 1
		.amdhsa_memory_ordered 1
		.amdhsa_forward_progress 0
		.amdhsa_shared_vgpr_count 0
		.amdhsa_exception_fp_ieee_invalid_op 0
		.amdhsa_exception_fp_denorm_src 0
		.amdhsa_exception_fp_ieee_div_zero 0
		.amdhsa_exception_fp_ieee_overflow 0
		.amdhsa_exception_fp_ieee_underflow 0
		.amdhsa_exception_fp_ieee_inexact 0
		.amdhsa_exception_int_div_zero 0
	.end_amdhsa_kernel
	.section	.text._ZN5aiter20topk_softplus_kernelI12hip_bfloat166__halfDv2_fLb0ELi0EEEvPKT_PKT0_PfPimiiif,"axG",@progbits,_ZN5aiter20topk_softplus_kernelI12hip_bfloat166__halfDv2_fLb0ELi0EEEvPKT_PKT0_PfPimiiif,comdat
.Lfunc_end270:
	.size	_ZN5aiter20topk_softplus_kernelI12hip_bfloat166__halfDv2_fLb0ELi0EEEvPKT_PKT0_PfPimiiif, .Lfunc_end270-_ZN5aiter20topk_softplus_kernelI12hip_bfloat166__halfDv2_fLb0ELi0EEEvPKT_PKT0_PfPimiiif
                                        ; -- End function
	.section	.AMDGPU.csdata,"",@progbits
; Kernel info:
; codeLenInByte = 2140
; NumSgprs: 25
; NumVgprs: 14
; ScratchSize: 0
; MemoryBound: 0
; FloatMode: 240
; IeeeMode: 1
; LDSByteSize: 0 bytes/workgroup (compile time only)
; SGPRBlocks: 3
; VGPRBlocks: 1
; NumSGPRsForWavesPerEU: 25
; NumVGPRsForWavesPerEU: 14
; Occupancy: 16
; WaveLimiterHint : 0
; COMPUTE_PGM_RSRC2:SCRATCH_EN: 0
; COMPUTE_PGM_RSRC2:USER_SGPR: 15
; COMPUTE_PGM_RSRC2:TRAP_HANDLER: 0
; COMPUTE_PGM_RSRC2:TGID_X_EN: 1
; COMPUTE_PGM_RSRC2:TGID_Y_EN: 0
; COMPUTE_PGM_RSRC2:TGID_Z_EN: 0
; COMPUTE_PGM_RSRC2:TIDIG_COMP_CNT: 0
	.section	.text._ZN5aiter20topk_softplus_kernelI12hip_bfloat166__halfDv1_fLb1ELi0EEEvPKT_PKT0_PfPimiiif,"axG",@progbits,_ZN5aiter20topk_softplus_kernelI12hip_bfloat166__halfDv1_fLb1ELi0EEEvPKT_PKT0_PfPimiiif,comdat
	.protected	_ZN5aiter20topk_softplus_kernelI12hip_bfloat166__halfDv1_fLb1ELi0EEEvPKT_PKT0_PfPimiiif ; -- Begin function _ZN5aiter20topk_softplus_kernelI12hip_bfloat166__halfDv1_fLb1ELi0EEEvPKT_PKT0_PfPimiiif
	.globl	_ZN5aiter20topk_softplus_kernelI12hip_bfloat166__halfDv1_fLb1ELi0EEEvPKT_PKT0_PfPimiiif
	.p2align	8
	.type	_ZN5aiter20topk_softplus_kernelI12hip_bfloat166__halfDv1_fLb1ELi0EEEvPKT_PKT0_PfPimiiif,@function
_ZN5aiter20topk_softplus_kernelI12hip_bfloat166__halfDv1_fLb1ELi0EEEvPKT_PKT0_PfPimiiif: ; @_ZN5aiter20topk_softplus_kernelI12hip_bfloat166__halfDv1_fLb1ELi0EEEvPKT_PKT0_PfPimiiif
; %bb.0:
	s_clause 0x1
	s_load_b64 s[12:13], s[0:1], 0x28
	s_load_b256 s[4:11], s[0:1], 0x0
	v_lshl_add_u32 v4, v0, 2, 0
	s_waitcnt lgkmcnt(0)
	s_mul_i32 s16, s15, s12
	v_cmp_gt_i32_e64 s2, s12, v0
	s_ashr_i32 s17, s16, 31
	s_delay_alu instid0(SALU_CYCLE_1) | instskip(NEXT) | instid1(SALU_CYCLE_1)
	s_lshl_b64 s[16:17], s[16:17], 1
	s_add_u32 s4, s4, s16
	s_addc_u32 s5, s5, s17
	s_and_saveexec_b32 s14, s2
	s_cbranch_execz .LBB271_5
; %bb.1:
	s_load_b32 s3, s[0:1], 0x44
	s_cmp_lg_u64 s[6:7], 0
	v_lshl_add_u32 v5, v0, 2, 0
	v_mov_b32_e32 v1, v0
	s_cselect_b32 s16, -1, 0
	s_mov_b32 s18, 0
	s_waitcnt lgkmcnt(0)
	s_and_b32 s17, s3, 0xffff
	s_delay_alu instid0(SALU_CYCLE_1)
	s_lshl_b32 s19, s17, 2
	s_branch .LBB271_3
.LBB271_2:                              ;   in Loop: Header=BB271_3 Depth=1
	v_add_nc_u32_e32 v1, s17, v1
	ds_store_b32 v5, v6
	v_add_nc_u32_e32 v5, s19, v5
	v_cmp_le_i32_e32 vcc_lo, s12, v1
	s_or_b32 s18, vcc_lo, s18
	s_delay_alu instid0(SALU_CYCLE_1)
	s_and_not1_b32 exec_lo, exec_lo, s18
	s_cbranch_execz .LBB271_5
.LBB271_3:                              ; =>This Inner Loop Header: Depth=1
	v_ashrrev_i32_e32 v2, 31, v1
	s_delay_alu instid0(VALU_DEP_1) | instskip(NEXT) | instid1(VALU_DEP_1)
	v_lshlrev_b64 v[2:3], 1, v[1:2]
	v_add_co_u32 v6, vcc_lo, s4, v2
	s_delay_alu instid0(VALU_DEP_2) | instskip(SKIP_3) | instid1(VALU_DEP_1)
	v_add_co_ci_u32_e32 v7, vcc_lo, s5, v3, vcc_lo
	global_load_u16 v6, v[6:7], off
	s_waitcnt vmcnt(0)
	v_cvt_f32_u32_e32 v7, v6
	v_mul_f32_e32 v8, 0x3fb8aa3b, v7
	s_delay_alu instid0(VALU_DEP_1) | instskip(SKIP_2) | instid1(VALU_DEP_2)
	v_cmp_gt_f32_e32 vcc_lo, 0xc2fc0000, v8
	v_cndmask_b32_e64 v8, 0, 0x42800000, vcc_lo
	v_cndmask_b32_e64 v9, 1.0, 0x1f800000, vcc_lo
	v_fmac_f32_e32 v8, 0x3fb8aa3b, v7
	s_delay_alu instid0(VALU_DEP_1) | instskip(SKIP_2) | instid1(VALU_DEP_1)
	v_exp_f32_e32 v8, v8
	s_waitcnt_depctr 0xfff
	v_fma_f32 v8, v8, v9, 1.0
	v_cmp_gt_f32_e32 vcc_lo, 0x800000, v8
	v_cndmask_b32_e64 v9, 1.0, 0x4f800000, vcc_lo
	s_delay_alu instid0(VALU_DEP_1) | instskip(SKIP_2) | instid1(VALU_DEP_3)
	v_mul_f32_e32 v8, v8, v9
	v_cndmask_b32_e64 v9, 0, 0x42000000, vcc_lo
	v_cmp_lt_u32_e32 vcc_lo, 20, v6
	v_log_f32_e32 v8, v8
	s_waitcnt_depctr 0xfff
	v_sub_f32_e32 v8, v8, v9
	s_delay_alu instid0(VALU_DEP_1) | instskip(NEXT) | instid1(VALU_DEP_1)
	v_mul_f32_e32 v8, 0x3f317218, v8
	v_cndmask_b32_e32 v6, v8, v7, vcc_lo
	s_delay_alu instid0(VALU_DEP_1) | instskip(SKIP_1) | instid1(VALU_DEP_2)
	v_mul_f32_e32 v7, 0x4f800000, v6
	v_cmp_gt_f32_e32 vcc_lo, 0xf800000, v6
	v_cndmask_b32_e32 v6, v6, v7, vcc_lo
	s_delay_alu instid0(VALU_DEP_1) | instskip(SKIP_3) | instid1(VALU_DEP_2)
	v_sqrt_f32_e32 v7, v6
	s_waitcnt_depctr 0xfff
	v_add_nc_u32_e32 v8, -1, v7
	v_add_nc_u32_e32 v9, 1, v7
	v_fma_f32 v10, -v8, v7, v6
	s_delay_alu instid0(VALU_DEP_2) | instskip(NEXT) | instid1(VALU_DEP_2)
	v_fma_f32 v11, -v9, v7, v6
	v_cmp_ge_f32_e64 s3, 0, v10
	s_delay_alu instid0(VALU_DEP_1) | instskip(NEXT) | instid1(VALU_DEP_3)
	v_cndmask_b32_e64 v7, v7, v8, s3
	v_cmp_lt_f32_e64 s3, 0, v11
	s_delay_alu instid0(VALU_DEP_1) | instskip(NEXT) | instid1(VALU_DEP_1)
	v_cndmask_b32_e64 v7, v7, v9, s3
	v_mul_f32_e32 v8, 0x37800000, v7
	s_delay_alu instid0(VALU_DEP_1) | instskip(SKIP_1) | instid1(VALU_DEP_2)
	v_cndmask_b32_e32 v7, v7, v8, vcc_lo
	v_cmp_class_f32_e64 vcc_lo, v6, 0x260
	v_cndmask_b32_e32 v6, v7, v6, vcc_lo
	s_and_not1_b32 vcc_lo, exec_lo, s16
	s_cbranch_vccnz .LBB271_2
; %bb.4:                                ;   in Loop: Header=BB271_3 Depth=1
	v_add_co_u32 v2, vcc_lo, s6, v2
	v_add_co_ci_u32_e32 v3, vcc_lo, s7, v3, vcc_lo
	global_load_u16 v2, v[2:3], off
	s_waitcnt vmcnt(0)
	v_cvt_f32_f16_e32 v2, v2
	s_delay_alu instid0(VALU_DEP_1)
	v_add_f32_e32 v6, v6, v2
	s_branch .LBB271_2
.LBB271_5:
	s_or_b32 exec_lo, exec_lo, s14
	v_add_nc_u32_e32 v1, s12, v0
	s_mov_b32 s14, exec_lo
	s_delay_alu instid0(VALU_DEP_1)
	v_cmpx_gt_i32_e64 s12, v1
	s_cbranch_execz .LBB271_10
; %bb.6:
	s_load_b32 s3, s[0:1], 0x44
	s_cmp_lg_u64 s[6:7], 0
	v_lshl_add_u32 v5, v1, 2, 0
	s_cselect_b32 s16, -1, 0
	s_mov_b32 s18, 0
	s_waitcnt lgkmcnt(0)
	s_and_b32 s17, s3, 0xffff
	s_delay_alu instid0(SALU_CYCLE_1)
	s_lshl_b32 s19, s17, 2
	s_branch .LBB271_8
.LBB271_7:                              ;   in Loop: Header=BB271_8 Depth=1
	v_add_nc_u32_e32 v1, s17, v1
	v_add_nc_u32_e32 v5, s19, v5
	s_delay_alu instid0(VALU_DEP_2) | instskip(SKIP_1) | instid1(SALU_CYCLE_1)
	v_cmp_le_i32_e32 vcc_lo, s12, v1
	s_or_b32 s18, vcc_lo, s18
	s_and_not1_b32 exec_lo, exec_lo, s18
	s_cbranch_execz .LBB271_10
.LBB271_8:                              ; =>This Inner Loop Header: Depth=1
	v_ashrrev_i32_e32 v2, 31, v1
	s_delay_alu instid0(VALU_DEP_1) | instskip(NEXT) | instid1(VALU_DEP_1)
	v_lshlrev_b64 v[2:3], 1, v[1:2]
	v_add_co_u32 v6, vcc_lo, s4, v2
	s_delay_alu instid0(VALU_DEP_2) | instskip(SKIP_3) | instid1(VALU_DEP_1)
	v_add_co_ci_u32_e32 v7, vcc_lo, s5, v3, vcc_lo
	global_load_u16 v6, v[6:7], off
	s_waitcnt vmcnt(0)
	v_lshlrev_b32_e32 v6, 16, v6
	v_mul_f32_e32 v7, 0x3fb8aa3b, v6
	s_delay_alu instid0(VALU_DEP_1) | instskip(SKIP_2) | instid1(VALU_DEP_2)
	v_cmp_gt_f32_e32 vcc_lo, 0xc2fc0000, v7
	v_cndmask_b32_e64 v7, 0, 0x42800000, vcc_lo
	v_cndmask_b32_e64 v8, 1.0, 0x1f800000, vcc_lo
	v_fmac_f32_e32 v7, 0x3fb8aa3b, v6
	s_delay_alu instid0(VALU_DEP_1) | instskip(SKIP_2) | instid1(VALU_DEP_1)
	v_exp_f32_e32 v7, v7
	s_waitcnt_depctr 0xfff
	v_fma_f32 v7, v7, v8, 1.0
	v_cmp_gt_f32_e32 vcc_lo, 0x800000, v7
	v_cndmask_b32_e64 v8, 1.0, 0x4f800000, vcc_lo
	s_delay_alu instid0(VALU_DEP_1) | instskip(SKIP_2) | instid1(VALU_DEP_3)
	v_mul_f32_e32 v7, v7, v8
	v_cndmask_b32_e64 v8, 0, 0x42000000, vcc_lo
	v_cmp_lt_f32_e32 vcc_lo, 0x41a00000, v6
	v_log_f32_e32 v7, v7
	s_waitcnt_depctr 0xfff
	v_sub_f32_e32 v7, v7, v8
	s_delay_alu instid0(VALU_DEP_1) | instskip(NEXT) | instid1(VALU_DEP_1)
	v_mul_f32_e32 v7, 0x3f317218, v7
	v_cndmask_b32_e32 v6, v7, v6, vcc_lo
	s_delay_alu instid0(VALU_DEP_1) | instskip(SKIP_1) | instid1(VALU_DEP_2)
	v_mul_f32_e32 v7, 0x4f800000, v6
	v_cmp_gt_f32_e32 vcc_lo, 0xf800000, v6
	v_cndmask_b32_e32 v6, v6, v7, vcc_lo
	s_delay_alu instid0(VALU_DEP_1) | instskip(SKIP_3) | instid1(VALU_DEP_2)
	v_sqrt_f32_e32 v7, v6
	s_waitcnt_depctr 0xfff
	v_add_nc_u32_e32 v8, -1, v7
	v_add_nc_u32_e32 v9, 1, v7
	v_fma_f32 v10, -v8, v7, v6
	s_delay_alu instid0(VALU_DEP_2) | instskip(NEXT) | instid1(VALU_DEP_2)
	v_fma_f32 v11, -v9, v7, v6
	v_cmp_ge_f32_e64 s3, 0, v10
	s_delay_alu instid0(VALU_DEP_1) | instskip(NEXT) | instid1(VALU_DEP_3)
	v_cndmask_b32_e64 v7, v7, v8, s3
	v_cmp_lt_f32_e64 s3, 0, v11
	s_delay_alu instid0(VALU_DEP_1) | instskip(NEXT) | instid1(VALU_DEP_1)
	v_cndmask_b32_e64 v7, v7, v9, s3
	v_mul_f32_e32 v8, 0x37800000, v7
	s_delay_alu instid0(VALU_DEP_1) | instskip(SKIP_1) | instid1(VALU_DEP_2)
	v_cndmask_b32_e32 v7, v7, v8, vcc_lo
	v_cmp_class_f32_e64 vcc_lo, v6, 0x260
	v_cndmask_b32_e32 v6, v7, v6, vcc_lo
	s_and_not1_b32 vcc_lo, exec_lo, s16
	ds_store_b32 v5, v6
	s_cbranch_vccnz .LBB271_7
; %bb.9:                                ;   in Loop: Header=BB271_8 Depth=1
	v_add_co_u32 v2, vcc_lo, s6, v2
	v_add_co_ci_u32_e32 v3, vcc_lo, s7, v3, vcc_lo
	global_load_u16 v2, v[2:3], off
	s_waitcnt vmcnt(0)
	v_cvt_f32_f16_e32 v2, v2
	s_delay_alu instid0(VALU_DEP_1)
	v_add_f32_e32 v2, v6, v2
	ds_store_b32 v5, v2
	s_branch .LBB271_7
.LBB271_10:
	s_or_b32 exec_lo, exec_lo, s14
	v_mov_b32_e32 v2, 0
	s_cmp_lt_i32 s13, 1
	s_waitcnt lgkmcnt(0)
	s_barrier
	buffer_gl0_inv
	s_cbranch_scc1 .LBB271_19
; %bb.11:
	s_add_u32 s4, s0, 56
	s_addc_u32 s5, s1, 0
	v_dual_mov_b32 v2, 0 :: v_dual_mov_b32 v5, 0
	v_dual_mov_b32 v6, 0xff800000 :: v_dual_mov_b32 v1, 0
	v_mov_b32_e32 v3, 0
	s_cmp_lg_u64 s[6:7], 0
	s_mov_b32 s14, 0
	s_cselect_b32 s3, -1, 0
	s_mov_b32 s18, 0x76543210
	s_branch .LBB271_13
.LBB271_12:                             ;   in Loop: Header=BB271_13 Depth=1
	v_cmp_eq_u32_e32 vcc_lo, s14, v0
	s_delay_alu instid0(VALU_DEP_2) | instskip(NEXT) | instid1(VALU_DEP_2)
	s_lshl_b32 s17, s16, 2
	v_add_f32_e32 v3, v3, v9
	s_add_i32 s17, s17, 0
	s_add_i32 s14, s14, 1
	v_cndmask_b32_e64 v1, v1, s16, vcc_lo
	v_dual_mov_b32 v7, s17 :: v_dual_cndmask_b32 v2, v2, v9
	s_cmp_eq_u32 s14, s13
	ds_store_b32 v7, v6
	s_cbranch_scc1 .LBB271_20
.LBB271_13:                             ; =>This Loop Header: Depth=1
                                        ;     Child Loop BB271_15 Depth 2
	v_dual_mov_b32 v7, s14 :: v_dual_mov_b32 v8, 0xff800000
	s_and_saveexec_b32 s16, s2
	s_cbranch_execz .LBB271_17
; %bb.14:                               ;   in Loop: Header=BB271_13 Depth=1
	s_load_b32 s17, s[4:5], 0xc
	v_dual_mov_b32 v7, s14 :: v_dual_mov_b32 v8, 0xff800000
	v_mov_b32_e32 v9, v4
	v_mov_b32_e32 v10, v0
	s_mov_b32 s19, 0
	s_waitcnt lgkmcnt(0)
	s_and_b32 s17, s17, 0xffff
	s_delay_alu instid0(SALU_CYCLE_1)
	s_lshl_b32 s20, s17, 2
.LBB271_15:                             ;   Parent Loop BB271_13 Depth=1
                                        ; =>  This Inner Loop Header: Depth=2
	ds_load_b32 v11, v9
	v_add_nc_u32_e32 v9, s20, v9
	s_waitcnt lgkmcnt(0)
	v_cmp_gt_f32_e32 vcc_lo, v11, v8
	v_dual_cndmask_b32 v8, v8, v11 :: v_dual_cndmask_b32 v7, v7, v10
	v_add_nc_u32_e32 v10, s17, v10
	s_delay_alu instid0(VALU_DEP_1) | instskip(SKIP_1) | instid1(SALU_CYCLE_1)
	v_cmp_le_i32_e32 vcc_lo, s12, v10
	s_or_b32 s19, vcc_lo, s19
	s_and_not1_b32 exec_lo, exec_lo, s19
	s_cbranch_execnz .LBB271_15
; %bb.16:                               ;   in Loop: Header=BB271_13 Depth=1
	s_or_b32 exec_lo, exec_lo, s19
.LBB271_17:                             ;   in Loop: Header=BB271_13 Depth=1
	s_delay_alu instid0(SALU_CYCLE_1)
	s_or_b32 exec_lo, exec_lo, s16
	;;#ASMSTART
	v_max_f32 v9, v8, v8 quad_perm:[1,0,3,2] row_mask:0xf bank_mask:0xf bound_ctrl:1
	;;#ASMEND
	;;#ASMSTART
	v_max_f32 v10, v9, v9 quad_perm:[2,3,0,1] row_mask:0xf bank_mask:0xf bound_ctrl:1
	;;#ASMEND
	;;#ASMSTART
	v_max_f32 v9, v10, v10 row_half_mirror row_mask:0xf bank_mask:0xf bound_ctrl:1
	;;#ASMEND
	;;#ASMSTART
	v_max_f32 v10, v9, v9 row_mirror row_mask:0xf bank_mask:0xf bound_ctrl:1
	;;#ASMEND
	v_permlanex16_b32 v9, v10, s18, 0xfedcba98 op_sel:[1,1]
	s_delay_alu instid0(VALU_DEP_1) | instskip(NEXT) | instid1(VALU_DEP_1)
	v_dual_max_f32 v10, v10, v10 :: v_dual_max_f32 v9, v9, v9
	v_max_f32_e32 v9, v10, v9
	s_delay_alu instid0(VALU_DEP_1)
	v_cmp_eq_f32_e32 vcc_lo, v8, v9
	s_ctz_i32_b32 s16, vcc_lo
	s_cmp_lg_u32 vcc_lo, 0
	s_cselect_b32 s16, s16, 0
	s_and_b32 vcc_lo, exec_lo, s3
	v_readlane_b32 s16, v7, s16
	s_cbranch_vccz .LBB271_12
; %bb.18:                               ;   in Loop: Header=BB271_13 Depth=1
	s_delay_alu instid0(VALU_DEP_1) | instskip(NEXT) | instid1(SALU_CYCLE_1)
	s_ashr_i32 s17, s16, 31
	s_lshl_b64 s[20:21], s[16:17], 1
	s_delay_alu instid0(SALU_CYCLE_1) | instskip(SKIP_4) | instid1(VALU_DEP_1)
	s_add_u32 s20, s6, s20
	s_addc_u32 s21, s7, s21
	global_load_u16 v7, v5, s[20:21]
	s_waitcnt vmcnt(0)
	v_cvt_f32_f16_e32 v7, v7
	v_sub_f32_e32 v9, v9, v7
	s_branch .LBB271_12
.LBB271_19:
	v_mov_b32_e32 v1, 0
	v_mov_b32_e32 v3, 0
.LBB271_20:
	s_mov_b32 s2, exec_lo
	v_cmpx_gt_i32_e64 s13, v0
	s_cbranch_execz .LBB271_23
; %bb.21:
	s_clause 0x1
	s_load_b32 s2, s[0:1], 0x34
	s_load_b32 s3, s[0:1], 0x44
	v_max_f32_e32 v3, v3, v3
	s_load_b64 s[0:1], s[0:1], 0x20
	s_ashr_i32 s4, s15, 31
	s_delay_alu instid0(VALU_DEP_1) | instskip(SKIP_1) | instid1(VALU_DEP_1)
	v_max_f32_e32 v3, 0x1e3ce508, v3
	s_waitcnt lgkmcnt(0)
	v_div_scale_f32 v4, null, v3, v3, s2
	v_div_scale_f32 v7, vcc_lo, s2, v3, s2
	s_mul_i32 s1, s15, s1
	s_delay_alu instid0(VALU_DEP_2) | instskip(SKIP_4) | instid1(VALU_DEP_1)
	v_rcp_f32_e32 v5, v4
	s_mul_i32 s4, s4, s0
	s_and_b32 s3, s3, 0xffff
	s_waitcnt_depctr 0xfff
	v_fma_f32 v6, -v4, v5, 1.0
	v_fmac_f32_e32 v5, v6, v5
	s_delay_alu instid0(VALU_DEP_1) | instskip(NEXT) | instid1(VALU_DEP_1)
	v_mul_f32_e32 v6, v7, v5
	v_fma_f32 v8, -v4, v6, v7
	s_delay_alu instid0(VALU_DEP_1) | instskip(NEXT) | instid1(VALU_DEP_1)
	v_fmac_f32_e32 v6, v8, v5
	v_fma_f32 v4, -v4, v6, v7
	s_delay_alu instid0(VALU_DEP_1) | instskip(NEXT) | instid1(VALU_DEP_1)
	v_div_fmas_f32 v4, v4, v5, v6
	v_div_fixup_f32 v3, v4, v3, s2
	s_mul_hi_u32 s2, s15, s0
	s_delay_alu instid0(SALU_CYCLE_1) | instskip(SKIP_1) | instid1(VALU_DEP_1)
	s_add_i32 s1, s2, s1
	s_mul_i32 s2, s15, s0
	v_mul_f32_e32 v2, v2, v3
	s_add_i32 s1, s1, s4
	s_mov_b32 s4, 0
	.p2align	6
.LBB271_22:                             ; =>This Inner Loop Header: Depth=1
	v_ashrrev_i32_e32 v4, 31, v0
	v_add_co_u32 v3, vcc_lo, s2, v0
	v_add_nc_u32_e32 v0, s3, v0
	s_delay_alu instid0(VALU_DEP_3) | instskip(NEXT) | instid1(VALU_DEP_2)
	v_add_co_ci_u32_e32 v4, vcc_lo, s1, v4, vcc_lo
	v_cmp_le_i32_e32 vcc_lo, s13, v0
	s_delay_alu instid0(VALU_DEP_2) | instskip(SKIP_1) | instid1(VALU_DEP_1)
	v_lshlrev_b64 v[3:4], 2, v[3:4]
	s_or_b32 s4, vcc_lo, s4
	v_add_co_u32 v5, s0, s8, v3
	s_delay_alu instid0(VALU_DEP_1) | instskip(SKIP_1) | instid1(VALU_DEP_1)
	v_add_co_ci_u32_e64 v6, s0, s9, v4, s0
	v_add_co_u32 v3, s0, s10, v3
	v_add_co_ci_u32_e64 v4, s0, s11, v4, s0
	global_store_b32 v[5:6], v2, off
	global_store_b32 v[3:4], v1, off
	s_and_not1_b32 exec_lo, exec_lo, s4
	s_cbranch_execnz .LBB271_22
.LBB271_23:
	s_nop 0
	s_sendmsg sendmsg(MSG_DEALLOC_VGPRS)
	s_endpgm
	.section	.rodata,"a",@progbits
	.p2align	6, 0x0
	.amdhsa_kernel _ZN5aiter20topk_softplus_kernelI12hip_bfloat166__halfDv1_fLb1ELi0EEEvPKT_PKT0_PfPimiiif
		.amdhsa_group_segment_fixed_size 0
		.amdhsa_private_segment_fixed_size 0
		.amdhsa_kernarg_size 312
		.amdhsa_user_sgpr_count 15
		.amdhsa_user_sgpr_dispatch_ptr 0
		.amdhsa_user_sgpr_queue_ptr 0
		.amdhsa_user_sgpr_kernarg_segment_ptr 1
		.amdhsa_user_sgpr_dispatch_id 0
		.amdhsa_user_sgpr_private_segment_size 0
		.amdhsa_wavefront_size32 1
		.amdhsa_uses_dynamic_stack 0
		.amdhsa_enable_private_segment 0
		.amdhsa_system_sgpr_workgroup_id_x 1
		.amdhsa_system_sgpr_workgroup_id_y 0
		.amdhsa_system_sgpr_workgroup_id_z 0
		.amdhsa_system_sgpr_workgroup_info 0
		.amdhsa_system_vgpr_workitem_id 0
		.amdhsa_next_free_vgpr 12
		.amdhsa_next_free_sgpr 22
		.amdhsa_reserve_vcc 1
		.amdhsa_float_round_mode_32 0
		.amdhsa_float_round_mode_16_64 0
		.amdhsa_float_denorm_mode_32 3
		.amdhsa_float_denorm_mode_16_64 3
		.amdhsa_dx10_clamp 1
		.amdhsa_ieee_mode 1
		.amdhsa_fp16_overflow 0
		.amdhsa_workgroup_processor_mode 1
		.amdhsa_memory_ordered 1
		.amdhsa_forward_progress 0
		.amdhsa_shared_vgpr_count 0
		.amdhsa_exception_fp_ieee_invalid_op 0
		.amdhsa_exception_fp_denorm_src 0
		.amdhsa_exception_fp_ieee_div_zero 0
		.amdhsa_exception_fp_ieee_overflow 0
		.amdhsa_exception_fp_ieee_underflow 0
		.amdhsa_exception_fp_ieee_inexact 0
		.amdhsa_exception_int_div_zero 0
	.end_amdhsa_kernel
	.section	.text._ZN5aiter20topk_softplus_kernelI12hip_bfloat166__halfDv1_fLb1ELi0EEEvPKT_PKT0_PfPimiiif,"axG",@progbits,_ZN5aiter20topk_softplus_kernelI12hip_bfloat166__halfDv1_fLb1ELi0EEEvPKT_PKT0_PfPimiiif,comdat
.Lfunc_end271:
	.size	_ZN5aiter20topk_softplus_kernelI12hip_bfloat166__halfDv1_fLb1ELi0EEEvPKT_PKT0_PfPimiiif, .Lfunc_end271-_ZN5aiter20topk_softplus_kernelI12hip_bfloat166__halfDv1_fLb1ELi0EEEvPKT_PKT0_PfPimiiif
                                        ; -- End function
	.section	.AMDGPU.csdata,"",@progbits
; Kernel info:
; codeLenInByte = 1844
; NumSgprs: 24
; NumVgprs: 12
; ScratchSize: 0
; MemoryBound: 0
; FloatMode: 240
; IeeeMode: 1
; LDSByteSize: 0 bytes/workgroup (compile time only)
; SGPRBlocks: 2
; VGPRBlocks: 1
; NumSGPRsForWavesPerEU: 24
; NumVGPRsForWavesPerEU: 12
; Occupancy: 16
; WaveLimiterHint : 0
; COMPUTE_PGM_RSRC2:SCRATCH_EN: 0
; COMPUTE_PGM_RSRC2:USER_SGPR: 15
; COMPUTE_PGM_RSRC2:TRAP_HANDLER: 0
; COMPUTE_PGM_RSRC2:TGID_X_EN: 1
; COMPUTE_PGM_RSRC2:TGID_Y_EN: 0
; COMPUTE_PGM_RSRC2:TGID_Z_EN: 0
; COMPUTE_PGM_RSRC2:TIDIG_COMP_CNT: 0
	.section	.text._ZN5aiter20topk_softplus_kernelI12hip_bfloat166__halfDv1_fLb0ELi0EEEvPKT_PKT0_PfPimiiif,"axG",@progbits,_ZN5aiter20topk_softplus_kernelI12hip_bfloat166__halfDv1_fLb0ELi0EEEvPKT_PKT0_PfPimiiif,comdat
	.protected	_ZN5aiter20topk_softplus_kernelI12hip_bfloat166__halfDv1_fLb0ELi0EEEvPKT_PKT0_PfPimiiif ; -- Begin function _ZN5aiter20topk_softplus_kernelI12hip_bfloat166__halfDv1_fLb0ELi0EEEvPKT_PKT0_PfPimiiif
	.globl	_ZN5aiter20topk_softplus_kernelI12hip_bfloat166__halfDv1_fLb0ELi0EEEvPKT_PKT0_PfPimiiif
	.p2align	8
	.type	_ZN5aiter20topk_softplus_kernelI12hip_bfloat166__halfDv1_fLb0ELi0EEEvPKT_PKT0_PfPimiiif,@function
_ZN5aiter20topk_softplus_kernelI12hip_bfloat166__halfDv1_fLb0ELi0EEEvPKT_PKT0_PfPimiiif: ; @_ZN5aiter20topk_softplus_kernelI12hip_bfloat166__halfDv1_fLb0ELi0EEEvPKT_PKT0_PfPimiiif
; %bb.0:
	s_clause 0x1
	s_load_b64 s[12:13], s[0:1], 0x28
	s_load_b256 s[4:11], s[0:1], 0x0
	v_lshl_add_u32 v4, v0, 2, 0
	s_waitcnt lgkmcnt(0)
	s_mul_i32 s16, s15, s12
	v_cmp_gt_i32_e64 s2, s12, v0
	s_ashr_i32 s17, s16, 31
	s_delay_alu instid0(SALU_CYCLE_1) | instskip(NEXT) | instid1(SALU_CYCLE_1)
	s_lshl_b64 s[16:17], s[16:17], 1
	s_add_u32 s4, s4, s16
	s_addc_u32 s5, s5, s17
	s_and_saveexec_b32 s14, s2
	s_cbranch_execz .LBB272_5
; %bb.1:
	s_load_b32 s3, s[0:1], 0x44
	s_cmp_lg_u64 s[6:7], 0
	v_lshl_add_u32 v5, v0, 2, 0
	v_mov_b32_e32 v1, v0
	s_cselect_b32 s16, -1, 0
	s_mov_b32 s18, 0
	s_waitcnt lgkmcnt(0)
	s_and_b32 s17, s3, 0xffff
	s_delay_alu instid0(SALU_CYCLE_1)
	s_lshl_b32 s19, s17, 2
	s_branch .LBB272_3
.LBB272_2:                              ;   in Loop: Header=BB272_3 Depth=1
	v_add_nc_u32_e32 v1, s17, v1
	ds_store_b32 v5, v6
	v_add_nc_u32_e32 v5, s19, v5
	v_cmp_le_i32_e32 vcc_lo, s12, v1
	s_or_b32 s18, vcc_lo, s18
	s_delay_alu instid0(SALU_CYCLE_1)
	s_and_not1_b32 exec_lo, exec_lo, s18
	s_cbranch_execz .LBB272_5
.LBB272_3:                              ; =>This Inner Loop Header: Depth=1
	v_ashrrev_i32_e32 v2, 31, v1
	s_delay_alu instid0(VALU_DEP_1) | instskip(NEXT) | instid1(VALU_DEP_1)
	v_lshlrev_b64 v[2:3], 1, v[1:2]
	v_add_co_u32 v6, vcc_lo, s4, v2
	s_delay_alu instid0(VALU_DEP_2) | instskip(SKIP_3) | instid1(VALU_DEP_1)
	v_add_co_ci_u32_e32 v7, vcc_lo, s5, v3, vcc_lo
	global_load_u16 v6, v[6:7], off
	s_waitcnt vmcnt(0)
	v_cvt_f32_u32_e32 v7, v6
	v_mul_f32_e32 v8, 0x3fb8aa3b, v7
	s_delay_alu instid0(VALU_DEP_1) | instskip(SKIP_2) | instid1(VALU_DEP_2)
	v_cmp_gt_f32_e32 vcc_lo, 0xc2fc0000, v8
	v_cndmask_b32_e64 v8, 0, 0x42800000, vcc_lo
	v_cndmask_b32_e64 v9, 1.0, 0x1f800000, vcc_lo
	v_fmac_f32_e32 v8, 0x3fb8aa3b, v7
	s_delay_alu instid0(VALU_DEP_1) | instskip(SKIP_2) | instid1(VALU_DEP_1)
	v_exp_f32_e32 v8, v8
	s_waitcnt_depctr 0xfff
	v_fma_f32 v8, v8, v9, 1.0
	v_cmp_gt_f32_e32 vcc_lo, 0x800000, v8
	v_cndmask_b32_e64 v9, 1.0, 0x4f800000, vcc_lo
	s_delay_alu instid0(VALU_DEP_1) | instskip(SKIP_2) | instid1(VALU_DEP_3)
	v_mul_f32_e32 v8, v8, v9
	v_cndmask_b32_e64 v9, 0, 0x42000000, vcc_lo
	v_cmp_lt_u32_e32 vcc_lo, 20, v6
	v_log_f32_e32 v8, v8
	s_waitcnt_depctr 0xfff
	v_sub_f32_e32 v8, v8, v9
	s_delay_alu instid0(VALU_DEP_1) | instskip(NEXT) | instid1(VALU_DEP_1)
	v_mul_f32_e32 v8, 0x3f317218, v8
	v_cndmask_b32_e32 v6, v8, v7, vcc_lo
	s_delay_alu instid0(VALU_DEP_1) | instskip(SKIP_1) | instid1(VALU_DEP_2)
	v_mul_f32_e32 v7, 0x4f800000, v6
	v_cmp_gt_f32_e32 vcc_lo, 0xf800000, v6
	v_cndmask_b32_e32 v6, v6, v7, vcc_lo
	s_delay_alu instid0(VALU_DEP_1) | instskip(SKIP_3) | instid1(VALU_DEP_2)
	v_sqrt_f32_e32 v7, v6
	s_waitcnt_depctr 0xfff
	v_add_nc_u32_e32 v8, -1, v7
	v_add_nc_u32_e32 v9, 1, v7
	v_fma_f32 v10, -v8, v7, v6
	s_delay_alu instid0(VALU_DEP_2) | instskip(NEXT) | instid1(VALU_DEP_2)
	v_fma_f32 v11, -v9, v7, v6
	v_cmp_ge_f32_e64 s3, 0, v10
	s_delay_alu instid0(VALU_DEP_1) | instskip(NEXT) | instid1(VALU_DEP_3)
	v_cndmask_b32_e64 v7, v7, v8, s3
	v_cmp_lt_f32_e64 s3, 0, v11
	s_delay_alu instid0(VALU_DEP_1) | instskip(NEXT) | instid1(VALU_DEP_1)
	v_cndmask_b32_e64 v7, v7, v9, s3
	v_mul_f32_e32 v8, 0x37800000, v7
	s_delay_alu instid0(VALU_DEP_1) | instskip(SKIP_1) | instid1(VALU_DEP_2)
	v_cndmask_b32_e32 v7, v7, v8, vcc_lo
	v_cmp_class_f32_e64 vcc_lo, v6, 0x260
	v_cndmask_b32_e32 v6, v7, v6, vcc_lo
	s_and_not1_b32 vcc_lo, exec_lo, s16
	s_cbranch_vccnz .LBB272_2
; %bb.4:                                ;   in Loop: Header=BB272_3 Depth=1
	v_add_co_u32 v2, vcc_lo, s6, v2
	v_add_co_ci_u32_e32 v3, vcc_lo, s7, v3, vcc_lo
	global_load_u16 v2, v[2:3], off
	s_waitcnt vmcnt(0)
	v_cvt_f32_f16_e32 v2, v2
	s_delay_alu instid0(VALU_DEP_1)
	v_add_f32_e32 v6, v6, v2
	s_branch .LBB272_2
.LBB272_5:
	s_or_b32 exec_lo, exec_lo, s14
	v_add_nc_u32_e32 v1, s12, v0
	s_mov_b32 s14, exec_lo
	s_delay_alu instid0(VALU_DEP_1)
	v_cmpx_gt_i32_e64 s12, v1
	s_cbranch_execz .LBB272_10
; %bb.6:
	s_load_b32 s3, s[0:1], 0x44
	s_cmp_lg_u64 s[6:7], 0
	v_lshl_add_u32 v5, v1, 2, 0
	s_cselect_b32 s16, -1, 0
	s_mov_b32 s18, 0
	s_waitcnt lgkmcnt(0)
	s_and_b32 s17, s3, 0xffff
	s_delay_alu instid0(SALU_CYCLE_1)
	s_lshl_b32 s19, s17, 2
	s_branch .LBB272_8
.LBB272_7:                              ;   in Loop: Header=BB272_8 Depth=1
	v_add_nc_u32_e32 v1, s17, v1
	v_add_nc_u32_e32 v5, s19, v5
	s_delay_alu instid0(VALU_DEP_2) | instskip(SKIP_1) | instid1(SALU_CYCLE_1)
	v_cmp_le_i32_e32 vcc_lo, s12, v1
	s_or_b32 s18, vcc_lo, s18
	s_and_not1_b32 exec_lo, exec_lo, s18
	s_cbranch_execz .LBB272_10
.LBB272_8:                              ; =>This Inner Loop Header: Depth=1
	v_ashrrev_i32_e32 v2, 31, v1
	s_delay_alu instid0(VALU_DEP_1) | instskip(NEXT) | instid1(VALU_DEP_1)
	v_lshlrev_b64 v[2:3], 1, v[1:2]
	v_add_co_u32 v6, vcc_lo, s4, v2
	s_delay_alu instid0(VALU_DEP_2) | instskip(SKIP_3) | instid1(VALU_DEP_1)
	v_add_co_ci_u32_e32 v7, vcc_lo, s5, v3, vcc_lo
	global_load_u16 v6, v[6:7], off
	s_waitcnt vmcnt(0)
	v_lshlrev_b32_e32 v6, 16, v6
	v_mul_f32_e32 v7, 0x3fb8aa3b, v6
	s_delay_alu instid0(VALU_DEP_1) | instskip(SKIP_2) | instid1(VALU_DEP_2)
	v_cmp_gt_f32_e32 vcc_lo, 0xc2fc0000, v7
	v_cndmask_b32_e64 v7, 0, 0x42800000, vcc_lo
	v_cndmask_b32_e64 v8, 1.0, 0x1f800000, vcc_lo
	v_fmac_f32_e32 v7, 0x3fb8aa3b, v6
	s_delay_alu instid0(VALU_DEP_1) | instskip(SKIP_2) | instid1(VALU_DEP_1)
	v_exp_f32_e32 v7, v7
	s_waitcnt_depctr 0xfff
	v_fma_f32 v7, v7, v8, 1.0
	v_cmp_gt_f32_e32 vcc_lo, 0x800000, v7
	v_cndmask_b32_e64 v8, 1.0, 0x4f800000, vcc_lo
	s_delay_alu instid0(VALU_DEP_1) | instskip(SKIP_2) | instid1(VALU_DEP_3)
	v_mul_f32_e32 v7, v7, v8
	v_cndmask_b32_e64 v8, 0, 0x42000000, vcc_lo
	v_cmp_lt_f32_e32 vcc_lo, 0x41a00000, v6
	v_log_f32_e32 v7, v7
	s_waitcnt_depctr 0xfff
	v_sub_f32_e32 v7, v7, v8
	s_delay_alu instid0(VALU_DEP_1) | instskip(NEXT) | instid1(VALU_DEP_1)
	v_mul_f32_e32 v7, 0x3f317218, v7
	v_cndmask_b32_e32 v6, v7, v6, vcc_lo
	s_delay_alu instid0(VALU_DEP_1) | instskip(SKIP_1) | instid1(VALU_DEP_2)
	v_mul_f32_e32 v7, 0x4f800000, v6
	v_cmp_gt_f32_e32 vcc_lo, 0xf800000, v6
	v_cndmask_b32_e32 v6, v6, v7, vcc_lo
	s_delay_alu instid0(VALU_DEP_1) | instskip(SKIP_3) | instid1(VALU_DEP_2)
	v_sqrt_f32_e32 v7, v6
	s_waitcnt_depctr 0xfff
	v_add_nc_u32_e32 v8, -1, v7
	v_add_nc_u32_e32 v9, 1, v7
	v_fma_f32 v10, -v8, v7, v6
	s_delay_alu instid0(VALU_DEP_2) | instskip(NEXT) | instid1(VALU_DEP_2)
	v_fma_f32 v11, -v9, v7, v6
	v_cmp_ge_f32_e64 s3, 0, v10
	s_delay_alu instid0(VALU_DEP_1) | instskip(NEXT) | instid1(VALU_DEP_3)
	v_cndmask_b32_e64 v7, v7, v8, s3
	v_cmp_lt_f32_e64 s3, 0, v11
	s_delay_alu instid0(VALU_DEP_1) | instskip(NEXT) | instid1(VALU_DEP_1)
	v_cndmask_b32_e64 v7, v7, v9, s3
	v_mul_f32_e32 v8, 0x37800000, v7
	s_delay_alu instid0(VALU_DEP_1) | instskip(SKIP_1) | instid1(VALU_DEP_2)
	v_cndmask_b32_e32 v7, v7, v8, vcc_lo
	v_cmp_class_f32_e64 vcc_lo, v6, 0x260
	v_cndmask_b32_e32 v6, v7, v6, vcc_lo
	s_and_not1_b32 vcc_lo, exec_lo, s16
	ds_store_b32 v5, v6
	s_cbranch_vccnz .LBB272_7
; %bb.9:                                ;   in Loop: Header=BB272_8 Depth=1
	v_add_co_u32 v2, vcc_lo, s6, v2
	v_add_co_ci_u32_e32 v3, vcc_lo, s7, v3, vcc_lo
	global_load_u16 v2, v[2:3], off
	s_waitcnt vmcnt(0)
	v_cvt_f32_f16_e32 v2, v2
	s_delay_alu instid0(VALU_DEP_1)
	v_add_f32_e32 v2, v6, v2
	ds_store_b32 v5, v2
	s_branch .LBB272_7
.LBB272_10:
	s_or_b32 exec_lo, exec_lo, s14
	s_cmp_lt_i32 s13, 1
	s_waitcnt lgkmcnt(0)
	s_barrier
	buffer_gl0_inv
	s_cbranch_scc1 .LBB272_19
; %bb.11:
	s_add_u32 s4, s0, 56
	s_addc_u32 s5, s1, 0
	v_dual_mov_b32 v3, 0 :: v_dual_mov_b32 v2, 0
	v_mov_b32_e32 v1, 0
	v_mov_b32_e32 v5, 0xff800000
	s_cmp_lg_u64 s[6:7], 0
	s_mov_b32 s14, 0
	s_cselect_b32 s3, -1, 0
	s_mov_b32 s18, 0x76543210
	s_branch .LBB272_13
.LBB272_12:                             ;   in Loop: Header=BB272_13 Depth=1
	v_cmp_eq_u32_e32 vcc_lo, s14, v0
	s_delay_alu instid0(VALU_DEP_2)
	s_lshl_b32 s17, s16, 2
	s_add_i32 s14, s14, 1
	s_add_i32 s17, s17, 0
	s_cmp_eq_u32 s14, s13
	v_cndmask_b32_e64 v1, v1, s16, vcc_lo
	v_mov_b32_e32 v6, s17
	v_cndmask_b32_e32 v2, v2, v8, vcc_lo
	ds_store_b32 v6, v5
	s_cbranch_scc1 .LBB272_20
.LBB272_13:                             ; =>This Loop Header: Depth=1
                                        ;     Child Loop BB272_15 Depth 2
	v_dual_mov_b32 v6, s14 :: v_dual_mov_b32 v7, 0xff800000
	s_and_saveexec_b32 s16, s2
	s_cbranch_execz .LBB272_17
; %bb.14:                               ;   in Loop: Header=BB272_13 Depth=1
	s_load_b32 s17, s[4:5], 0xc
	v_dual_mov_b32 v6, s14 :: v_dual_mov_b32 v7, 0xff800000
	v_mov_b32_e32 v8, v4
	v_mov_b32_e32 v9, v0
	s_mov_b32 s19, 0
	s_waitcnt lgkmcnt(0)
	s_and_b32 s17, s17, 0xffff
	s_delay_alu instid0(SALU_CYCLE_1)
	s_lshl_b32 s20, s17, 2
.LBB272_15:                             ;   Parent Loop BB272_13 Depth=1
                                        ; =>  This Inner Loop Header: Depth=2
	ds_load_b32 v10, v8
	v_add_nc_u32_e32 v8, s20, v8
	s_waitcnt lgkmcnt(0)
	v_cmp_gt_f32_e32 vcc_lo, v10, v7
	v_dual_cndmask_b32 v7, v7, v10 :: v_dual_cndmask_b32 v6, v6, v9
	v_add_nc_u32_e32 v9, s17, v9
	s_delay_alu instid0(VALU_DEP_1) | instskip(SKIP_1) | instid1(SALU_CYCLE_1)
	v_cmp_le_i32_e32 vcc_lo, s12, v9
	s_or_b32 s19, vcc_lo, s19
	s_and_not1_b32 exec_lo, exec_lo, s19
	s_cbranch_execnz .LBB272_15
; %bb.16:                               ;   in Loop: Header=BB272_13 Depth=1
	s_or_b32 exec_lo, exec_lo, s19
.LBB272_17:                             ;   in Loop: Header=BB272_13 Depth=1
	s_delay_alu instid0(SALU_CYCLE_1)
	s_or_b32 exec_lo, exec_lo, s16
	;;#ASMSTART
	v_max_f32 v8, v7, v7 quad_perm:[1,0,3,2] row_mask:0xf bank_mask:0xf bound_ctrl:1
	;;#ASMEND
	;;#ASMSTART
	v_max_f32 v9, v8, v8 quad_perm:[2,3,0,1] row_mask:0xf bank_mask:0xf bound_ctrl:1
	;;#ASMEND
	;;#ASMSTART
	v_max_f32 v8, v9, v9 row_half_mirror row_mask:0xf bank_mask:0xf bound_ctrl:1
	;;#ASMEND
	;;#ASMSTART
	v_max_f32 v9, v8, v8 row_mirror row_mask:0xf bank_mask:0xf bound_ctrl:1
	;;#ASMEND
	v_permlanex16_b32 v8, v9, s18, 0xfedcba98 op_sel:[1,1]
	s_delay_alu instid0(VALU_DEP_1) | instskip(NEXT) | instid1(VALU_DEP_1)
	v_dual_max_f32 v9, v9, v9 :: v_dual_max_f32 v8, v8, v8
	v_max_f32_e32 v8, v9, v8
	s_delay_alu instid0(VALU_DEP_1)
	v_cmp_eq_f32_e32 vcc_lo, v7, v8
	s_ctz_i32_b32 s16, vcc_lo
	s_cmp_lg_u32 vcc_lo, 0
	s_cselect_b32 s16, s16, 0
	s_and_b32 vcc_lo, exec_lo, s3
	v_readlane_b32 s16, v6, s16
	s_cbranch_vccz .LBB272_12
; %bb.18:                               ;   in Loop: Header=BB272_13 Depth=1
	s_delay_alu instid0(VALU_DEP_1) | instskip(NEXT) | instid1(SALU_CYCLE_1)
	s_ashr_i32 s17, s16, 31
	s_lshl_b64 s[20:21], s[16:17], 1
	s_delay_alu instid0(SALU_CYCLE_1) | instskip(SKIP_4) | instid1(VALU_DEP_1)
	s_add_u32 s20, s6, s20
	s_addc_u32 s21, s7, s21
	global_load_u16 v6, v3, s[20:21]
	s_waitcnt vmcnt(0)
	v_cvt_f32_f16_e32 v6, v6
	v_sub_f32_e32 v8, v8, v6
	s_branch .LBB272_12
.LBB272_19:
	v_dual_mov_b32 v2, 0 :: v_dual_mov_b32 v1, 0
.LBB272_20:
	s_mov_b32 s2, exec_lo
	v_cmpx_gt_i32_e64 s13, v0
	s_cbranch_execz .LBB272_23
; %bb.21:
	s_clause 0x2
	s_load_b32 s4, s[0:1], 0x34
	s_load_b64 s[2:3], s[0:1], 0x20
	s_load_b32 s0, s[0:1], 0x44
	s_ashr_i32 s1, s15, 31
	s_waitcnt lgkmcnt(0)
	v_mul_f32_e32 v2, s4, v2
	s_mul_i32 s3, s15, s3
	s_mul_hi_u32 s4, s15, s2
	s_mul_i32 s5, s1, s2
	s_add_i32 s3, s4, s3
	s_mul_i32 s1, s15, s2
	s_and_b32 s2, s0, 0xffff
	s_add_i32 s3, s3, s5
	s_mov_b32 s4, 0
	.p2align	6
.LBB272_22:                             ; =>This Inner Loop Header: Depth=1
	v_ashrrev_i32_e32 v4, 31, v0
	v_add_co_u32 v3, vcc_lo, s1, v0
	v_add_nc_u32_e32 v0, s2, v0
	s_delay_alu instid0(VALU_DEP_3) | instskip(NEXT) | instid1(VALU_DEP_2)
	v_add_co_ci_u32_e32 v4, vcc_lo, s3, v4, vcc_lo
	v_cmp_le_i32_e32 vcc_lo, s13, v0
	s_delay_alu instid0(VALU_DEP_2) | instskip(SKIP_1) | instid1(VALU_DEP_1)
	v_lshlrev_b64 v[3:4], 2, v[3:4]
	s_or_b32 s4, vcc_lo, s4
	v_add_co_u32 v5, s0, s8, v3
	s_delay_alu instid0(VALU_DEP_1) | instskip(SKIP_1) | instid1(VALU_DEP_1)
	v_add_co_ci_u32_e64 v6, s0, s9, v4, s0
	v_add_co_u32 v3, s0, s10, v3
	v_add_co_ci_u32_e64 v4, s0, s11, v4, s0
	global_store_b32 v[5:6], v2, off
	global_store_b32 v[3:4], v1, off
	s_and_not1_b32 exec_lo, exec_lo, s4
	s_cbranch_execnz .LBB272_22
.LBB272_23:
	s_nop 0
	s_sendmsg sendmsg(MSG_DEALLOC_VGPRS)
	s_endpgm
	.section	.rodata,"a",@progbits
	.p2align	6, 0x0
	.amdhsa_kernel _ZN5aiter20topk_softplus_kernelI12hip_bfloat166__halfDv1_fLb0ELi0EEEvPKT_PKT0_PfPimiiif
		.amdhsa_group_segment_fixed_size 0
		.amdhsa_private_segment_fixed_size 0
		.amdhsa_kernarg_size 312
		.amdhsa_user_sgpr_count 15
		.amdhsa_user_sgpr_dispatch_ptr 0
		.amdhsa_user_sgpr_queue_ptr 0
		.amdhsa_user_sgpr_kernarg_segment_ptr 1
		.amdhsa_user_sgpr_dispatch_id 0
		.amdhsa_user_sgpr_private_segment_size 0
		.amdhsa_wavefront_size32 1
		.amdhsa_uses_dynamic_stack 0
		.amdhsa_enable_private_segment 0
		.amdhsa_system_sgpr_workgroup_id_x 1
		.amdhsa_system_sgpr_workgroup_id_y 0
		.amdhsa_system_sgpr_workgroup_id_z 0
		.amdhsa_system_sgpr_workgroup_info 0
		.amdhsa_system_vgpr_workitem_id 0
		.amdhsa_next_free_vgpr 12
		.amdhsa_next_free_sgpr 22
		.amdhsa_reserve_vcc 1
		.amdhsa_float_round_mode_32 0
		.amdhsa_float_round_mode_16_64 0
		.amdhsa_float_denorm_mode_32 3
		.amdhsa_float_denorm_mode_16_64 3
		.amdhsa_dx10_clamp 1
		.amdhsa_ieee_mode 1
		.amdhsa_fp16_overflow 0
		.amdhsa_workgroup_processor_mode 1
		.amdhsa_memory_ordered 1
		.amdhsa_forward_progress 0
		.amdhsa_shared_vgpr_count 0
		.amdhsa_exception_fp_ieee_invalid_op 0
		.amdhsa_exception_fp_denorm_src 0
		.amdhsa_exception_fp_ieee_div_zero 0
		.amdhsa_exception_fp_ieee_overflow 0
		.amdhsa_exception_fp_ieee_underflow 0
		.amdhsa_exception_fp_ieee_inexact 0
		.amdhsa_exception_int_div_zero 0
	.end_amdhsa_kernel
	.section	.text._ZN5aiter20topk_softplus_kernelI12hip_bfloat166__halfDv1_fLb0ELi0EEEvPKT_PKT0_PfPimiiif,"axG",@progbits,_ZN5aiter20topk_softplus_kernelI12hip_bfloat166__halfDv1_fLb0ELi0EEEvPKT_PKT0_PfPimiiif,comdat
.Lfunc_end272:
	.size	_ZN5aiter20topk_softplus_kernelI12hip_bfloat166__halfDv1_fLb0ELi0EEEvPKT_PKT0_PfPimiiif, .Lfunc_end272-_ZN5aiter20topk_softplus_kernelI12hip_bfloat166__halfDv1_fLb0ELi0EEEvPKT_PKT0_PfPimiiif
                                        ; -- End function
	.section	.AMDGPU.csdata,"",@progbits
; Kernel info:
; codeLenInByte = 1720
; NumSgprs: 24
; NumVgprs: 12
; ScratchSize: 0
; MemoryBound: 0
; FloatMode: 240
; IeeeMode: 1
; LDSByteSize: 0 bytes/workgroup (compile time only)
; SGPRBlocks: 2
; VGPRBlocks: 1
; NumSGPRsForWavesPerEU: 24
; NumVGPRsForWavesPerEU: 12
; Occupancy: 16
; WaveLimiterHint : 0
; COMPUTE_PGM_RSRC2:SCRATCH_EN: 0
; COMPUTE_PGM_RSRC2:USER_SGPR: 15
; COMPUTE_PGM_RSRC2:TRAP_HANDLER: 0
; COMPUTE_PGM_RSRC2:TGID_X_EN: 1
; COMPUTE_PGM_RSRC2:TGID_Y_EN: 0
; COMPUTE_PGM_RSRC2:TGID_Z_EN: 0
; COMPUTE_PGM_RSRC2:TIDIG_COMP_CNT: 0
	.section	.text._ZN5aiter24topk_softplus_kernel_optI12hip_bfloat16S1_Li64ELb1ELi1EEEvPKT_PKT0_PfPimiif,"axG",@progbits,_ZN5aiter24topk_softplus_kernel_optI12hip_bfloat16S1_Li64ELb1ELi1EEEvPKT_PKT0_PfPimiif,comdat
	.protected	_ZN5aiter24topk_softplus_kernel_optI12hip_bfloat16S1_Li64ELb1ELi1EEEvPKT_PKT0_PfPimiif ; -- Begin function _ZN5aiter24topk_softplus_kernel_optI12hip_bfloat16S1_Li64ELb1ELi1EEEvPKT_PKT0_PfPimiif
	.globl	_ZN5aiter24topk_softplus_kernel_optI12hip_bfloat16S1_Li64ELb1ELi1EEEvPKT_PKT0_PfPimiif
	.p2align	8
	.type	_ZN5aiter24topk_softplus_kernel_optI12hip_bfloat16S1_Li64ELb1ELi1EEEvPKT_PKT0_PfPimiif,@function
_ZN5aiter24topk_softplus_kernel_optI12hip_bfloat16S1_Li64ELb1ELi1EEEvPKT_PKT0_PfPimiif: ; @_ZN5aiter24topk_softplus_kernel_optI12hip_bfloat16S1_Li64ELb1ELi1EEEvPKT_PKT0_PfPimiif
; %bb.0:
	s_load_b128 s[4:7], s[0:1], 0x0
	s_lshl_b32 s2, s15, 6
	v_lshlrev_b32_e32 v3, 1, v0
	s_ashr_i32 s3, s2, 31
	s_delay_alu instid0(SALU_CYCLE_1)
	s_lshl_b64 s[2:3], s[2:3], 1
	s_waitcnt lgkmcnt(0)
	s_add_u32 s4, s4, s2
	s_addc_u32 s5, s5, s3
	s_cmp_lg_u64 s[6:7], 0
	global_load_u16 v1, v3, s[4:5]
	s_cselect_b32 s2, -1, 0
	s_waitcnt vmcnt(0)
	v_lshlrev_b32_e32 v1, 16, v1
	s_delay_alu instid0(VALU_DEP_1) | instskip(NEXT) | instid1(VALU_DEP_1)
	v_mul_f32_e32 v2, 0xbfb8aa3b, v1
	v_cmp_gt_f32_e32 vcc_lo, 0xc2fc0000, v2
	v_cndmask_b32_e64 v2, 0, 0x42800000, vcc_lo
	s_delay_alu instid0(VALU_DEP_1) | instskip(NEXT) | instid1(VALU_DEP_1)
	v_fmac_f32_e32 v2, 0xbfb8aa3b, v1
	v_exp_f32_e32 v1, v2
	v_cndmask_b32_e64 v2, 1.0, 0x1f800000, vcc_lo
	s_and_b32 vcc_lo, exec_lo, s2
	s_waitcnt_depctr 0xfff
	v_fma_f32 v1, v1, v2, 1.0
	s_delay_alu instid0(VALU_DEP_1) | instskip(SKIP_1) | instid1(VALU_DEP_1)
	v_rcp_f32_e32 v9, v1
	v_add_co_u32 v1, s3, s4, v3
	v_add_co_ci_u32_e64 v2, null, s5, 0, s3
	s_waitcnt_depctr 0xfff
	v_mov_b32_e32 v7, v9
	s_cbranch_vccz .LBB273_2
; %bb.1:
	global_load_u16 v4, v3, s[6:7]
	s_waitcnt vmcnt(0)
	v_lshlrev_b32_e32 v4, 16, v4
	s_delay_alu instid0(VALU_DEP_1)
	v_add_f32_e32 v7, v9, v4
.LBB273_2:
	global_load_u16 v1, v[1:2], off offset:64
	s_waitcnt vmcnt(0)
	v_lshlrev_b32_e32 v1, 16, v1
	s_delay_alu instid0(VALU_DEP_1) | instskip(NEXT) | instid1(VALU_DEP_1)
	v_mul_f32_e32 v2, 0xbfb8aa3b, v1
	v_cmp_gt_f32_e32 vcc_lo, 0xc2fc0000, v2
	v_cndmask_b32_e64 v2, 0, 0x42800000, vcc_lo
	s_delay_alu instid0(VALU_DEP_1) | instskip(NEXT) | instid1(VALU_DEP_1)
	v_fmac_f32_e32 v2, 0xbfb8aa3b, v1
	v_exp_f32_e32 v1, v2
	v_cndmask_b32_e64 v2, 1.0, 0x1f800000, vcc_lo
	s_and_not1_b32 vcc_lo, exec_lo, s2
	s_waitcnt_depctr 0xfff
	v_fma_f32 v1, v1, v2, 1.0
	s_delay_alu instid0(VALU_DEP_1)
	v_rcp_f32_e32 v10, v1
	s_waitcnt_depctr 0xfff
	v_mov_b32_e32 v8, v10
	s_cbranch_vccnz .LBB273_4
; %bb.3:
	global_load_u16 v1, v3, s[6:7] offset:64
	s_waitcnt vmcnt(0)
	v_lshlrev_b32_e32 v1, 16, v1
	s_delay_alu instid0(VALU_DEP_1)
	v_add_f32_e32 v8, v10, v1
.LBB273_4:
	s_clause 0x1
	s_load_b32 s8, s[0:1], 0x28
	s_load_b128 s[4:7], s[0:1], 0x10
	v_dual_mov_b32 v3, 0 :: v_dual_mov_b32 v2, 0
	v_mov_b32_e32 v1, 0
	s_waitcnt lgkmcnt(0)
	s_cmp_gt_i32 s8, 0
	s_cbranch_scc0 .LBB273_7
; %bb.5:
	v_cmp_lt_f32_e32 vcc_lo, v7, v8
	v_add_nc_u32_e32 v1, 32, v0
	v_dual_mov_b32 v3, 0 :: v_dual_mov_b32 v2, 0
	v_mov_b32_e32 v11, v0
	v_cndmask_b32_e32 v6, v8, v7, vcc_lo
	s_delay_alu instid0(VALU_DEP_4)
	v_dual_cndmask_b32 v4, v1, v0 :: v_dual_cndmask_b32 v5, v0, v1
	v_dual_cndmask_b32 v7, v7, v8 :: v_dual_cndmask_b32 v8, v10, v9
	v_dual_cndmask_b32 v9, v9, v10 :: v_dual_mov_b32 v10, 0
	v_mov_b32_e32 v1, 0
	s_mov_b32 s9, 0x76543210
	s_mov_b32 s10, s8
.LBB273_6:                              ; =>This Inner Loop Header: Depth=1
	s_delay_alu instid0(VALU_DEP_2) | instskip(SKIP_2) | instid1(VALU_DEP_1)
	v_cmp_eq_u32_e32 vcc_lo, 1, v10
	v_cmp_gt_u32_e64 s2, 2, v10
	v_dual_cndmask_b32 v12, v7, v6 :: v_dual_cndmask_b32 v13, v5, v4
	v_cndmask_b32_e64 v12, 0xff800000, v12, s2
	;;#ASMSTART
	v_max_f32 v15, v12, v12 quad_perm:[1,0,3,2] row_mask:0xf bank_mask:0xf bound_ctrl:1
	;;#ASMEND
	;;#ASMSTART
	v_max_f32 v16, v15, v15 quad_perm:[2,3,0,1] row_mask:0xf bank_mask:0xf bound_ctrl:1
	;;#ASMEND
	;;#ASMSTART
	v_max_f32 v15, v16, v16 row_half_mirror row_mask:0xf bank_mask:0xf bound_ctrl:1
	;;#ASMEND
	;;#ASMSTART
	v_max_f32 v16, v15, v15 row_mirror row_mask:0xf bank_mask:0xf bound_ctrl:1
	;;#ASMEND
	v_permlanex16_b32 v15, v16, s9, 0xfedcba98 op_sel:[1,1]
	v_max_f32_e32 v16, v16, v16
	v_cndmask_b32_e64 v14, 0, v13, s2
	s_delay_alu instid0(VALU_DEP_3) | instskip(NEXT) | instid1(VALU_DEP_1)
	v_max_f32_e32 v15, v15, v15
	v_max_f32_e32 v15, v16, v15
	s_delay_alu instid0(VALU_DEP_1) | instskip(SKIP_1) | instid1(VALU_DEP_2)
	v_cmp_eq_f32_e64 s3, v12, v15
	v_cndmask_b32_e32 v12, v9, v8, vcc_lo
	s_ctz_i32_b32 s11, s3
	s_cmp_lg_u32 s3, 0
	s_cselect_b32 s3, s11, 0
	s_add_i32 s10, s10, -1
	v_readlane_b32 s3, v14, s3
	s_delay_alu instid0(VALU_DEP_1)
	v_cmp_eq_u32_e32 vcc_lo, s3, v13
	s_and_b32 vcc_lo, s2, vcc_lo
	s_and_b32 s2, s3, 31
	v_cndmask_b32_e32 v12, 0, v12, vcc_lo
	v_add_co_ci_u32_e32 v10, vcc_lo, 0, v10, vcc_lo
	s_cmp_eq_u32 s10, 0
	s_delay_alu instid0(VALU_DEP_2) | instskip(SKIP_2) | instid1(VALU_DEP_3)
	v_readlane_b32 s11, v12, s2
	v_cmp_eq_u32_e64 s2, 0, v11
	v_add_nc_u32_e32 v11, -1, v11
	v_add_f32_e32 v3, s11, v3
	s_delay_alu instid0(VALU_DEP_3)
	v_cndmask_b32_e64 v2, v2, s11, s2
	v_cndmask_b32_e64 v1, v1, s3, s2
	s_cbranch_scc0 .LBB273_6
.LBB273_7:
	s_mov_b32 s2, exec_lo
	v_cmpx_gt_i32_e64 s8, v0
	s_cbranch_execz .LBB273_9
; %bb.8:
	s_load_b32 s2, s[0:1], 0x30
	v_max_f32_e32 v3, v3, v3
	s_load_b64 s[0:1], s[0:1], 0x20
	s_ashr_i32 s3, s15, 31
	s_delay_alu instid0(VALU_DEP_1) | instskip(SKIP_1) | instid1(VALU_DEP_1)
	v_dual_max_f32 v3, 0x1e3ce508, v3 :: v_dual_lshlrev_b32 v0, 2, v0
	s_waitcnt lgkmcnt(0)
	v_div_scale_f32 v4, null, v3, v3, s2
	v_div_scale_f32 v7, vcc_lo, s2, v3, s2
	s_mul_i32 s1, s15, s1
	s_delay_alu instid0(VALU_DEP_2)
	v_rcp_f32_e32 v5, v4
	s_mul_hi_u32 s8, s15, s0
	s_mul_i32 s3, s3, s0
	s_add_i32 s1, s8, s1
	s_mul_i32 s0, s15, s0
	s_add_i32 s1, s1, s3
	s_delay_alu instid0(SALU_CYCLE_1) | instskip(SKIP_2) | instid1(VALU_DEP_1)
	s_lshl_b64 s[0:1], s[0:1], 2
	s_waitcnt_depctr 0xfff
	v_fma_f32 v6, -v4, v5, 1.0
	v_fmac_f32_e32 v5, v6, v5
	s_delay_alu instid0(VALU_DEP_1) | instskip(NEXT) | instid1(VALU_DEP_1)
	v_mul_f32_e32 v6, v7, v5
	v_fma_f32 v8, -v4, v6, v7
	s_delay_alu instid0(VALU_DEP_1) | instskip(NEXT) | instid1(VALU_DEP_1)
	v_fmac_f32_e32 v6, v8, v5
	v_fma_f32 v4, -v4, v6, v7
	s_delay_alu instid0(VALU_DEP_1) | instskip(NEXT) | instid1(VALU_DEP_1)
	v_div_fmas_f32 v4, v4, v5, v6
	v_div_fixup_f32 v3, v4, v3, s2
	s_add_u32 s2, s4, s0
	s_addc_u32 s3, s5, s1
	s_add_u32 s0, s6, s0
	s_addc_u32 s1, s7, s1
	v_mul_f32_e32 v2, v2, v3
	s_clause 0x1
	global_store_b32 v0, v2, s[2:3]
	global_store_b32 v0, v1, s[0:1]
.LBB273_9:
	s_nop 0
	s_sendmsg sendmsg(MSG_DEALLOC_VGPRS)
	s_endpgm
	.section	.rodata,"a",@progbits
	.p2align	6, 0x0
	.amdhsa_kernel _ZN5aiter24topk_softplus_kernel_optI12hip_bfloat16S1_Li64ELb1ELi1EEEvPKT_PKT0_PfPimiif
		.amdhsa_group_segment_fixed_size 0
		.amdhsa_private_segment_fixed_size 0
		.amdhsa_kernarg_size 52
		.amdhsa_user_sgpr_count 15
		.amdhsa_user_sgpr_dispatch_ptr 0
		.amdhsa_user_sgpr_queue_ptr 0
		.amdhsa_user_sgpr_kernarg_segment_ptr 1
		.amdhsa_user_sgpr_dispatch_id 0
		.amdhsa_user_sgpr_private_segment_size 0
		.amdhsa_wavefront_size32 1
		.amdhsa_uses_dynamic_stack 0
		.amdhsa_enable_private_segment 0
		.amdhsa_system_sgpr_workgroup_id_x 1
		.amdhsa_system_sgpr_workgroup_id_y 0
		.amdhsa_system_sgpr_workgroup_id_z 0
		.amdhsa_system_sgpr_workgroup_info 0
		.amdhsa_system_vgpr_workitem_id 0
		.amdhsa_next_free_vgpr 17
		.amdhsa_next_free_sgpr 16
		.amdhsa_reserve_vcc 1
		.amdhsa_float_round_mode_32 0
		.amdhsa_float_round_mode_16_64 0
		.amdhsa_float_denorm_mode_32 3
		.amdhsa_float_denorm_mode_16_64 3
		.amdhsa_dx10_clamp 1
		.amdhsa_ieee_mode 1
		.amdhsa_fp16_overflow 0
		.amdhsa_workgroup_processor_mode 1
		.amdhsa_memory_ordered 1
		.amdhsa_forward_progress 0
		.amdhsa_shared_vgpr_count 0
		.amdhsa_exception_fp_ieee_invalid_op 0
		.amdhsa_exception_fp_denorm_src 0
		.amdhsa_exception_fp_ieee_div_zero 0
		.amdhsa_exception_fp_ieee_overflow 0
		.amdhsa_exception_fp_ieee_underflow 0
		.amdhsa_exception_fp_ieee_inexact 0
		.amdhsa_exception_int_div_zero 0
	.end_amdhsa_kernel
	.section	.text._ZN5aiter24topk_softplus_kernel_optI12hip_bfloat16S1_Li64ELb1ELi1EEEvPKT_PKT0_PfPimiif,"axG",@progbits,_ZN5aiter24topk_softplus_kernel_optI12hip_bfloat16S1_Li64ELb1ELi1EEEvPKT_PKT0_PfPimiif,comdat
.Lfunc_end273:
	.size	_ZN5aiter24topk_softplus_kernel_optI12hip_bfloat16S1_Li64ELb1ELi1EEEvPKT_PKT0_PfPimiif, .Lfunc_end273-_ZN5aiter24topk_softplus_kernel_optI12hip_bfloat16S1_Li64ELb1ELi1EEEvPKT_PKT0_PfPimiif
                                        ; -- End function
	.section	.AMDGPU.csdata,"",@progbits
; Kernel info:
; codeLenInByte = 956
; NumSgprs: 18
; NumVgprs: 17
; ScratchSize: 0
; MemoryBound: 0
; FloatMode: 240
; IeeeMode: 1
; LDSByteSize: 0 bytes/workgroup (compile time only)
; SGPRBlocks: 2
; VGPRBlocks: 2
; NumSGPRsForWavesPerEU: 18
; NumVGPRsForWavesPerEU: 17
; Occupancy: 16
; WaveLimiterHint : 0
; COMPUTE_PGM_RSRC2:SCRATCH_EN: 0
; COMPUTE_PGM_RSRC2:USER_SGPR: 15
; COMPUTE_PGM_RSRC2:TRAP_HANDLER: 0
; COMPUTE_PGM_RSRC2:TGID_X_EN: 1
; COMPUTE_PGM_RSRC2:TGID_Y_EN: 0
; COMPUTE_PGM_RSRC2:TGID_Z_EN: 0
; COMPUTE_PGM_RSRC2:TIDIG_COMP_CNT: 0
	.section	.text._ZN5aiter24topk_softplus_kernel_optI12hip_bfloat16S1_Li64ELb0ELi1EEEvPKT_PKT0_PfPimiif,"axG",@progbits,_ZN5aiter24topk_softplus_kernel_optI12hip_bfloat16S1_Li64ELb0ELi1EEEvPKT_PKT0_PfPimiif,comdat
	.protected	_ZN5aiter24topk_softplus_kernel_optI12hip_bfloat16S1_Li64ELb0ELi1EEEvPKT_PKT0_PfPimiif ; -- Begin function _ZN5aiter24topk_softplus_kernel_optI12hip_bfloat16S1_Li64ELb0ELi1EEEvPKT_PKT0_PfPimiif
	.globl	_ZN5aiter24topk_softplus_kernel_optI12hip_bfloat16S1_Li64ELb0ELi1EEEvPKT_PKT0_PfPimiif
	.p2align	8
	.type	_ZN5aiter24topk_softplus_kernel_optI12hip_bfloat16S1_Li64ELb0ELi1EEEvPKT_PKT0_PfPimiif,@function
_ZN5aiter24topk_softplus_kernel_optI12hip_bfloat16S1_Li64ELb0ELi1EEEvPKT_PKT0_PfPimiif: ; @_ZN5aiter24topk_softplus_kernel_optI12hip_bfloat16S1_Li64ELb0ELi1EEEvPKT_PKT0_PfPimiif
; %bb.0:
	s_load_b128 s[4:7], s[0:1], 0x0
	s_lshl_b32 s2, s15, 6
	v_lshlrev_b32_e32 v3, 1, v0
	s_ashr_i32 s3, s2, 31
	s_delay_alu instid0(SALU_CYCLE_1)
	s_lshl_b64 s[2:3], s[2:3], 1
	s_waitcnt lgkmcnt(0)
	s_add_u32 s4, s4, s2
	s_addc_u32 s5, s5, s3
	s_cmp_lg_u64 s[6:7], 0
	global_load_u16 v1, v3, s[4:5]
	s_cselect_b32 s2, -1, 0
	s_waitcnt vmcnt(0)
	v_lshlrev_b32_e32 v1, 16, v1
	s_delay_alu instid0(VALU_DEP_1) | instskip(NEXT) | instid1(VALU_DEP_1)
	v_mul_f32_e32 v2, 0xbfb8aa3b, v1
	v_cmp_gt_f32_e32 vcc_lo, 0xc2fc0000, v2
	v_cndmask_b32_e64 v2, 0, 0x42800000, vcc_lo
	s_delay_alu instid0(VALU_DEP_1) | instskip(NEXT) | instid1(VALU_DEP_1)
	v_fmac_f32_e32 v2, 0xbfb8aa3b, v1
	v_exp_f32_e32 v1, v2
	v_cndmask_b32_e64 v2, 1.0, 0x1f800000, vcc_lo
	s_and_b32 vcc_lo, exec_lo, s2
	s_waitcnt_depctr 0xfff
	v_fma_f32 v1, v1, v2, 1.0
	s_delay_alu instid0(VALU_DEP_1) | instskip(SKIP_1) | instid1(VALU_DEP_1)
	v_rcp_f32_e32 v8, v1
	v_add_co_u32 v1, s3, s4, v3
	v_add_co_ci_u32_e64 v2, null, s5, 0, s3
	s_waitcnt_depctr 0xfff
	v_mov_b32_e32 v6, v8
	s_cbranch_vccz .LBB274_2
; %bb.1:
	global_load_u16 v4, v3, s[6:7]
	s_waitcnt vmcnt(0)
	v_lshlrev_b32_e32 v4, 16, v4
	s_delay_alu instid0(VALU_DEP_1)
	v_add_f32_e32 v6, v8, v4
.LBB274_2:
	global_load_u16 v1, v[1:2], off offset:64
	s_waitcnt vmcnt(0)
	v_lshlrev_b32_e32 v1, 16, v1
	s_delay_alu instid0(VALU_DEP_1) | instskip(NEXT) | instid1(VALU_DEP_1)
	v_mul_f32_e32 v2, 0xbfb8aa3b, v1
	v_cmp_gt_f32_e32 vcc_lo, 0xc2fc0000, v2
	v_cndmask_b32_e64 v2, 0, 0x42800000, vcc_lo
	s_delay_alu instid0(VALU_DEP_1) | instskip(NEXT) | instid1(VALU_DEP_1)
	v_fmac_f32_e32 v2, 0xbfb8aa3b, v1
	v_exp_f32_e32 v1, v2
	v_cndmask_b32_e64 v2, 1.0, 0x1f800000, vcc_lo
	s_and_not1_b32 vcc_lo, exec_lo, s2
	s_waitcnt_depctr 0xfff
	v_fma_f32 v1, v1, v2, 1.0
	s_delay_alu instid0(VALU_DEP_1)
	v_rcp_f32_e32 v2, v1
	s_waitcnt_depctr 0xfff
	v_mov_b32_e32 v7, v2
	s_cbranch_vccnz .LBB274_4
; %bb.3:
	global_load_u16 v1, v3, s[6:7] offset:64
	s_waitcnt vmcnt(0)
	v_lshlrev_b32_e32 v1, 16, v1
	s_delay_alu instid0(VALU_DEP_1)
	v_add_f32_e32 v7, v2, v1
.LBB274_4:
	s_clause 0x1
	s_load_b32 s8, s[0:1], 0x28
	s_load_b128 s[4:7], s[0:1], 0x10
	v_mov_b32_e32 v1, 0
	s_waitcnt lgkmcnt(0)
	s_cmp_gt_i32 s8, 0
	s_cbranch_scc0 .LBB274_10
; %bb.5:
	v_cmp_lt_f32_e32 vcc_lo, v6, v7
	v_add_nc_u32_e32 v1, 32, v0
	v_dual_mov_b32 v9, 0 :: v_dual_mov_b32 v10, v0
	s_mov_b32 s9, 0x76543210
	v_dual_cndmask_b32 v5, v7, v6 :: v_dual_cndmask_b32 v6, v6, v7
	s_delay_alu instid0(VALU_DEP_3)
	v_dual_cndmask_b32 v3, v1, v0 :: v_dual_cndmask_b32 v4, v0, v1
	v_dual_cndmask_b32 v7, v2, v8 :: v_dual_cndmask_b32 v8, v8, v2
	v_dual_mov_b32 v2, 0 :: v_dual_mov_b32 v1, 0
	s_mov_b32 s10, s8
.LBB274_6:                              ; =>This Inner Loop Header: Depth=1
	v_cmp_eq_u32_e32 vcc_lo, 1, v9
	v_cmp_gt_u32_e64 s2, 2, v9
	v_cndmask_b32_e32 v11, v6, v5, vcc_lo
	s_delay_alu instid0(VALU_DEP_1)
	v_cndmask_b32_e64 v11, 0xff800000, v11, s2
	;;#ASMSTART
	v_max_f32 v12, v11, v11 quad_perm:[1,0,3,2] row_mask:0xf bank_mask:0xf bound_ctrl:1
	;;#ASMEND
	;;#ASMSTART
	v_max_f32 v13, v12, v12 quad_perm:[2,3,0,1] row_mask:0xf bank_mask:0xf bound_ctrl:1
	;;#ASMEND
	;;#ASMSTART
	v_max_f32 v12, v13, v13 row_half_mirror row_mask:0xf bank_mask:0xf bound_ctrl:1
	;;#ASMEND
	;;#ASMSTART
	v_max_f32 v13, v12, v12 row_mirror row_mask:0xf bank_mask:0xf bound_ctrl:1
	;;#ASMEND
	v_permlanex16_b32 v12, v13, s9, 0xfedcba98 op_sel:[1,1]
	s_delay_alu instid0(VALU_DEP_1) | instskip(NEXT) | instid1(VALU_DEP_1)
	v_dual_max_f32 v13, v13, v13 :: v_dual_max_f32 v12, v12, v12
	v_dual_max_f32 v12, v13, v12 :: v_dual_cndmask_b32 v13, v4, v3
	s_delay_alu instid0(VALU_DEP_1) | instskip(NEXT) | instid1(VALU_DEP_2)
	v_cmp_eq_f32_e64 s3, v11, v12
	v_cndmask_b32_e64 v11, 0, v13, s2
	s_delay_alu instid0(VALU_DEP_2)
	s_ctz_i32_b32 s11, s3
	s_cmp_lg_u32 s3, 0
	s_cselect_b32 s3, s11, 0
	s_add_i32 s10, s10, -1
	v_readlane_b32 s3, v11, s3
	v_cndmask_b32_e32 v11, v8, v7, vcc_lo
	s_delay_alu instid0(VALU_DEP_2) | instskip(SKIP_2) | instid1(VALU_DEP_2)
	v_cmp_eq_u32_e32 vcc_lo, s3, v13
	s_and_b32 vcc_lo, s2, vcc_lo
	s_and_b32 s2, s3, 31
	v_cndmask_b32_e32 v11, 0, v11, vcc_lo
	v_add_co_ci_u32_e32 v9, vcc_lo, 0, v9, vcc_lo
	s_cmp_eq_u32 s10, 0
	s_delay_alu instid0(VALU_DEP_2) | instskip(SKIP_2) | instid1(VALU_DEP_2)
	v_readlane_b32 s11, v11, s2
	v_cmp_eq_u32_e64 s2, 0, v10
	v_add_nc_u32_e32 v10, -1, v10
	v_cndmask_b32_e64 v2, v2, s11, s2
	v_cndmask_b32_e64 v1, v1, s3, s2
	s_cbranch_scc0 .LBB274_6
; %bb.7:
	s_mov_b32 s2, exec_lo
	v_cmpx_gt_i32_e64 s8, v0
	s_cbranch_execz .LBB274_9
.LBB274_8:
	s_clause 0x1
	s_load_b64 s[2:3], s[0:1], 0x20
	s_load_b32 s8, s[0:1], 0x30
	s_ashr_i32 s0, s15, 31
	v_lshlrev_b32_e32 v0, 2, v0
	s_waitcnt lgkmcnt(0)
	s_mul_i32 s1, s15, s3
	s_mul_hi_u32 s3, s15, s2
	s_mul_i32 s0, s0, s2
	s_add_i32 s1, s3, s1
	v_mul_f32_e32 v2, s8, v2
	s_add_i32 s1, s1, s0
	s_mul_i32 s0, s15, s2
	s_delay_alu instid0(SALU_CYCLE_1) | instskip(NEXT) | instid1(SALU_CYCLE_1)
	s_lshl_b64 s[0:1], s[0:1], 2
	s_add_u32 s2, s4, s0
	s_addc_u32 s3, s5, s1
	s_add_u32 s0, s6, s0
	s_addc_u32 s1, s7, s1
	s_clause 0x1
	global_store_b32 v0, v2, s[2:3]
	global_store_b32 v0, v1, s[0:1]
.LBB274_9:
	s_nop 0
	s_sendmsg sendmsg(MSG_DEALLOC_VGPRS)
	s_endpgm
.LBB274_10:
	v_mov_b32_e32 v2, 0
	s_mov_b32 s2, exec_lo
	v_cmpx_gt_i32_e64 s8, v0
	s_cbranch_execnz .LBB274_8
	s_branch .LBB274_9
	.section	.rodata,"a",@progbits
	.p2align	6, 0x0
	.amdhsa_kernel _ZN5aiter24topk_softplus_kernel_optI12hip_bfloat16S1_Li64ELb0ELi1EEEvPKT_PKT0_PfPimiif
		.amdhsa_group_segment_fixed_size 0
		.amdhsa_private_segment_fixed_size 0
		.amdhsa_kernarg_size 52
		.amdhsa_user_sgpr_count 15
		.amdhsa_user_sgpr_dispatch_ptr 0
		.amdhsa_user_sgpr_queue_ptr 0
		.amdhsa_user_sgpr_kernarg_segment_ptr 1
		.amdhsa_user_sgpr_dispatch_id 0
		.amdhsa_user_sgpr_private_segment_size 0
		.amdhsa_wavefront_size32 1
		.amdhsa_uses_dynamic_stack 0
		.amdhsa_enable_private_segment 0
		.amdhsa_system_sgpr_workgroup_id_x 1
		.amdhsa_system_sgpr_workgroup_id_y 0
		.amdhsa_system_sgpr_workgroup_id_z 0
		.amdhsa_system_sgpr_workgroup_info 0
		.amdhsa_system_vgpr_workitem_id 0
		.amdhsa_next_free_vgpr 14
		.amdhsa_next_free_sgpr 16
		.amdhsa_reserve_vcc 1
		.amdhsa_float_round_mode_32 0
		.amdhsa_float_round_mode_16_64 0
		.amdhsa_float_denorm_mode_32 3
		.amdhsa_float_denorm_mode_16_64 3
		.amdhsa_dx10_clamp 1
		.amdhsa_ieee_mode 1
		.amdhsa_fp16_overflow 0
		.amdhsa_workgroup_processor_mode 1
		.amdhsa_memory_ordered 1
		.amdhsa_forward_progress 0
		.amdhsa_shared_vgpr_count 0
		.amdhsa_exception_fp_ieee_invalid_op 0
		.amdhsa_exception_fp_denorm_src 0
		.amdhsa_exception_fp_ieee_div_zero 0
		.amdhsa_exception_fp_ieee_overflow 0
		.amdhsa_exception_fp_ieee_underflow 0
		.amdhsa_exception_fp_ieee_inexact 0
		.amdhsa_exception_int_div_zero 0
	.end_amdhsa_kernel
	.section	.text._ZN5aiter24topk_softplus_kernel_optI12hip_bfloat16S1_Li64ELb0ELi1EEEvPKT_PKT0_PfPimiif,"axG",@progbits,_ZN5aiter24topk_softplus_kernel_optI12hip_bfloat16S1_Li64ELb0ELi1EEEvPKT_PKT0_PfPimiif,comdat
.Lfunc_end274:
	.size	_ZN5aiter24topk_softplus_kernel_optI12hip_bfloat16S1_Li64ELb0ELi1EEEvPKT_PKT0_PfPimiif, .Lfunc_end274-_ZN5aiter24topk_softplus_kernel_optI12hip_bfloat16S1_Li64ELb0ELi1EEEvPKT_PKT0_PfPimiif
                                        ; -- End function
	.section	.AMDGPU.csdata,"",@progbits
; Kernel info:
; codeLenInByte = 860
; NumSgprs: 18
; NumVgprs: 14
; ScratchSize: 0
; MemoryBound: 0
; FloatMode: 240
; IeeeMode: 1
; LDSByteSize: 0 bytes/workgroup (compile time only)
; SGPRBlocks: 2
; VGPRBlocks: 1
; NumSGPRsForWavesPerEU: 18
; NumVGPRsForWavesPerEU: 14
; Occupancy: 16
; WaveLimiterHint : 0
; COMPUTE_PGM_RSRC2:SCRATCH_EN: 0
; COMPUTE_PGM_RSRC2:USER_SGPR: 15
; COMPUTE_PGM_RSRC2:TRAP_HANDLER: 0
; COMPUTE_PGM_RSRC2:TGID_X_EN: 1
; COMPUTE_PGM_RSRC2:TGID_Y_EN: 0
; COMPUTE_PGM_RSRC2:TGID_Z_EN: 0
; COMPUTE_PGM_RSRC2:TIDIG_COMP_CNT: 0
	.section	.text._ZN5aiter24topk_softplus_kernel_optI12hip_bfloat16S1_Li128ELb1ELi1EEEvPKT_PKT0_PfPimiif,"axG",@progbits,_ZN5aiter24topk_softplus_kernel_optI12hip_bfloat16S1_Li128ELb1ELi1EEEvPKT_PKT0_PfPimiif,comdat
	.protected	_ZN5aiter24topk_softplus_kernel_optI12hip_bfloat16S1_Li128ELb1ELi1EEEvPKT_PKT0_PfPimiif ; -- Begin function _ZN5aiter24topk_softplus_kernel_optI12hip_bfloat16S1_Li128ELb1ELi1EEEvPKT_PKT0_PfPimiif
	.globl	_ZN5aiter24topk_softplus_kernel_optI12hip_bfloat16S1_Li128ELb1ELi1EEEvPKT_PKT0_PfPimiif
	.p2align	8
	.type	_ZN5aiter24topk_softplus_kernel_optI12hip_bfloat16S1_Li128ELb1ELi1EEEvPKT_PKT0_PfPimiif,@function
_ZN5aiter24topk_softplus_kernel_optI12hip_bfloat16S1_Li128ELb1ELi1EEEvPKT_PKT0_PfPimiif: ; @_ZN5aiter24topk_softplus_kernel_optI12hip_bfloat16S1_Li128ELb1ELi1EEEvPKT_PKT0_PfPimiif
; %bb.0:
	s_load_b128 s[4:7], s[0:1], 0x0
	s_lshl_b32 s2, s15, 7
	v_lshlrev_b32_e32 v3, 1, v0
	s_ashr_i32 s3, s2, 31
	s_delay_alu instid0(SALU_CYCLE_1)
	s_lshl_b64 s[2:3], s[2:3], 1
	s_waitcnt lgkmcnt(0)
	s_add_u32 s4, s4, s2
	s_addc_u32 s5, s5, s3
	s_cmp_lg_u64 s[6:7], 0
	global_load_u16 v1, v3, s[4:5]
	s_cselect_b32 s2, -1, 0
	s_waitcnt vmcnt(0)
	v_lshlrev_b32_e32 v1, 16, v1
	s_delay_alu instid0(VALU_DEP_1) | instskip(NEXT) | instid1(VALU_DEP_1)
	v_mul_f32_e32 v2, 0xbfb8aa3b, v1
	v_cmp_gt_f32_e32 vcc_lo, 0xc2fc0000, v2
	v_cndmask_b32_e64 v2, 0, 0x42800000, vcc_lo
	s_delay_alu instid0(VALU_DEP_1) | instskip(NEXT) | instid1(VALU_DEP_1)
	v_fmac_f32_e32 v2, 0xbfb8aa3b, v1
	v_exp_f32_e32 v1, v2
	v_cndmask_b32_e64 v2, 1.0, 0x1f800000, vcc_lo
	s_and_b32 vcc_lo, exec_lo, s2
	s_waitcnt_depctr 0xfff
	v_fma_f32 v1, v1, v2, 1.0
	s_delay_alu instid0(VALU_DEP_1) | instskip(SKIP_1) | instid1(VALU_DEP_1)
	v_rcp_f32_e32 v5, v1
	v_add_co_u32 v1, s3, s4, v3
	v_add_co_ci_u32_e64 v2, null, s5, 0, s3
	s_waitcnt_depctr 0xfff
	v_mov_b32_e32 v10, v5
	s_cbranch_vccz .LBB275_2
; %bb.1:
	global_load_u16 v4, v3, s[6:7]
	s_waitcnt vmcnt(0)
	v_lshlrev_b32_e32 v4, 16, v4
	s_delay_alu instid0(VALU_DEP_1)
	v_add_f32_e32 v10, v5, v4
.LBB275_2:
	global_load_u16 v4, v[1:2], off offset:64
	v_cndmask_b32_e64 v7, 0, 1, s2
	s_waitcnt vmcnt(0)
	v_lshlrev_b32_e32 v4, 16, v4
	s_delay_alu instid0(VALU_DEP_1) | instskip(NEXT) | instid1(VALU_DEP_1)
	v_mul_f32_e32 v6, 0xbfb8aa3b, v4
	v_cmp_gt_f32_e32 vcc_lo, 0xc2fc0000, v6
	v_cndmask_b32_e64 v6, 0, 0x42800000, vcc_lo
	s_delay_alu instid0(VALU_DEP_1) | instskip(NEXT) | instid1(VALU_DEP_1)
	v_fmac_f32_e32 v6, 0xbfb8aa3b, v4
	v_exp_f32_e32 v4, v6
	v_cndmask_b32_e64 v6, 1.0, 0x1f800000, vcc_lo
	s_and_not1_b32 vcc_lo, exec_lo, s2
	s_waitcnt_depctr 0xfff
	v_fma_f32 v4, v4, v6, 1.0
	s_delay_alu instid0(VALU_DEP_1)
	v_rcp_f32_e32 v8, v4
	s_waitcnt_depctr 0xfff
	v_mov_b32_e32 v11, v8
	s_cbranch_vccnz .LBB275_4
; %bb.3:
	global_load_u16 v4, v3, s[6:7] offset:64
	s_waitcnt vmcnt(0)
	v_lshlrev_b32_e32 v4, 16, v4
	s_delay_alu instid0(VALU_DEP_1)
	v_add_f32_e32 v11, v8, v4
.LBB275_4:
	global_load_u16 v4, v[1:2], off offset:128
	s_waitcnt vmcnt(0)
	v_lshlrev_b32_e32 v4, 16, v4
	s_delay_alu instid0(VALU_DEP_1) | instskip(NEXT) | instid1(VALU_DEP_1)
	v_mul_f32_e32 v6, 0xbfb8aa3b, v4
	v_cmp_gt_f32_e32 vcc_lo, 0xc2fc0000, v6
	v_cndmask_b32_e64 v6, 0, 0x42800000, vcc_lo
	s_delay_alu instid0(VALU_DEP_1) | instskip(NEXT) | instid1(VALU_DEP_1)
	v_fmac_f32_e32 v6, 0xbfb8aa3b, v4
	v_exp_f32_e32 v4, v6
	v_cndmask_b32_e64 v6, 1.0, 0x1f800000, vcc_lo
	v_cmp_ne_u32_e32 vcc_lo, 1, v7
	s_waitcnt_depctr 0xfff
	v_fma_f32 v4, v4, v6, 1.0
	s_delay_alu instid0(VALU_DEP_1)
	v_rcp_f32_e32 v4, v4
	s_waitcnt_depctr 0xfff
	v_mov_b32_e32 v6, v4
	s_cbranch_vccnz .LBB275_6
; %bb.5:
	global_load_u16 v6, v3, s[6:7] offset:128
	s_waitcnt vmcnt(0)
	v_lshlrev_b32_e32 v6, 16, v6
	s_delay_alu instid0(VALU_DEP_1)
	v_add_f32_e32 v6, v4, v6
.LBB275_6:
	global_load_u16 v1, v[1:2], off offset:192
	s_waitcnt vmcnt(0)
	v_lshlrev_b32_e32 v1, 16, v1
	s_delay_alu instid0(VALU_DEP_1) | instskip(NEXT) | instid1(VALU_DEP_1)
	v_mul_f32_e32 v2, 0xbfb8aa3b, v1
	v_cmp_gt_f32_e32 vcc_lo, 0xc2fc0000, v2
	v_cndmask_b32_e64 v2, 0, 0x42800000, vcc_lo
	s_delay_alu instid0(VALU_DEP_1) | instskip(NEXT) | instid1(VALU_DEP_1)
	v_fmac_f32_e32 v2, 0xbfb8aa3b, v1
	v_exp_f32_e32 v1, v2
	v_cndmask_b32_e64 v2, 1.0, 0x1f800000, vcc_lo
	v_cmp_ne_u32_e32 vcc_lo, 1, v7
	s_waitcnt_depctr 0xfff
	v_fma_f32 v1, v1, v2, 1.0
	s_delay_alu instid0(VALU_DEP_1)
	v_rcp_f32_e32 v1, v1
	s_waitcnt_depctr 0xfff
	v_mov_b32_e32 v2, v1
	s_cbranch_vccnz .LBB275_8
; %bb.7:
	global_load_u16 v2, v3, s[6:7] offset:192
	s_waitcnt vmcnt(0)
	v_lshlrev_b32_e32 v2, 16, v2
	s_delay_alu instid0(VALU_DEP_1)
	v_add_f32_e32 v2, v1, v2
.LBB275_8:
	v_cmp_lt_f32_e32 vcc_lo, v10, v11
	v_add_nc_u32_e32 v12, 32, v0
	v_add_nc_u32_e32 v14, 64, v0
	;; [unrolled: 1-line block ×3, first 2 shown]
	s_mov_b32 s2, exec_lo
	v_cndmask_b32_e32 v7, v8, v5, vcc_lo
	v_cndmask_b32_e32 v5, v5, v8, vcc_lo
	v_cndmask_b32_e32 v9, v12, v0, vcc_lo
	v_dual_cndmask_b32 v13, v0, v12 :: v_dual_cndmask_b32 v8, v11, v10
	v_cndmask_b32_e32 v10, v10, v11, vcc_lo
	v_mov_b32_e32 v11, v6
	v_cmpx_lt_f32_e32 v6, v2
	s_xor_b32 s2, exec_lo, s2
; %bb.9:
	v_mov_b32_e32 v15, v6
	v_dual_mov_b32 v11, v4 :: v_dual_mov_b32 v12, v14
	v_swap_b32 v4, v1
	v_swap_b32 v14, v3
	v_mov_b32_e32 v6, v2
	v_dual_mov_b32 v11, v2 :: v_dual_mov_b32 v2, v15
; %bb.10:
	s_or_b32 exec_lo, exec_lo, s2
	s_delay_alu instid0(VALU_DEP_2)
	v_cmp_lt_f32_e32 vcc_lo, v10, v6
	s_mov_b32 s2, exec_lo
	v_dual_cndmask_b32 v15, v4, v5 :: v_dual_cndmask_b32 v4, v5, v4
	v_dual_cndmask_b32 v12, v14, v13 :: v_dual_cndmask_b32 v5, v13, v14
	v_dual_cndmask_b32 v13, v11, v10 :: v_dual_mov_b32 v14, v8
	v_cndmask_b32_e32 v6, v10, v6, vcc_lo
	v_cmpx_lt_f32_e32 v8, v2
; %bb.11:
	v_mov_b32_e32 v16, v8
	v_dual_mov_b32 v10, v7 :: v_dual_mov_b32 v11, v9
	v_swap_b32 v7, v1
	v_swap_b32 v9, v3
	v_mov_b32_e32 v8, v2
	v_mov_b32_e32 v14, v2
	;; [unrolled: 1-line block ×3, first 2 shown]
; %bb.12:
	s_or_b32 exec_lo, exec_lo, s2
	s_clause 0x1
	s_load_b32 s8, s[0:1], 0x28
	s_load_b128 s[4:7], s[0:1], 0x10
	v_mov_b32_e32 v10, 0
	s_waitcnt lgkmcnt(0)
	s_cmp_lt_i32 s8, 1
	s_cbranch_scc1 .LBB275_18
; %bb.13:
	v_cmp_lt_f32_e32 vcc_lo, v8, v13
	v_mov_b32_e32 v17, v0
	s_mov_b32 s9, 0x76543210
	s_mov_b32 s10, s8
	v_dual_mov_b32 v10, 0 :: v_dual_cndmask_b32 v11, v12, v9
	v_cndmask_b32_e32 v9, v9, v12, vcc_lo
	v_dual_cndmask_b32 v12, v13, v8 :: v_dual_cndmask_b32 v13, v14, v13
	v_cndmask_b32_e32 v14, v15, v7, vcc_lo
	v_dual_cndmask_b32 v15, v7, v15 :: v_dual_mov_b32 v16, 0
	v_dual_mov_b32 v7, 0 :: v_dual_mov_b32 v8, 0
.LBB275_14:                             ; =>This Inner Loop Header: Depth=1
	s_delay_alu instid0(VALU_DEP_2) | instskip(SKIP_1) | instid1(VALU_DEP_4)
	v_cmp_eq_u32_e32 vcc_lo, 1, v16
	v_cmp_eq_u32_e64 s2, 2, v16
	v_dual_cndmask_b32 v19, v5, v9 :: v_dual_cndmask_b32 v20, v4, v15
	s_delay_alu instid0(VALU_DEP_1) | instskip(SKIP_2) | instid1(VALU_DEP_4)
	v_cndmask_b32_e64 v19, v19, v11, s2
	v_cndmask_b32_e32 v18, v6, v13, vcc_lo
	v_cmp_eq_u32_e32 vcc_lo, 3, v16
	v_cndmask_b32_e64 v20, v20, v14, s2
	s_delay_alu instid0(VALU_DEP_4) | instskip(NEXT) | instid1(VALU_DEP_4)
	v_cndmask_b32_e32 v19, v19, v3, vcc_lo
	v_cndmask_b32_e64 v18, v18, v12, s2
	v_cmp_gt_u32_e64 s2, 4, v16
	s_delay_alu instid0(VALU_DEP_2) | instskip(NEXT) | instid1(VALU_DEP_2)
	v_cndmask_b32_e32 v18, v18, v2, vcc_lo
	v_cndmask_b32_e64 v21, 0, v19, s2
	s_delay_alu instid0(VALU_DEP_2)
	v_cndmask_b32_e64 v18, 0xff800000, v18, s2
	;;#ASMSTART
	v_max_f32 v22, v18, v18 quad_perm:[1,0,3,2] row_mask:0xf bank_mask:0xf bound_ctrl:1
	;;#ASMEND
	;;#ASMSTART
	v_max_f32 v23, v22, v22 quad_perm:[2,3,0,1] row_mask:0xf bank_mask:0xf bound_ctrl:1
	;;#ASMEND
	;;#ASMSTART
	v_max_f32 v22, v23, v23 row_half_mirror row_mask:0xf bank_mask:0xf bound_ctrl:1
	;;#ASMEND
	;;#ASMSTART
	v_max_f32 v23, v22, v22 row_mirror row_mask:0xf bank_mask:0xf bound_ctrl:1
	;;#ASMEND
	v_permlanex16_b32 v22, v23, s9, 0xfedcba98 op_sel:[1,1]
	s_delay_alu instid0(VALU_DEP_1) | instskip(NEXT) | instid1(VALU_DEP_1)
	v_dual_max_f32 v23, v23, v23 :: v_dual_max_f32 v22, v22, v22
	v_max_f32_e32 v22, v23, v22
	s_delay_alu instid0(VALU_DEP_1) | instskip(SKIP_1) | instid1(VALU_DEP_2)
	v_cmp_eq_f32_e64 s3, v18, v22
	v_cndmask_b32_e32 v18, v20, v1, vcc_lo
	s_ctz_i32_b32 s11, s3
	s_cmp_lg_u32 s3, 0
	s_cselect_b32 s3, s11, 0
	s_add_i32 s10, s10, -1
	v_readlane_b32 s3, v21, s3
	s_delay_alu instid0(VALU_DEP_1)
	v_cmp_eq_u32_e32 vcc_lo, s3, v19
	s_and_b32 vcc_lo, s2, vcc_lo
	s_and_b32 s2, s3, 31
	v_cndmask_b32_e32 v18, 0, v18, vcc_lo
	v_add_co_ci_u32_e32 v16, vcc_lo, 0, v16, vcc_lo
	s_cmp_eq_u32 s10, 0
	s_delay_alu instid0(VALU_DEP_2) | instskip(SKIP_1) | instid1(VALU_DEP_2)
	v_readlane_b32 s11, v18, s2
	v_cmp_eq_u32_e64 s2, 0, v17
	v_dual_add_f32 v10, s11, v10 :: v_dual_add_nc_u32 v17, -1, v17
	s_delay_alu instid0(VALU_DEP_2)
	v_cndmask_b32_e64 v8, v8, s11, s2
	v_cndmask_b32_e64 v7, v7, s3, s2
	s_cbranch_scc0 .LBB275_14
; %bb.15:
	s_mov_b32 s2, exec_lo
	v_cmpx_gt_i32_e64 s8, v0
	s_cbranch_execz .LBB275_17
.LBB275_16:
	s_load_b32 s2, s[0:1], 0x30
	v_max_f32_e32 v1, v10, v10
	s_load_b64 s[0:1], s[0:1], 0x20
	s_ashr_i32 s3, s15, 31
	s_delay_alu instid0(VALU_DEP_1) | instskip(SKIP_1) | instid1(VALU_DEP_1)
	v_dual_max_f32 v1, 0x1e3ce508, v1 :: v_dual_lshlrev_b32 v0, 2, v0
	s_waitcnt lgkmcnt(0)
	v_div_scale_f32 v2, null, v1, v1, s2
	v_div_scale_f32 v5, vcc_lo, s2, v1, s2
	s_mul_i32 s1, s15, s1
	s_delay_alu instid0(VALU_DEP_2)
	v_rcp_f32_e32 v3, v2
	s_mul_hi_u32 s8, s15, s0
	s_mul_i32 s3, s3, s0
	s_add_i32 s1, s8, s1
	s_mul_i32 s0, s15, s0
	s_add_i32 s1, s1, s3
	s_delay_alu instid0(SALU_CYCLE_1) | instskip(SKIP_2) | instid1(VALU_DEP_1)
	s_lshl_b64 s[0:1], s[0:1], 2
	s_waitcnt_depctr 0xfff
	v_fma_f32 v4, -v2, v3, 1.0
	v_fmac_f32_e32 v3, v4, v3
	s_delay_alu instid0(VALU_DEP_1) | instskip(NEXT) | instid1(VALU_DEP_1)
	v_mul_f32_e32 v4, v5, v3
	v_fma_f32 v6, -v2, v4, v5
	s_delay_alu instid0(VALU_DEP_1) | instskip(NEXT) | instid1(VALU_DEP_1)
	v_fmac_f32_e32 v4, v6, v3
	v_fma_f32 v2, -v2, v4, v5
	s_delay_alu instid0(VALU_DEP_1) | instskip(NEXT) | instid1(VALU_DEP_1)
	v_div_fmas_f32 v2, v2, v3, v4
	v_div_fixup_f32 v1, v2, v1, s2
	s_add_u32 s2, s4, s0
	s_addc_u32 s3, s5, s1
	s_add_u32 s0, s6, s0
	s_addc_u32 s1, s7, s1
	v_mul_f32_e32 v1, v8, v1
	s_clause 0x1
	global_store_b32 v0, v1, s[2:3]
	global_store_b32 v0, v7, s[0:1]
.LBB275_17:
	s_nop 0
	s_sendmsg sendmsg(MSG_DEALLOC_VGPRS)
	s_endpgm
.LBB275_18:
	v_dual_mov_b32 v7, 0 :: v_dual_mov_b32 v8, 0
	s_mov_b32 s2, exec_lo
	v_cmpx_gt_i32_e64 s8, v0
	s_cbranch_execnz .LBB275_16
	s_branch .LBB275_17
	.section	.rodata,"a",@progbits
	.p2align	6, 0x0
	.amdhsa_kernel _ZN5aiter24topk_softplus_kernel_optI12hip_bfloat16S1_Li128ELb1ELi1EEEvPKT_PKT0_PfPimiif
		.amdhsa_group_segment_fixed_size 0
		.amdhsa_private_segment_fixed_size 0
		.amdhsa_kernarg_size 52
		.amdhsa_user_sgpr_count 15
		.amdhsa_user_sgpr_dispatch_ptr 0
		.amdhsa_user_sgpr_queue_ptr 0
		.amdhsa_user_sgpr_kernarg_segment_ptr 1
		.amdhsa_user_sgpr_dispatch_id 0
		.amdhsa_user_sgpr_private_segment_size 0
		.amdhsa_wavefront_size32 1
		.amdhsa_uses_dynamic_stack 0
		.amdhsa_enable_private_segment 0
		.amdhsa_system_sgpr_workgroup_id_x 1
		.amdhsa_system_sgpr_workgroup_id_y 0
		.amdhsa_system_sgpr_workgroup_id_z 0
		.amdhsa_system_sgpr_workgroup_info 0
		.amdhsa_system_vgpr_workitem_id 0
		.amdhsa_next_free_vgpr 24
		.amdhsa_next_free_sgpr 16
		.amdhsa_reserve_vcc 1
		.amdhsa_float_round_mode_32 0
		.amdhsa_float_round_mode_16_64 0
		.amdhsa_float_denorm_mode_32 3
		.amdhsa_float_denorm_mode_16_64 3
		.amdhsa_dx10_clamp 1
		.amdhsa_ieee_mode 1
		.amdhsa_fp16_overflow 0
		.amdhsa_workgroup_processor_mode 1
		.amdhsa_memory_ordered 1
		.amdhsa_forward_progress 0
		.amdhsa_shared_vgpr_count 0
		.amdhsa_exception_fp_ieee_invalid_op 0
		.amdhsa_exception_fp_denorm_src 0
		.amdhsa_exception_fp_ieee_div_zero 0
		.amdhsa_exception_fp_ieee_overflow 0
		.amdhsa_exception_fp_ieee_underflow 0
		.amdhsa_exception_fp_ieee_inexact 0
		.amdhsa_exception_int_div_zero 0
	.end_amdhsa_kernel
	.section	.text._ZN5aiter24topk_softplus_kernel_optI12hip_bfloat16S1_Li128ELb1ELi1EEEvPKT_PKT0_PfPimiif,"axG",@progbits,_ZN5aiter24topk_softplus_kernel_optI12hip_bfloat16S1_Li128ELb1ELi1EEEvPKT_PKT0_PfPimiif,comdat
.Lfunc_end275:
	.size	_ZN5aiter24topk_softplus_kernel_optI12hip_bfloat16S1_Li128ELb1ELi1EEEvPKT_PKT0_PfPimiif, .Lfunc_end275-_ZN5aiter24topk_softplus_kernel_optI12hip_bfloat16S1_Li128ELb1ELi1EEEvPKT_PKT0_PfPimiif
                                        ; -- End function
	.section	.AMDGPU.csdata,"",@progbits
; Kernel info:
; codeLenInByte = 1488
; NumSgprs: 18
; NumVgprs: 24
; ScratchSize: 0
; MemoryBound: 0
; FloatMode: 240
; IeeeMode: 1
; LDSByteSize: 0 bytes/workgroup (compile time only)
; SGPRBlocks: 2
; VGPRBlocks: 2
; NumSGPRsForWavesPerEU: 18
; NumVGPRsForWavesPerEU: 24
; Occupancy: 16
; WaveLimiterHint : 0
; COMPUTE_PGM_RSRC2:SCRATCH_EN: 0
; COMPUTE_PGM_RSRC2:USER_SGPR: 15
; COMPUTE_PGM_RSRC2:TRAP_HANDLER: 0
; COMPUTE_PGM_RSRC2:TGID_X_EN: 1
; COMPUTE_PGM_RSRC2:TGID_Y_EN: 0
; COMPUTE_PGM_RSRC2:TGID_Z_EN: 0
; COMPUTE_PGM_RSRC2:TIDIG_COMP_CNT: 0
	.section	.text._ZN5aiter24topk_softplus_kernel_optI12hip_bfloat16S1_Li128ELb0ELi1EEEvPKT_PKT0_PfPimiif,"axG",@progbits,_ZN5aiter24topk_softplus_kernel_optI12hip_bfloat16S1_Li128ELb0ELi1EEEvPKT_PKT0_PfPimiif,comdat
	.protected	_ZN5aiter24topk_softplus_kernel_optI12hip_bfloat16S1_Li128ELb0ELi1EEEvPKT_PKT0_PfPimiif ; -- Begin function _ZN5aiter24topk_softplus_kernel_optI12hip_bfloat16S1_Li128ELb0ELi1EEEvPKT_PKT0_PfPimiif
	.globl	_ZN5aiter24topk_softplus_kernel_optI12hip_bfloat16S1_Li128ELb0ELi1EEEvPKT_PKT0_PfPimiif
	.p2align	8
	.type	_ZN5aiter24topk_softplus_kernel_optI12hip_bfloat16S1_Li128ELb0ELi1EEEvPKT_PKT0_PfPimiif,@function
_ZN5aiter24topk_softplus_kernel_optI12hip_bfloat16S1_Li128ELb0ELi1EEEvPKT_PKT0_PfPimiif: ; @_ZN5aiter24topk_softplus_kernel_optI12hip_bfloat16S1_Li128ELb0ELi1EEEvPKT_PKT0_PfPimiif
; %bb.0:
	s_load_b128 s[4:7], s[0:1], 0x0
	s_lshl_b32 s2, s15, 7
	v_lshlrev_b32_e32 v3, 1, v0
	s_ashr_i32 s3, s2, 31
	s_delay_alu instid0(SALU_CYCLE_1)
	s_lshl_b64 s[2:3], s[2:3], 1
	s_waitcnt lgkmcnt(0)
	s_add_u32 s4, s4, s2
	s_addc_u32 s5, s5, s3
	s_cmp_lg_u64 s[6:7], 0
	global_load_u16 v1, v3, s[4:5]
	s_cselect_b32 s2, -1, 0
	s_waitcnt vmcnt(0)
	v_lshlrev_b32_e32 v1, 16, v1
	s_delay_alu instid0(VALU_DEP_1) | instskip(NEXT) | instid1(VALU_DEP_1)
	v_mul_f32_e32 v2, 0xbfb8aa3b, v1
	v_cmp_gt_f32_e32 vcc_lo, 0xc2fc0000, v2
	v_cndmask_b32_e64 v2, 0, 0x42800000, vcc_lo
	s_delay_alu instid0(VALU_DEP_1) | instskip(NEXT) | instid1(VALU_DEP_1)
	v_fmac_f32_e32 v2, 0xbfb8aa3b, v1
	v_exp_f32_e32 v1, v2
	v_cndmask_b32_e64 v2, 1.0, 0x1f800000, vcc_lo
	s_and_b32 vcc_lo, exec_lo, s2
	s_waitcnt_depctr 0xfff
	v_fma_f32 v1, v1, v2, 1.0
	s_delay_alu instid0(VALU_DEP_1) | instskip(SKIP_1) | instid1(VALU_DEP_1)
	v_rcp_f32_e32 v5, v1
	v_add_co_u32 v1, s3, s4, v3
	v_add_co_ci_u32_e64 v2, null, s5, 0, s3
	s_waitcnt_depctr 0xfff
	v_mov_b32_e32 v10, v5
	s_cbranch_vccz .LBB276_2
; %bb.1:
	global_load_u16 v4, v3, s[6:7]
	s_waitcnt vmcnt(0)
	v_lshlrev_b32_e32 v4, 16, v4
	s_delay_alu instid0(VALU_DEP_1)
	v_add_f32_e32 v10, v5, v4
.LBB276_2:
	global_load_u16 v4, v[1:2], off offset:64
	v_cndmask_b32_e64 v7, 0, 1, s2
	s_waitcnt vmcnt(0)
	v_lshlrev_b32_e32 v4, 16, v4
	s_delay_alu instid0(VALU_DEP_1) | instskip(NEXT) | instid1(VALU_DEP_1)
	v_mul_f32_e32 v6, 0xbfb8aa3b, v4
	v_cmp_gt_f32_e32 vcc_lo, 0xc2fc0000, v6
	v_cndmask_b32_e64 v6, 0, 0x42800000, vcc_lo
	s_delay_alu instid0(VALU_DEP_1) | instskip(NEXT) | instid1(VALU_DEP_1)
	v_fmac_f32_e32 v6, 0xbfb8aa3b, v4
	v_exp_f32_e32 v4, v6
	v_cndmask_b32_e64 v6, 1.0, 0x1f800000, vcc_lo
	s_and_not1_b32 vcc_lo, exec_lo, s2
	s_waitcnt_depctr 0xfff
	v_fma_f32 v4, v4, v6, 1.0
	s_delay_alu instid0(VALU_DEP_1)
	v_rcp_f32_e32 v8, v4
	s_waitcnt_depctr 0xfff
	v_mov_b32_e32 v11, v8
	s_cbranch_vccnz .LBB276_4
; %bb.3:
	global_load_u16 v4, v3, s[6:7] offset:64
	s_waitcnt vmcnt(0)
	v_lshlrev_b32_e32 v4, 16, v4
	s_delay_alu instid0(VALU_DEP_1)
	v_add_f32_e32 v11, v8, v4
.LBB276_4:
	global_load_u16 v4, v[1:2], off offset:128
	s_waitcnt vmcnt(0)
	v_lshlrev_b32_e32 v4, 16, v4
	s_delay_alu instid0(VALU_DEP_1) | instskip(NEXT) | instid1(VALU_DEP_1)
	v_mul_f32_e32 v6, 0xbfb8aa3b, v4
	v_cmp_gt_f32_e32 vcc_lo, 0xc2fc0000, v6
	v_cndmask_b32_e64 v6, 0, 0x42800000, vcc_lo
	s_delay_alu instid0(VALU_DEP_1) | instskip(NEXT) | instid1(VALU_DEP_1)
	v_fmac_f32_e32 v6, 0xbfb8aa3b, v4
	v_exp_f32_e32 v4, v6
	v_cndmask_b32_e64 v6, 1.0, 0x1f800000, vcc_lo
	v_cmp_ne_u32_e32 vcc_lo, 1, v7
	s_waitcnt_depctr 0xfff
	v_fma_f32 v4, v4, v6, 1.0
	s_delay_alu instid0(VALU_DEP_1)
	v_rcp_f32_e32 v4, v4
	s_waitcnt_depctr 0xfff
	v_mov_b32_e32 v6, v4
	s_cbranch_vccnz .LBB276_6
; %bb.5:
	global_load_u16 v6, v3, s[6:7] offset:128
	s_waitcnt vmcnt(0)
	v_lshlrev_b32_e32 v6, 16, v6
	s_delay_alu instid0(VALU_DEP_1)
	v_add_f32_e32 v6, v4, v6
.LBB276_6:
	global_load_u16 v1, v[1:2], off offset:192
	s_waitcnt vmcnt(0)
	v_lshlrev_b32_e32 v1, 16, v1
	s_delay_alu instid0(VALU_DEP_1) | instskip(NEXT) | instid1(VALU_DEP_1)
	v_mul_f32_e32 v2, 0xbfb8aa3b, v1
	v_cmp_gt_f32_e32 vcc_lo, 0xc2fc0000, v2
	v_cndmask_b32_e64 v2, 0, 0x42800000, vcc_lo
	s_delay_alu instid0(VALU_DEP_1) | instskip(NEXT) | instid1(VALU_DEP_1)
	v_fmac_f32_e32 v2, 0xbfb8aa3b, v1
	v_exp_f32_e32 v1, v2
	v_cndmask_b32_e64 v2, 1.0, 0x1f800000, vcc_lo
	v_cmp_ne_u32_e32 vcc_lo, 1, v7
	s_waitcnt_depctr 0xfff
	v_fma_f32 v1, v1, v2, 1.0
	s_delay_alu instid0(VALU_DEP_1)
	v_rcp_f32_e32 v1, v1
	s_waitcnt_depctr 0xfff
	v_mov_b32_e32 v2, v1
	s_cbranch_vccnz .LBB276_8
; %bb.7:
	global_load_u16 v2, v3, s[6:7] offset:192
	s_waitcnt vmcnt(0)
	v_lshlrev_b32_e32 v2, 16, v2
	s_delay_alu instid0(VALU_DEP_1)
	v_add_f32_e32 v2, v1, v2
.LBB276_8:
	v_cmp_lt_f32_e32 vcc_lo, v10, v11
	v_add_nc_u32_e32 v12, 32, v0
	v_add_nc_u32_e32 v13, 64, v0
	v_add_nc_u32_e32 v3, 0x60, v0
	s_mov_b32 s2, exec_lo
	v_cndmask_b32_e32 v7, v8, v5, vcc_lo
	v_cndmask_b32_e32 v5, v5, v8, vcc_lo
	;; [unrolled: 1-line block ×3, first 2 shown]
	v_dual_cndmask_b32 v12, v0, v12 :: v_dual_mov_b32 v15, v6
	v_cndmask_b32_e32 v8, v11, v10, vcc_lo
	v_cndmask_b32_e32 v10, v10, v11, vcc_lo
	v_cmpx_lt_f32_e32 v6, v2
	s_xor_b32 s2, exec_lo, s2
; %bb.9:
	v_dual_mov_b32 v16, v6 :: v_dual_mov_b32 v11, v4
	v_mov_b32_e32 v14, v13
	v_swap_b32 v4, v1
	v_swap_b32 v13, v3
	v_mov_b32_e32 v6, v2
	v_dual_mov_b32 v15, v2 :: v_dual_mov_b32 v2, v16
; %bb.10:
	s_or_b32 exec_lo, exec_lo, s2
	s_delay_alu instid0(VALU_DEP_2)
	v_cmp_lt_f32_e32 vcc_lo, v10, v6
	s_mov_b32 s2, exec_lo
	v_dual_cndmask_b32 v14, v4, v5 :: v_dual_cndmask_b32 v11, v13, v12
	v_dual_cndmask_b32 v4, v5, v4 :: v_dual_cndmask_b32 v5, v12, v13
	v_dual_cndmask_b32 v12, v15, v10 :: v_dual_mov_b32 v13, v8
	v_cndmask_b32_e32 v6, v10, v6, vcc_lo
	v_cmpx_lt_f32_e32 v8, v2
; %bb.11:
	v_dual_mov_b32 v15, v8 :: v_dual_mov_b32 v8, v2
	v_dual_mov_b32 v10, v7 :: v_dual_mov_b32 v13, v9
	v_swap_b32 v7, v1
	v_swap_b32 v9, v3
	s_delay_alu instid0(VALU_DEP_4)
	v_dual_mov_b32 v13, v2 :: v_dual_mov_b32 v2, v15
; %bb.12:
	s_or_b32 exec_lo, exec_lo, s2
	s_clause 0x1
	s_load_b32 s8, s[0:1], 0x28
	s_load_b128 s[4:7], s[0:1], 0x10
	s_waitcnt lgkmcnt(0)
	s_cmp_lt_i32 s8, 1
	s_cbranch_scc1 .LBB276_18
; %bb.13:
	v_cmp_lt_f32_e32 vcc_lo, v8, v12
	v_dual_mov_b32 v15, 0 :: v_dual_mov_b32 v16, v0
	s_mov_b32 s9, 0x76543210
	s_mov_b32 s10, s8
	v_dual_cndmask_b32 v10, v11, v9 :: v_dual_cndmask_b32 v9, v9, v11
	v_cndmask_b32_e32 v11, v12, v8, vcc_lo
	v_dual_cndmask_b32 v12, v13, v12 :: v_dual_cndmask_b32 v13, v14, v7
	v_cndmask_b32_e32 v14, v7, v14, vcc_lo
	v_dual_mov_b32 v8, 0 :: v_dual_mov_b32 v7, 0
.LBB276_14:                             ; =>This Inner Loop Header: Depth=1
	v_cmp_eq_u32_e32 vcc_lo, 1, v15
	v_cmp_eq_u32_e64 s2, 2, v15
	v_cmp_gt_u32_e64 s3, 4, v15
	v_dual_cndmask_b32 v17, v6, v12 :: v_dual_cndmask_b32 v18, v5, v9
	v_cndmask_b32_e32 v19, v4, v14, vcc_lo
	v_cmp_eq_u32_e32 vcc_lo, 3, v15
	s_delay_alu instid0(VALU_DEP_3) | instskip(NEXT) | instid1(VALU_DEP_4)
	v_cndmask_b32_e64 v17, v17, v11, s2
	v_cndmask_b32_e64 v18, v18, v10, s2
	s_delay_alu instid0(VALU_DEP_1) | instskip(NEXT) | instid1(VALU_DEP_1)
	v_dual_cndmask_b32 v17, v17, v2 :: v_dual_cndmask_b32 v18, v18, v3
	v_cndmask_b32_e64 v17, 0xff800000, v17, s3
	;;#ASMSTART
	v_max_f32 v20, v17, v17 quad_perm:[1,0,3,2] row_mask:0xf bank_mask:0xf bound_ctrl:1
	;;#ASMEND
	;;#ASMSTART
	v_max_f32 v21, v20, v20 quad_perm:[2,3,0,1] row_mask:0xf bank_mask:0xf bound_ctrl:1
	;;#ASMEND
	;;#ASMSTART
	v_max_f32 v20, v21, v21 row_half_mirror row_mask:0xf bank_mask:0xf bound_ctrl:1
	;;#ASMEND
	;;#ASMSTART
	v_max_f32 v21, v20, v20 row_mirror row_mask:0xf bank_mask:0xf bound_ctrl:1
	;;#ASMEND
	v_permlanex16_b32 v20, v21, s9, 0xfedcba98 op_sel:[1,1]
	s_delay_alu instid0(VALU_DEP_1) | instskip(NEXT) | instid1(VALU_DEP_1)
	v_dual_max_f32 v21, v21, v21 :: v_dual_max_f32 v20, v20, v20
	v_max_f32_e32 v20, v21, v20
	v_cndmask_b32_e64 v19, v19, v13, s2
	s_delay_alu instid0(VALU_DEP_2) | instskip(SKIP_1) | instid1(VALU_DEP_2)
	v_cmp_eq_f32_e64 s2, v17, v20
	v_cndmask_b32_e64 v17, 0, v18, s3
	s_ctz_i32_b32 s11, s2
	s_cmp_lg_u32 s2, 0
	s_cselect_b32 s2, s11, 0
	s_add_i32 s10, s10, -1
	v_readlane_b32 s11, v17, s2
	v_cndmask_b32_e32 v17, v19, v1, vcc_lo
	s_delay_alu instid0(VALU_DEP_2)
	v_cmp_eq_u32_e32 vcc_lo, s11, v18
	s_and_b32 s2, s11, 31
	s_and_b32 vcc_lo, s3, vcc_lo
	s_cmp_eq_u32 s10, 0
	v_cndmask_b32_e32 v17, 0, v17, vcc_lo
	v_add_co_ci_u32_e32 v15, vcc_lo, 0, v15, vcc_lo
	s_delay_alu instid0(VALU_DEP_2) | instskip(SKIP_2) | instid1(VALU_DEP_2)
	v_readlane_b32 s3, v17, s2
	v_cmp_eq_u32_e64 s2, 0, v16
	v_add_nc_u32_e32 v16, -1, v16
	v_cndmask_b32_e64 v8, v8, s3, s2
	v_cndmask_b32_e64 v7, v7, s11, s2
	s_cbranch_scc0 .LBB276_14
; %bb.15:
	s_mov_b32 s2, exec_lo
	v_cmpx_gt_i32_e64 s8, v0
	s_cbranch_execz .LBB276_17
.LBB276_16:
	s_clause 0x1
	s_load_b64 s[2:3], s[0:1], 0x20
	s_load_b32 s8, s[0:1], 0x30
	s_ashr_i32 s0, s15, 31
	v_lshlrev_b32_e32 v0, 2, v0
	s_waitcnt lgkmcnt(0)
	s_mul_i32 s1, s15, s3
	s_mul_hi_u32 s3, s15, s2
	s_mul_i32 s0, s0, s2
	s_add_i32 s1, s3, s1
	v_mul_f32_e32 v1, s8, v8
	s_add_i32 s1, s1, s0
	s_mul_i32 s0, s15, s2
	s_delay_alu instid0(SALU_CYCLE_1) | instskip(NEXT) | instid1(SALU_CYCLE_1)
	s_lshl_b64 s[0:1], s[0:1], 2
	s_add_u32 s2, s4, s0
	s_addc_u32 s3, s5, s1
	s_add_u32 s0, s6, s0
	s_addc_u32 s1, s7, s1
	s_clause 0x1
	global_store_b32 v0, v1, s[2:3]
	global_store_b32 v0, v7, s[0:1]
.LBB276_17:
	s_nop 0
	s_sendmsg sendmsg(MSG_DEALLOC_VGPRS)
	s_endpgm
.LBB276_18:
	v_dual_mov_b32 v7, 0 :: v_dual_mov_b32 v8, 0
	s_mov_b32 s2, exec_lo
	v_cmpx_gt_i32_e64 s8, v0
	s_cbranch_execnz .LBB276_16
	s_branch .LBB276_17
	.section	.rodata,"a",@progbits
	.p2align	6, 0x0
	.amdhsa_kernel _ZN5aiter24topk_softplus_kernel_optI12hip_bfloat16S1_Li128ELb0ELi1EEEvPKT_PKT0_PfPimiif
		.amdhsa_group_segment_fixed_size 0
		.amdhsa_private_segment_fixed_size 0
		.amdhsa_kernarg_size 52
		.amdhsa_user_sgpr_count 15
		.amdhsa_user_sgpr_dispatch_ptr 0
		.amdhsa_user_sgpr_queue_ptr 0
		.amdhsa_user_sgpr_kernarg_segment_ptr 1
		.amdhsa_user_sgpr_dispatch_id 0
		.amdhsa_user_sgpr_private_segment_size 0
		.amdhsa_wavefront_size32 1
		.amdhsa_uses_dynamic_stack 0
		.amdhsa_enable_private_segment 0
		.amdhsa_system_sgpr_workgroup_id_x 1
		.amdhsa_system_sgpr_workgroup_id_y 0
		.amdhsa_system_sgpr_workgroup_id_z 0
		.amdhsa_system_sgpr_workgroup_info 0
		.amdhsa_system_vgpr_workitem_id 0
		.amdhsa_next_free_vgpr 22
		.amdhsa_next_free_sgpr 16
		.amdhsa_reserve_vcc 1
		.amdhsa_float_round_mode_32 0
		.amdhsa_float_round_mode_16_64 0
		.amdhsa_float_denorm_mode_32 3
		.amdhsa_float_denorm_mode_16_64 3
		.amdhsa_dx10_clamp 1
		.amdhsa_ieee_mode 1
		.amdhsa_fp16_overflow 0
		.amdhsa_workgroup_processor_mode 1
		.amdhsa_memory_ordered 1
		.amdhsa_forward_progress 0
		.amdhsa_shared_vgpr_count 0
		.amdhsa_exception_fp_ieee_invalid_op 0
		.amdhsa_exception_fp_denorm_src 0
		.amdhsa_exception_fp_ieee_div_zero 0
		.amdhsa_exception_fp_ieee_overflow 0
		.amdhsa_exception_fp_ieee_underflow 0
		.amdhsa_exception_fp_ieee_inexact 0
		.amdhsa_exception_int_div_zero 0
	.end_amdhsa_kernel
	.section	.text._ZN5aiter24topk_softplus_kernel_optI12hip_bfloat16S1_Li128ELb0ELi1EEEvPKT_PKT0_PfPimiif,"axG",@progbits,_ZN5aiter24topk_softplus_kernel_optI12hip_bfloat16S1_Li128ELb0ELi1EEEvPKT_PKT0_PfPimiif,comdat
.Lfunc_end276:
	.size	_ZN5aiter24topk_softplus_kernel_optI12hip_bfloat16S1_Li128ELb0ELi1EEEvPKT_PKT0_PfPimiif, .Lfunc_end276-_ZN5aiter24topk_softplus_kernel_optI12hip_bfloat16S1_Li128ELb0ELi1EEEvPKT_PKT0_PfPimiif
                                        ; -- End function
	.section	.AMDGPU.csdata,"",@progbits
; Kernel info:
; codeLenInByte = 1360
; NumSgprs: 18
; NumVgprs: 22
; ScratchSize: 0
; MemoryBound: 0
; FloatMode: 240
; IeeeMode: 1
; LDSByteSize: 0 bytes/workgroup (compile time only)
; SGPRBlocks: 2
; VGPRBlocks: 2
; NumSGPRsForWavesPerEU: 18
; NumVGPRsForWavesPerEU: 22
; Occupancy: 16
; WaveLimiterHint : 0
; COMPUTE_PGM_RSRC2:SCRATCH_EN: 0
; COMPUTE_PGM_RSRC2:USER_SGPR: 15
; COMPUTE_PGM_RSRC2:TRAP_HANDLER: 0
; COMPUTE_PGM_RSRC2:TGID_X_EN: 1
; COMPUTE_PGM_RSRC2:TGID_Y_EN: 0
; COMPUTE_PGM_RSRC2:TGID_Z_EN: 0
; COMPUTE_PGM_RSRC2:TIDIG_COMP_CNT: 0
	.section	.text._ZN5aiter24topk_softplus_kernel_optI12hip_bfloat16S1_Li256ELb1ELi1EEEvPKT_PKT0_PfPimiif,"axG",@progbits,_ZN5aiter24topk_softplus_kernel_optI12hip_bfloat16S1_Li256ELb1ELi1EEEvPKT_PKT0_PfPimiif,comdat
	.protected	_ZN5aiter24topk_softplus_kernel_optI12hip_bfloat16S1_Li256ELb1ELi1EEEvPKT_PKT0_PfPimiif ; -- Begin function _ZN5aiter24topk_softplus_kernel_optI12hip_bfloat16S1_Li256ELb1ELi1EEEvPKT_PKT0_PfPimiif
	.globl	_ZN5aiter24topk_softplus_kernel_optI12hip_bfloat16S1_Li256ELb1ELi1EEEvPKT_PKT0_PfPimiif
	.p2align	8
	.type	_ZN5aiter24topk_softplus_kernel_optI12hip_bfloat16S1_Li256ELb1ELi1EEEvPKT_PKT0_PfPimiif,@function
_ZN5aiter24topk_softplus_kernel_optI12hip_bfloat16S1_Li256ELb1ELi1EEEvPKT_PKT0_PfPimiif: ; @_ZN5aiter24topk_softplus_kernel_optI12hip_bfloat16S1_Li256ELb1ELi1EEEvPKT_PKT0_PfPimiif
; %bb.0:
	s_load_b128 s[4:7], s[0:1], 0x0
	s_lshl_b32 s2, s15, 8
	v_lshlrev_b32_e32 v3, 1, v0
	s_ashr_i32 s3, s2, 31
	s_delay_alu instid0(SALU_CYCLE_1)
	s_lshl_b64 s[2:3], s[2:3], 1
	s_waitcnt lgkmcnt(0)
	s_add_u32 s4, s4, s2
	s_addc_u32 s5, s5, s3
	s_cmp_lg_u64 s[6:7], 0
	global_load_u16 v1, v3, s[4:5]
	s_cselect_b32 s2, -1, 0
	s_waitcnt vmcnt(0)
	v_lshlrev_b32_e32 v1, 16, v1
	s_delay_alu instid0(VALU_DEP_1) | instskip(NEXT) | instid1(VALU_DEP_1)
	v_mul_f32_e32 v2, 0xbfb8aa3b, v1
	v_cmp_gt_f32_e32 vcc_lo, 0xc2fc0000, v2
	v_cndmask_b32_e64 v2, 0, 0x42800000, vcc_lo
	s_delay_alu instid0(VALU_DEP_1) | instskip(NEXT) | instid1(VALU_DEP_1)
	v_fmac_f32_e32 v2, 0xbfb8aa3b, v1
	v_exp_f32_e32 v1, v2
	v_cndmask_b32_e64 v2, 1.0, 0x1f800000, vcc_lo
	s_and_b32 vcc_lo, exec_lo, s2
	s_waitcnt_depctr 0xfff
	v_fma_f32 v1, v1, v2, 1.0
	s_delay_alu instid0(VALU_DEP_1) | instskip(SKIP_1) | instid1(VALU_DEP_1)
	v_rcp_f32_e32 v48, v1
	v_add_co_u32 v1, s3, s4, v3
	v_add_co_ci_u32_e64 v2, null, s5, 0, s3
	s_waitcnt_depctr 0xfff
	v_mov_b32_e32 v32, v48
	s_cbranch_vccz .LBB277_2
; %bb.1:
	global_load_u16 v4, v3, s[6:7]
	s_waitcnt vmcnt(0)
	v_lshlrev_b32_e32 v4, 16, v4
	s_delay_alu instid0(VALU_DEP_1)
	v_add_f32_e32 v32, v48, v4
.LBB277_2:
	global_load_u16 v4, v[1:2], off offset:64
	s_waitcnt vmcnt(0)
	v_lshlrev_b32_e32 v4, 16, v4
	s_delay_alu instid0(VALU_DEP_1) | instskip(NEXT) | instid1(VALU_DEP_1)
	v_mul_f32_e32 v5, 0xbfb8aa3b, v4
	v_cmp_gt_f32_e32 vcc_lo, 0xc2fc0000, v5
	v_cndmask_b32_e64 v5, 0, 0x42800000, vcc_lo
	s_delay_alu instid0(VALU_DEP_1) | instskip(NEXT) | instid1(VALU_DEP_1)
	v_fmac_f32_e32 v5, 0xbfb8aa3b, v4
	v_exp_f32_e32 v4, v5
	v_cndmask_b32_e64 v5, 1.0, 0x1f800000, vcc_lo
	s_and_not1_b32 vcc_lo, exec_lo, s2
	s_waitcnt_depctr 0xfff
	v_fma_f32 v4, v4, v5, 1.0
	s_delay_alu instid0(VALU_DEP_1)
	v_rcp_f32_e32 v17, v4
	v_cndmask_b32_e64 v4, 0, 1, s2
	s_waitcnt_depctr 0xfff
	v_mov_b32_e32 v33, v17
	s_cbranch_vccnz .LBB277_4
; %bb.3:
	global_load_u16 v5, v3, s[6:7] offset:64
	s_waitcnt vmcnt(0)
	v_lshlrev_b32_e32 v5, 16, v5
	s_delay_alu instid0(VALU_DEP_1)
	v_add_f32_e32 v33, v17, v5
.LBB277_4:
	global_load_u16 v5, v[1:2], off offset:128
	s_waitcnt vmcnt(0)
	v_lshlrev_b32_e32 v5, 16, v5
	s_delay_alu instid0(VALU_DEP_1) | instskip(NEXT) | instid1(VALU_DEP_1)
	v_mul_f32_e32 v6, 0xbfb8aa3b, v5
	v_cmp_gt_f32_e32 vcc_lo, 0xc2fc0000, v6
	v_cndmask_b32_e64 v6, 0, 0x42800000, vcc_lo
	s_delay_alu instid0(VALU_DEP_1) | instskip(NEXT) | instid1(VALU_DEP_1)
	v_fmac_f32_e32 v6, 0xbfb8aa3b, v5
	v_exp_f32_e32 v5, v6
	v_cndmask_b32_e64 v6, 1.0, 0x1f800000, vcc_lo
	v_cmp_ne_u32_e32 vcc_lo, 1, v4
	s_waitcnt_depctr 0xfff
	v_fma_f32 v5, v5, v6, 1.0
	s_delay_alu instid0(VALU_DEP_1)
	v_rcp_f32_e32 v18, v5
	s_waitcnt_depctr 0xfff
	v_mov_b32_e32 v34, v18
	s_cbranch_vccnz .LBB277_6
; %bb.5:
	global_load_u16 v5, v3, s[6:7] offset:128
	s_waitcnt vmcnt(0)
	v_lshlrev_b32_e32 v5, 16, v5
	s_delay_alu instid0(VALU_DEP_1)
	v_add_f32_e32 v34, v18, v5
.LBB277_6:
	global_load_u16 v5, v[1:2], off offset:192
	s_waitcnt vmcnt(0)
	v_lshlrev_b32_e32 v5, 16, v5
	s_delay_alu instid0(VALU_DEP_1) | instskip(NEXT) | instid1(VALU_DEP_1)
	v_mul_f32_e32 v6, 0xbfb8aa3b, v5
	v_cmp_gt_f32_e32 vcc_lo, 0xc2fc0000, v6
	v_cndmask_b32_e64 v6, 0, 0x42800000, vcc_lo
	s_delay_alu instid0(VALU_DEP_1) | instskip(NEXT) | instid1(VALU_DEP_1)
	v_fmac_f32_e32 v6, 0xbfb8aa3b, v5
	v_exp_f32_e32 v5, v6
	v_cndmask_b32_e64 v6, 1.0, 0x1f800000, vcc_lo
	v_cmp_ne_u32_e32 vcc_lo, 1, v4
	s_waitcnt_depctr 0xfff
	v_fma_f32 v5, v5, v6, 1.0
	s_delay_alu instid0(VALU_DEP_1)
	v_rcp_f32_e32 v19, v5
	;; [unrolled: 26-line block ×6, first 2 shown]
	s_cbranch_vccnz .LBB277_16
; %bb.15:
	global_load_u16 v1, v3, s[6:7] offset:448
	s_waitcnt vmcnt(0)
	v_lshlrev_b32_e32 v1, 16, v1
	s_delay_alu instid0(VALU_DEP_1)
	v_add_f32_e32 v39, v23, v1
	s_branch .LBB277_17
.LBB277_16:
	s_waitcnt_depctr 0xfff
	v_mov_b32_e32 v39, v23
.LBB277_17:
	v_add_nc_u32_e32 v7, 0xe0, v0
	v_dual_mov_b32 v8, v32 :: v_dual_add_nc_u32 v1, 32, v0
	v_dual_mov_b32 v9, v33 :: v_dual_add_nc_u32 v2, 64, v0
	;; [unrolled: 1-line block ×6, first 2 shown]
	v_dual_mov_b32 v14, v38 :: v_dual_mov_b32 v31, v7
	s_delay_alu instid0(VALU_DEP_2)
	v_dual_mov_b32 v47, v7 :: v_dual_mov_b32 v46, v6
	v_dual_mov_b32 v78, v7 :: v_dual_mov_b32 v77, v6
	v_dual_mov_b32 v70, v7 :: v_dual_mov_b32 v69, v6
	v_dual_mov_b32 v30, v6 :: v_dual_mov_b32 v29, v5
	v_dual_mov_b32 v28, v4 :: v_dual_mov_b32 v27, v3
	v_dual_mov_b32 v26, v2 :: v_dual_mov_b32 v25, v1
	v_dual_mov_b32 v24, v0 :: v_dual_mov_b32 v45, v5
	v_dual_mov_b32 v44, v4 :: v_dual_mov_b32 v43, v3
	v_dual_mov_b32 v42, v2 :: v_dual_mov_b32 v41, v1
	v_mov_b32_e32 v40, v0
	v_dual_mov_b32 v76, v5 :: v_dual_mov_b32 v75, v4
	v_dual_mov_b32 v74, v3 :: v_dual_mov_b32 v73, v2
	;; [unrolled: 1-line block ×7, first 2 shown]
	s_mov_b32 s2, exec_lo
	v_cmpx_lt_f32_e32 v32, v33
	s_xor_b32 s2, exec_lo, s2
	s_cbranch_execz .LBB277_19
; %bb.18:
	v_dual_mov_b32 v30, v6 :: v_dual_mov_b32 v31, v7
	v_dual_mov_b32 v24, v1 :: v_dual_mov_b32 v25, v0
	;; [unrolled: 1-line block ×4, first 2 shown]
	s_delay_alu instid0(VALU_DEP_4)
	v_dual_mov_b32 v47, v31 :: v_dual_mov_b32 v46, v30
	v_dual_mov_b32 v78, v31 :: v_dual_mov_b32 v77, v30
	;; [unrolled: 1-line block ×17, first 2 shown]
	v_mov_b32_e32 v17, v48
	v_mov_b32_e32 v1, v0
.LBB277_19:
	s_or_b32 exec_lo, exec_lo, s2
	v_dual_mov_b32 v62, v23 :: v_dual_mov_b32 v61, v22
	v_dual_mov_b32 v86, v23 :: v_dual_mov_b32 v85, v22
	;; [unrolled: 1-line block ×16, first 2 shown]
	v_mov_b32_e32 v32, v10
	s_mov_b32 s2, exec_lo
	v_cmpx_lt_f32_e32 v33, v10
	s_cbranch_execz .LBB277_21
; %bb.20:
	v_dual_mov_b32 v70, v31 :: v_dual_mov_b32 v69, v30
	v_dual_mov_b32 v64, v25 :: v_dual_mov_b32 v63, v24
	v_dual_mov_b32 v66, v27 :: v_dual_mov_b32 v65, v26
	v_dual_mov_b32 v64, v2 :: v_dual_mov_b32 v65, v1
	v_dual_mov_b32 v102, v23 :: v_dual_mov_b32 v101, v22
	v_dual_mov_b32 v96, v17 :: v_dual_mov_b32 v95, v16
	v_dual_mov_b32 v68, v29 :: v_dual_mov_b32 v67, v28
	v_dual_mov_b32 v98, v19 :: v_dual_mov_b32 v97, v18
	v_dual_mov_b32 v100, v21 :: v_dual_mov_b32 v99, v20
	v_dual_mov_b32 v96, v18 :: v_dual_mov_b32 v97, v17
	v_dual_mov_b32 v78, v70 :: v_dual_mov_b32 v77, v69
	v_dual_mov_b32 v74, v66 :: v_dual_mov_b32 v73, v65
	v_dual_mov_b32 v72, v64 :: v_dual_mov_b32 v71, v63
	v_mov_b32_e32 v74, v3
	v_dual_mov_b32 v87, v95 :: v_dual_mov_b32 v88, v96
	v_dual_mov_b32 v76, v68 :: v_dual_mov_b32 v75, v67
	;; [unrolled: 1-line block ×5, first 2 shown]
	v_mov_b32_e32 v90, v19
	v_dual_mov_b32 v40, v71 :: v_dual_mov_b32 v45, v76
	v_mov_b32_e32 v41, v72
	v_dual_mov_b32 v43, v74 :: v_dual_mov_b32 v46, v77
	;; [unrolled: 2-line block ×3, first 2 shown]
	v_dual_mov_b32 v42, v73 :: v_dual_mov_b32 v47, v78
	v_dual_mov_b32 v44, v4 :: v_dual_mov_b32 v81, v89
	;; [unrolled: 1-line block ×5, first 2 shown]
	v_mov_b32_e32 v84, v92
	v_mov_b32_e32 v86, v94
	v_dual_mov_b32 v24, v40 :: v_dual_mov_b32 v29, v45
	v_dual_mov_b32 v30, v46 :: v_dual_mov_b32 v25, v41
	;; [unrolled: 1-line block ×6, first 2 shown]
	v_mov_b32_e32 v61, v22
	v_mov_b32_e32 v62, v86
	v_dual_mov_b32 v28, v44 :: v_dual_mov_b32 v29, v5
	v_dual_mov_b32 v31, v7 :: v_dual_mov_b32 v32, v33
	;; [unrolled: 1-line block ×3, first 2 shown]
	v_mov_b32_e32 v57, v81
	v_mov_b32_e32 v60, v21
	v_mov_b32_e32 v62, v23
	v_mov_b32_e32 v18, v17
	v_mov_b32_e32 v2, v1
.LBB277_21:
	s_or_b32 exec_lo, exec_lo, s2
	v_mov_b32_e32 v1, v11
	s_mov_b32 s2, exec_lo
	v_cmpx_lt_f32_e32 v32, v11
	s_cbranch_execz .LBB277_23
; %bb.22:
	v_mov_b32_e32 v97, v19
	v_mov_b32_e32 v65, v3
	v_dual_mov_b32 v87, v95 :: v_dual_mov_b32 v88, v96
	v_mov_b32_e32 v78, v70
	v_dual_mov_b32 v92, v100 :: v_dual_mov_b32 v71, v63
	v_dual_mov_b32 v90, v98 :: v_dual_mov_b32 v91, v99
	;; [unrolled: 1-line block ×8, first 2 shown]
	v_mov_b32_e32 v80, v88
	s_delay_alu instid0(VALU_DEP_3)
	v_dual_mov_b32 v40, v71 :: v_dual_mov_b32 v41, v72
	v_dual_mov_b32 v83, v91 :: v_dual_mov_b32 v84, v92
	;; [unrolled: 1-line block ×20, first 2 shown]
	v_mov_b32_e32 v1, v32
	v_mov_b32_e32 v19, v18
	;; [unrolled: 1-line block ×3, first 2 shown]
.LBB277_23:
	s_or_b32 exec_lo, exec_lo, s2
	v_mov_b32_e32 v2, v12
	s_mov_b32 s2, exec_lo
	v_cmpx_lt_f32_e32 v1, v12
	s_cbranch_execz .LBB277_25
; %bb.24:
	v_mov_b32_e32 v98, v20
	v_dual_mov_b32 v66, v4 :: v_dual_mov_b32 v79, v95
	v_dual_mov_b32 v40, v63 :: v_dual_mov_b32 v41, v64
	;; [unrolled: 1-line block ×3, first 2 shown]
	s_delay_alu instid0(VALU_DEP_3)
	v_dual_mov_b32 v43, v66 :: v_dual_mov_b32 v80, v96
	v_mov_b32_e32 v81, v97
	v_dual_mov_b32 v46, v69 :: v_dual_mov_b32 v83, v99
	v_dual_mov_b32 v42, v65 :: v_dual_mov_b32 v45, v68
	;; [unrolled: 1-line block ×5, first 2 shown]
	v_mov_b32_e32 v44, v3
	v_dual_mov_b32 v55, v79 :: v_dual_mov_b32 v56, v80
	v_dual_mov_b32 v57, v81 :: v_dual_mov_b32 v24, v40
	;; [unrolled: 1-line block ×10, first 2 shown]
	v_mov_b32_e32 v73, v65
	v_dual_mov_b32 v12, v1 :: v_dual_mov_b32 v27, v43
	v_dual_mov_b32 v60, v21 :: v_dual_mov_b32 v61, v22
	;; [unrolled: 1-line block ×8, first 2 shown]
	v_mov_b32_e32 v74, v66
	v_mov_b32_e32 v72, v64
	;; [unrolled: 1-line block ×5, first 2 shown]
.LBB277_25:
	s_or_b32 exec_lo, exec_lo, s2
	v_mov_b32_e32 v1, v13
	s_mov_b32 s2, exec_lo
	v_cmpx_lt_f32_e32 v2, v13
	s_cbranch_execz .LBB277_27
; %bb.26:
	v_mov_b32_e32 v75, v5
	v_dual_mov_b32 v91, v21 :: v_dual_mov_b32 v24, v71
	v_mov_b32_e32 v30, v77
	v_mov_b32_e32 v30, v6
	;; [unrolled: 1-line block ×4, first 2 shown]
	v_dual_mov_b32 v55, v87 :: v_dual_mov_b32 v60, v92
	v_dual_mov_b32 v79, v87 :: v_dual_mov_b32 v82, v90
	;; [unrolled: 1-line block ×17, first 2 shown]
	v_mov_b32_e32 v21, v20
	v_mov_b32_e32 v5, v4
	;; [unrolled: 1-line block ×4, first 2 shown]
.LBB277_27:
	s_or_b32 exec_lo, exec_lo, s2
	v_mov_b32_e32 v2, v14
	s_mov_b32 s2, exec_lo
	v_cmpx_lt_f32_e32 v1, v14
	s_cbranch_execz .LBB277_29
; %bb.28:
	v_dual_mov_b32 v45, v6 :: v_dual_mov_b32 v46, v5
	v_dual_mov_b32 v84, v22 :: v_dual_mov_b32 v85, v21
	;; [unrolled: 1-line block ×12, first 2 shown]
	v_mov_b32_e32 v2, v1
.LBB277_29:
	s_or_b32 exec_lo, exec_lo, s2
	s_delay_alu instid0(VALU_DEP_1)
	v_cmp_lt_f32_e32 vcc_lo, v2, v15
	v_dual_mov_b32 v40, v56 :: v_dual_mov_b32 v43, v59
	v_cmp_lt_f32_e64 s2, v8, v9
	v_dual_mov_b32 v41, v57 :: v_dual_mov_b32 v42, v58
	v_dual_cndmask_b32 v23, v15, v2 :: v_dual_cndmask_b32 v14, v14, v15
	v_dual_cndmask_b32 v46, v62, v61 :: v_dual_mov_b32 v39, v55
	s_delay_alu instid0(VALU_DEP_2) | instskip(SKIP_3) | instid1(VALU_DEP_4)
	v_dual_mov_b32 v44, v60 :: v_dual_mov_b32 v15, v23
	v_cndmask_b32_e32 v45, v61, v62, vcc_lo
	v_dual_cndmask_b32 v54, v31, v30 :: v_dual_cndmask_b32 v53, v30, v31
	v_dual_mov_b32 v47, v24 :: v_dual_mov_b32 v50, v27
	v_mov_b32_e32 v22, v15
	v_dual_mov_b32 v21, v14 :: v_dual_mov_b32 v20, v13
	v_dual_mov_b32 v19, v12 :: v_dual_mov_b32 v18, v11
	;; [unrolled: 1-line block ×5, first 2 shown]
	v_mov_b32_e32 v51, v28
	s_and_saveexec_b32 s3, s2
	s_delay_alu instid0(SALU_CYCLE_1)
	s_xor_b32 s2, exec_lo, s3
	s_cbranch_execz .LBB277_31
; %bb.30:
	v_dual_mov_b32 v16, v9 :: v_dual_mov_b32 v17, v8
	v_dual_mov_b32 v18, v10 :: v_dual_mov_b32 v19, v11
	;; [unrolled: 1-line block ×4, first 2 shown]
	s_delay_alu instid0(VALU_DEP_4)
	v_dual_mov_b32 v15, v16 :: v_dual_mov_b32 v40, v55
	v_dual_mov_b32 v16, v17 :: v_dual_mov_b32 v39, v56
	;; [unrolled: 1-line block ×10, first 2 shown]
.LBB277_31:
	s_or_b32 exec_lo, exec_lo, s2
	v_dual_mov_b32 v31, v39 :: v_dual_mov_b32 v32, v40
	v_dual_mov_b32 v78, v46 :: v_dual_mov_b32 v77, v45
	;; [unrolled: 1-line block ×22, first 2 shown]
	v_mov_b32_e32 v10, v17
	s_mov_b32 s2, exec_lo
	v_dual_mov_b32 v76, v44 :: v_dual_mov_b32 v75, v43
	v_dual_mov_b32 v68, v52 :: v_dual_mov_b32 v67, v51
	v_cmpx_lt_f32_e32 v9, v17
	s_cbranch_execz .LBB277_33
; %bb.32:
	v_dual_mov_b32 v1, v47 :: v_dual_mov_b32 v2, v48
	v_dual_mov_b32 v7, v53 :: v_dual_mov_b32 v8, v54
	v_mov_b32_e32 v2, v49
	v_dual_mov_b32 v3, v49 :: v_dual_mov_b32 v4, v50
	v_dual_mov_b32 v5, v51 :: v_dual_mov_b32 v6, v52
	;; [unrolled: 1-line block ×7, first 2 shown]
	v_mov_b32_e32 v57, v40
	v_dual_mov_b32 v70, v8 :: v_dual_mov_b32 v69, v7
	v_dual_mov_b32 v64, v2 :: v_dual_mov_b32 v63, v1
	;; [unrolled: 1-line block ×6, first 2 shown]
	v_mov_b32_e32 v66, v50
	v_dual_mov_b32 v16, v17 :: v_dual_mov_b32 v75, v59
	v_dual_mov_b32 v17, v9 :: v_dual_mov_b32 v76, v60
	;; [unrolled: 1-line block ×17, first 2 shown]
.LBB277_33:
	s_or_b32 exec_lo, exec_lo, s2
	v_mov_b32_e32 v9, v18
	s_mov_b32 s2, exec_lo
	s_delay_alu instid0(VALU_DEP_2)
	v_cmpx_lt_f32_e32 v10, v18
	s_cbranch_execz .LBB277_35
; %bb.34:
	v_mov_b32_e32 v3, v50
	v_dual_mov_b32 v57, v42 :: v_dual_mov_b32 v70, v8
	v_mov_b32_e32 v66, v4
	v_dual_mov_b32 v78, v62 :: v_dual_mov_b32 v77, v61
	v_mov_b32_e32 v66, v49
	v_mov_b32_e32 v63, v1
	;; [unrolled: 1-line block ×3, first 2 shown]
	v_dual_mov_b32 v69, v7 :: v_dual_mov_b32 v68, v6
	v_dual_mov_b32 v67, v5 :: v_dual_mov_b32 v64, v2
	;; [unrolled: 1-line block ×4, first 2 shown]
	v_mov_b32_e32 v65, v3
	v_dual_mov_b32 v73, v57 :: v_dual_mov_b32 v72, v56
	v_mov_b32_e32 v74, v41
	v_dual_mov_b32 v18, v10 :: v_dual_mov_b32 v23, v63
	v_dual_mov_b32 v24, v64 :: v_dual_mov_b32 v31, v71
	s_delay_alu instid0(VALU_DEP_4)
	v_dual_mov_b32 v32, v72 :: v_dual_mov_b32 v27, v67
	v_dual_mov_b32 v28, v68 :: v_dual_mov_b32 v29, v69
	;; [unrolled: 1-line block ×10, first 2 shown]
	v_mov_b32_e32 v38, v46
	v_dual_mov_b32 v9, v10 :: v_dual_mov_b32 v42, v41
	v_mov_b32_e32 v50, v49
.LBB277_35:
	s_or_b32 exec_lo, exec_lo, s2
	v_mov_b32_e32 v4, v19
	s_mov_b32 s2, exec_lo
	v_cmpx_lt_f32_e32 v9, v19
	s_cbranch_execz .LBB277_37
; %bb.36:
	v_mov_b32_e32 v4, v51
	v_dual_mov_b32 v18, v19 :: v_dual_mov_b32 v19, v9
	v_mov_b32_e32 v58, v43
	v_dual_mov_b32 v30, v8 :: v_dual_mov_b32 v29, v7
	v_dual_mov_b32 v28, v6 :: v_dual_mov_b32 v25, v3
	v_dual_mov_b32 v23, v1 :: v_dual_mov_b32 v28, v52
	v_mov_b32_e32 v31, v55
	v_dual_mov_b32 v27, v5 :: v_dual_mov_b32 v32, v56
	v_dual_mov_b32 v35, v59 :: v_dual_mov_b32 v34, v58
	;; [unrolled: 4-line block ×3, first 2 shown]
	v_dual_mov_b32 v70, v8 :: v_dual_mov_b32 v65, v3
	v_dual_mov_b32 v26, v4 :: v_dual_mov_b32 v27, v50
	;; [unrolled: 1-line block ×11, first 2 shown]
	v_mov_b32_e32 v64, v2
	v_dual_mov_b32 v4, v9 :: v_dual_mov_b32 v51, v50
.LBB277_37:
	s_or_b32 exec_lo, exec_lo, s2
	v_mov_b32_e32 v1, v20
	s_mov_b32 s2, exec_lo
	s_delay_alu instid0(VALU_DEP_2)
	v_cmpx_lt_f32_e32 v4, v20
	s_cbranch_execz .LBB277_39
; %bb.38:
	v_dual_mov_b32 v67, v52 :: v_dual_mov_b32 v68, v51
	v_dual_mov_b32 v69, v53 :: v_dual_mov_b32 v76, v43
	;; [unrolled: 1-line block ×4, first 2 shown]
	v_mov_b32_e32 v19, v20
	v_dual_mov_b32 v20, v4 :: v_dual_mov_b32 v31, v71
	v_dual_mov_b32 v23, v63 :: v_dual_mov_b32 v24, v64
	;; [unrolled: 1-line block ×9, first 2 shown]
.LBB277_39:
	s_or_b32 exec_lo, exec_lo, s2
	s_delay_alu instid0(VALU_DEP_1)
	v_cmp_lt_f32_e32 vcc_lo, v1, v21
	v_mov_b32_e32 v4, v18
	v_mov_b32_e32 v8, v22
	s_mov_b32 s2, exec_lo
	v_dual_mov_b32 v2, v16 :: v_dual_cndmask_b32 v9, v37, v36
	v_cndmask_b32_e32 v36, v36, v37, vcc_lo
	v_cndmask_b32_e32 v10, v29, v28, vcc_lo
	v_dual_cndmask_b32 v28, v28, v29 :: v_dual_mov_b32 v3, v17
	v_cndmask_b32_e32 v7, v21, v1, vcc_lo
	v_dual_cndmask_b32 v6, v20, v21 :: v_dual_mov_b32 v5, v19
	v_mov_b32_e32 v1, v15
	v_cmpx_lt_f32_e32 v15, v16
	s_cbranch_execz .LBB277_41
; %bb.40:
	s_delay_alu instid0(VALU_DEP_2)
	v_dual_mov_b32 v39, v2 :: v_dual_mov_b32 v40, v1
	v_dual_mov_b32 v41, v3 :: v_dual_mov_b32 v42, v4
	;; [unrolled: 1-line block ×4, first 2 shown]
	v_mov_b32_e32 v11, v31
	v_mov_b32_e32 v12, v23
	v_dual_mov_b32 v1, v39 :: v_dual_mov_b32 v4, v42
	v_swap_b32 v31, v32
	v_swap_b32 v23, v24
	v_dual_mov_b32 v2, v40 :: v_dual_mov_b32 v3, v41
	v_dual_mov_b32 v5, v43 :: v_dual_mov_b32 v6, v44
	;; [unrolled: 1-line block ×3, first 2 shown]
	v_mov_b32_e32 v16, v15
.LBB277_41:
	s_or_b32 exec_lo, exec_lo, s2
	v_mov_b32_e32 v29, v10
	v_dual_mov_b32 v37, v9 :: v_dual_mov_b32 v54, v30
	v_mov_b32_e32 v46, v38
	v_dual_mov_b32 v44, v36 :: v_dual_mov_b32 v39, v31
	v_dual_mov_b32 v70, v38 :: v_dual_mov_b32 v49, v25
	s_delay_alu instid0(VALU_DEP_4)
	v_dual_mov_b32 v62, v30 :: v_dual_mov_b32 v45, v37
	v_dual_mov_b32 v43, v35 :: v_dual_mov_b32 v42, v34
	;; [unrolled: 1-line block ×12, first 2 shown]
	v_mov_b32_e32 v57, v25
	v_mov_b32_e32 v55, v23
	;; [unrolled: 1-line block ×3, first 2 shown]
	s_mov_b32 s2, exec_lo
	v_cmpx_lt_f32_e32 v16, v3
	s_cbranch_execz .LBB277_43
; %bb.42:
	v_dual_mov_b32 v62, v30 :: v_dual_mov_b32 v61, v29
	v_dual_mov_b32 v58, v26 :: v_dual_mov_b32 v57, v25
	;; [unrolled: 1-line block ×7, first 2 shown]
	s_delay_alu instid0(VALU_DEP_4)
	v_dual_mov_b32 v47, v55 :: v_dual_mov_b32 v48, v56
	v_dual_mov_b32 v68, v36 :: v_dual_mov_b32 v67, v35
	;; [unrolled: 1-line block ×16, first 2 shown]
	v_mov_b32_e32 v44, v36
	v_dual_mov_b32 v46, v38 :: v_dual_mov_b32 v11, v16
	v_mov_b32_e32 v33, v32
	v_mov_b32_e32 v25, v24
.LBB277_43:
	s_or_b32 exec_lo, exec_lo, s2
	v_mov_b32_e32 v12, v4
	s_mov_b32 s2, exec_lo
	v_cmpx_lt_f32_e32 v11, v4
	s_cbranch_execz .LBB277_45
; %bb.44:
	v_mov_b32_e32 v57, v26
	v_dual_mov_b32 v3, v4 :: v_dual_mov_b32 v4, v11
	v_mov_b32_e32 v65, v34
	v_dual_mov_b32 v47, v55 :: v_dual_mov_b32 v52, v60
	v_dual_mov_b32 v48, v56 :: v_dual_mov_b32 v39, v63
	;; [unrolled: 1-line block ×3, first 2 shown]
	v_mov_b32_e32 v54, v62
	v_dual_mov_b32 v50, v58 :: v_dual_mov_b32 v51, v59
	v_mov_b32_e32 v50, v25
	v_dual_mov_b32 v53, v61 :: v_dual_mov_b32 v52, v28
	v_dual_mov_b32 v41, v65 :: v_dual_mov_b32 v44, v68
	;; [unrolled: 1-line block ×8, first 2 shown]
	v_mov_b32_e32 v12, v11
	v_mov_b32_e32 v34, v33
	;; [unrolled: 1-line block ×3, first 2 shown]
.LBB277_45:
	s_or_b32 exec_lo, exec_lo, s2
	v_mov_b32_e32 v11, v5
	s_mov_b32 s2, exec_lo
	v_cmpx_lt_f32_e32 v12, v5
	s_cbranch_execz .LBB277_47
; %bb.46:
	v_dual_mov_b32 v68, v36 :: v_dual_mov_b32 v69, v9
	v_dual_mov_b32 v58, v27 :: v_dual_mov_b32 v59, v26
	v_dual_mov_b32 v60, v28 :: v_dual_mov_b32 v61, v10
	v_dual_mov_b32 v66, v35 :: v_dual_mov_b32 v67, v34
	v_mov_b32_e32 v70, v38
	v_dual_mov_b32 v4, v5 :: v_dual_mov_b32 v5, v12
	v_dual_mov_b32 v62, v30 :: v_dual_mov_b32 v39, v63
	;; [unrolled: 1-line block ×10, first 2 shown]
.LBB277_47:
	s_or_b32 exec_lo, exec_lo, s2
	s_delay_alu instid0(VALU_DEP_1)
	v_cmp_lt_f32_e32 vcc_lo, v11, v6
	v_dual_mov_b32 v19, v1 :: v_dual_mov_b32 v26, v8
	v_mov_b32_e32 v21, v3
	v_mov_b32_e32 v25, v7
	v_dual_cndmask_b32 v27, v44, v43 :: v_dual_mov_b32 v20, v2
	v_dual_cndmask_b32 v43, v43, v44 :: v_dual_cndmask_b32 v28, v52, v51
	v_dual_cndmask_b32 v51, v51, v52 :: v_dual_cndmask_b32 v24, v6, v11
	v_dual_cndmask_b32 v23, v5, v6 :: v_dual_mov_b32 v22, v4
	s_mov_b32 s2, exec_lo
	v_cmpx_lt_f32_e32 v1, v2
	s_cbranch_execz .LBB277_49
; %bb.48:
	v_dual_mov_b32 v8, v25 :: v_dual_mov_b32 v9, v26
	v_dual_mov_b32 v2, v20 :: v_dual_mov_b32 v3, v19
	;; [unrolled: 1-line block ×4, first 2 shown]
	v_mov_b32_e32 v10, v39
	v_dual_mov_b32 v11, v47 :: v_dual_mov_b32 v26, v9
	v_swap_b32 v39, v40
	v_swap_b32 v47, v48
	v_dual_mov_b32 v25, v8 :: v_dual_mov_b32 v24, v7
	v_dual_mov_b32 v23, v6 :: v_dual_mov_b32 v22, v5
	;; [unrolled: 1-line block ×4, first 2 shown]
.LBB277_49:
	s_or_b32 exec_lo, exec_lo, s2
	v_mov_b32_e32 v52, v28
	v_mov_b32_e32 v44, v27
	;; [unrolled: 1-line block ×4, first 2 shown]
	v_dual_mov_b32 v11, v39 :: v_dual_mov_b32 v4, v48
	v_dual_mov_b32 v12, v40 :: v_dual_mov_b32 v13, v41
	;; [unrolled: 1-line block ×7, first 2 shown]
	v_mov_b32_e32 v10, v54
	s_mov_b32 s2, exec_lo
	v_cmpx_lt_f32_e32 v2, v21
	s_cbranch_execz .LBB277_51
; %bb.50:
	v_dual_mov_b32 v3, v47 :: v_dual_mov_b32 v4, v48
	v_dual_mov_b32 v9, v53 :: v_dual_mov_b32 v10, v54
	;; [unrolled: 1-line block ×17, first 2 shown]
	v_mov_b32_e32 v49, v48
.LBB277_51:
	s_or_b32 exec_lo, exec_lo, s2
	v_mov_b32_e32 v29, v22
	s_mov_b32 s2, exec_lo
	v_cmpx_lt_f32_e32 v1, v22
; %bb.52:
	v_dual_mov_b32 v21, v22 :: v_dual_mov_b32 v22, v1
	v_dual_mov_b32 v5, v50 :: v_dual_mov_b32 v6, v49
	;; [unrolled: 1-line block ×7, first 2 shown]
	v_mov_b32_e32 v29, v1
; %bb.53:
	s_or_b32 exec_lo, exec_lo, s2
	s_delay_alu instid0(VALU_DEP_1)
	v_cmp_lt_f32_e32 vcc_lo, v29, v23
	v_dual_mov_b32 v28, v20 :: v_dual_mov_b32 v33, v25
	v_mov_b32_e32 v32, v24
	v_dual_mov_b32 v34, v26 :: v_dual_cndmask_b32 v1, v15, v14
	v_cndmask_b32_e32 v14, v14, v15, vcc_lo
	v_cndmask_b32_e32 v2, v7, v6, vcc_lo
	v_dual_cndmask_b32 v6, v6, v7 :: v_dual_cndmask_b32 v31, v23, v29
	v_dual_cndmask_b32 v30, v22, v23 :: v_dual_mov_b32 v27, v19
	v_mov_b32_e32 v29, v21
	s_mov_b32 s2, exec_lo
	v_cmpx_lt_f32_e32 v19, v20
	s_cbranch_execz .LBB277_55
; %bb.54:
	v_dual_mov_b32 v20, v28 :: v_dual_mov_b32 v21, v27
	v_dual_mov_b32 v26, v33 :: v_dual_mov_b32 v27, v34
	;; [unrolled: 1-line block ×4, first 2 shown]
	s_delay_alu instid0(VALU_DEP_3)
	v_mov_b32_e32 v34, v27
	v_mov_b32_e32 v7, v11
	v_dual_mov_b32 v15, v3 :: v_dual_mov_b32 v28, v21
	v_swap_b32 v11, v12
	v_swap_b32 v3, v4
	v_dual_mov_b32 v33, v26 :: v_dual_mov_b32 v30, v23
	v_dual_mov_b32 v32, v25 :: v_dual_mov_b32 v31, v24
	v_mov_b32_e32 v29, v22
	v_dual_mov_b32 v27, v20 :: v_dual_mov_b32 v20, v19
.LBB277_55:
	s_or_b32 exec_lo, exec_lo, s2
	v_mov_b32_e32 v7, v2
	v_mov_b32_e32 v15, v1
	;; [unrolled: 1-line block ×3, first 2 shown]
	s_mov_b32 s2, exec_lo
	v_cmpx_lt_f32_e32 v20, v29
	s_cbranch_execz .LBB277_57
; %bb.56:
	v_dual_mov_b32 v42, v10 :: v_dual_mov_b32 v41, v9
	v_dual_mov_b32 v40, v8 :: v_dual_mov_b32 v39, v7
	;; [unrolled: 1-line block ×16, first 2 shown]
	v_mov_b32_e32 v18, v9
	s_delay_alu instid0(VALU_DEP_3) | instskip(NEXT) | instid1(VALU_DEP_4)
	v_dual_mov_b32 v16, v7 :: v_dual_mov_b32 v15, v6
	v_dual_mov_b32 v17, v8 :: v_dual_mov_b32 v14, v5
	;; [unrolled: 1-line block ×3, first 2 shown]
	v_mov_b32_e32 v11, v2
	v_dual_mov_b32 v3, v35 :: v_dual_mov_b32 v4, v36
	v_dual_mov_b32 v5, v37 :: v_dual_mov_b32 v6, v38
	;; [unrolled: 1-line block ×4, first 2 shown]
	v_mov_b32_e32 v19, v20
.LBB277_57:
	s_or_b32 exec_lo, exec_lo, s2
	s_delay_alu instid0(VALU_DEP_1)
	v_cmp_lt_f32_e32 vcc_lo, v19, v30
	v_dual_mov_b32 v20, v7 :: v_dual_mov_b32 v21, v8
	v_dual_mov_b32 v22, v9 :: v_dual_mov_b32 v23, v10
	v_dual_cndmask_b32 v1, v14, v13 :: v_dual_cndmask_b32 v36, v5, v6
	v_dual_cndmask_b32 v35, v13, v14 :: v_dual_cndmask_b32 v2, v6, v5
	;; [unrolled: 1-line block ×3, first 2 shown]
	v_dual_mov_b32 v6, v15 :: v_dual_mov_b32 v13, v16
	v_dual_mov_b32 v14, v17 :: v_dual_mov_b32 v19, v18
	;; [unrolled: 1-line block ×4, first 2 shown]
	v_mov_b32_e32 v29, v34
	s_mov_b32 s2, exec_lo
	v_cmpx_lt_f32_e32 v27, v28
	s_cbranch_execz .LBB277_59
; %bb.58:
	v_dual_mov_b32 v24, v28 :: v_dual_mov_b32 v37, v27
	v_dual_mov_b32 v6, v11 :: v_dual_mov_b32 v13, v16
	;; [unrolled: 1-line block ×3, first 2 shown]
	v_swap_b32 v11, v12
	v_swap_b32 v3, v4
	v_dual_mov_b32 v28, v27 :: v_dual_mov_b32 v21, v8
	v_dual_mov_b32 v6, v15 :: v_dual_mov_b32 v23, v10
	;; [unrolled: 1-line block ×5, first 2 shown]
	v_mov_b32_e32 v24, v31
	v_mov_b32_e32 v26, v33
.LBB277_59:
	s_or_b32 exec_lo, exec_lo, s2
	s_clause 0x1
	s_load_b32 s8, s[0:1], 0x28
	s_load_b128 s[4:7], s[0:1], 0x10
	v_mov_b32_e32 v8, 0
	s_waitcnt lgkmcnt(0)
	s_cmp_lt_i32 s8, 1
	s_cbranch_scc1 .LBB277_65
; %bb.60:
	v_cmp_lt_f32_e32 vcc_lo, v28, v30
	v_dual_mov_b32 v8, 0 :: v_dual_mov_b32 v9, 0
	s_mov_b32 s9, 0x76543210
	s_mov_b32 s10, s8
	v_dual_cndmask_b32 v7, v36, v4 :: v_dual_cndmask_b32 v18, v37, v30
	v_cndmask_b32_e32 v4, v4, v36, vcc_lo
	v_cndmask_b32_e32 v10, v30, v28, vcc_lo
	v_dual_cndmask_b32 v15, v35, v12 :: v_dual_cndmask_b32 v28, v12, v35
	s_delay_alu instid0(VALU_DEP_4) | instskip(NEXT) | instid1(VALU_DEP_1)
	v_cmp_lt_f32_e64 s2, v27, v18
	v_cndmask_b32_e64 v12, v4, v3, s2
	v_cndmask_b32_e64 v16, v3, v4, s2
	;; [unrolled: 1-line block ×6, first 2 shown]
	v_dual_mov_b32 v28, v0 :: v_dual_mov_b32 v3, 0
	v_mov_b32_e32 v4, 0
.LBB277_61:                             ; =>This Inner Loop Header: Depth=1
	v_cmp_eq_u32_e32 vcc_lo, 1, v9
	v_cmp_eq_u32_e64 s2, 2, v9
	v_dual_cndmask_b32 v30, v18, v17 :: v_dual_cndmask_b32 v31, v16, v12
	v_cndmask_b32_e32 v32, v11, v27, vcc_lo
	v_cmp_eq_u32_e32 vcc_lo, 3, v9
	s_delay_alu instid0(VALU_DEP_3) | instskip(NEXT) | instid1(VALU_DEP_4)
	v_cndmask_b32_e64 v30, v30, v10, s2
	v_cndmask_b32_e64 v31, v31, v7, s2
	s_delay_alu instid0(VALU_DEP_4) | instskip(SKIP_1) | instid1(VALU_DEP_3)
	v_cndmask_b32_e64 v32, v32, v15, s2
	v_cmp_eq_u32_e64 s2, 4, v9
	v_dual_cndmask_b32 v30, v30, v5 :: v_dual_cndmask_b32 v31, v31, v2
	s_delay_alu instid0(VALU_DEP_3) | instskip(SKIP_1) | instid1(VALU_DEP_3)
	v_cndmask_b32_e32 v32, v32, v1, vcc_lo
	v_cmp_eq_u32_e32 vcc_lo, 5, v9
	v_cndmask_b32_e64 v30, v30, v24, s2
	s_delay_alu instid0(VALU_DEP_4) | instskip(NEXT) | instid1(VALU_DEP_4)
	v_cndmask_b32_e64 v31, v31, v20, s2
	v_cndmask_b32_e64 v32, v32, v6, s2
	v_cmp_eq_u32_e64 s2, 6, v9
	s_delay_alu instid0(VALU_DEP_4) | instskip(NEXT) | instid1(VALU_DEP_4)
	v_cndmask_b32_e32 v30, v30, v25, vcc_lo
	v_cndmask_b32_e32 v31, v31, v21, vcc_lo
	s_delay_alu instid0(VALU_DEP_4) | instskip(SKIP_1) | instid1(VALU_DEP_4)
	v_cndmask_b32_e32 v32, v32, v13, vcc_lo
	v_cmp_eq_u32_e32 vcc_lo, 7, v9
	v_cndmask_b32_e64 v30, v30, v26, s2
	s_delay_alu instid0(VALU_DEP_4) | instskip(NEXT) | instid1(VALU_DEP_4)
	v_cndmask_b32_e64 v31, v31, v22, s2
	v_cndmask_b32_e64 v32, v32, v14, s2
	v_cmp_gt_u32_e64 s2, 8, v9
	s_delay_alu instid0(VALU_DEP_3) | instskip(NEXT) | instid1(VALU_DEP_1)
	v_dual_cndmask_b32 v30, v30, v29 :: v_dual_cndmask_b32 v31, v31, v23
	v_cndmask_b32_e64 v30, 0xff800000, v30, s2
	;;#ASMSTART
	v_max_f32 v34, v30, v30 quad_perm:[1,0,3,2] row_mask:0xf bank_mask:0xf bound_ctrl:1
	;;#ASMEND
	;;#ASMSTART
	v_max_f32 v35, v34, v34 quad_perm:[2,3,0,1] row_mask:0xf bank_mask:0xf bound_ctrl:1
	;;#ASMEND
	;;#ASMSTART
	v_max_f32 v34, v35, v35 row_half_mirror row_mask:0xf bank_mask:0xf bound_ctrl:1
	;;#ASMEND
	;;#ASMSTART
	v_max_f32 v35, v34, v34 row_mirror row_mask:0xf bank_mask:0xf bound_ctrl:1
	;;#ASMEND
	v_permlanex16_b32 v34, v35, s9, 0xfedcba98 op_sel:[1,1]
	v_max_f32_e32 v35, v35, v35
	v_cndmask_b32_e64 v33, 0, v31, s2
	s_delay_alu instid0(VALU_DEP_3) | instskip(NEXT) | instid1(VALU_DEP_1)
	v_max_f32_e32 v34, v34, v34
	v_max_f32_e32 v34, v35, v34
	s_delay_alu instid0(VALU_DEP_1) | instskip(SKIP_1) | instid1(VALU_DEP_2)
	v_cmp_eq_f32_e64 s3, v30, v34
	v_cndmask_b32_e32 v30, v32, v19, vcc_lo
	s_ctz_i32_b32 s11, s3
	s_cmp_lg_u32 s3, 0
	s_cselect_b32 s3, s11, 0
	s_add_i32 s10, s10, -1
	v_readlane_b32 s3, v33, s3
	s_delay_alu instid0(VALU_DEP_1)
	v_cmp_eq_u32_e32 vcc_lo, s3, v31
	s_and_b32 vcc_lo, s2, vcc_lo
	s_and_b32 s2, s3, 31
	v_cndmask_b32_e32 v30, 0, v30, vcc_lo
	v_add_co_ci_u32_e32 v9, vcc_lo, 0, v9, vcc_lo
	s_cmp_eq_u32 s10, 0
	s_delay_alu instid0(VALU_DEP_2) | instskip(SKIP_2) | instid1(VALU_DEP_3)
	v_readlane_b32 s11, v30, s2
	v_cmp_eq_u32_e64 s2, 0, v28
	v_add_nc_u32_e32 v28, -1, v28
	v_add_f32_e32 v8, s11, v8
	s_delay_alu instid0(VALU_DEP_3)
	v_cndmask_b32_e64 v4, v4, s11, s2
	v_cndmask_b32_e64 v3, v3, s3, s2
	s_cbranch_scc0 .LBB277_61
; %bb.62:
	s_mov_b32 s2, exec_lo
	v_cmpx_gt_i32_e64 s8, v0
	s_cbranch_execz .LBB277_64
.LBB277_63:
	s_load_b32 s2, s[0:1], 0x30
	v_max_f32_e32 v1, v8, v8
	s_load_b64 s[0:1], s[0:1], 0x20
	s_ashr_i32 s3, s15, 31
	s_delay_alu instid0(VALU_DEP_1) | instskip(SKIP_1) | instid1(VALU_DEP_1)
	v_dual_max_f32 v1, 0x1e3ce508, v1 :: v_dual_lshlrev_b32 v0, 2, v0
	s_waitcnt lgkmcnt(0)
	v_div_scale_f32 v2, null, v1, v1, s2
	v_div_scale_f32 v7, vcc_lo, s2, v1, s2
	s_mul_i32 s1, s15, s1
	s_delay_alu instid0(VALU_DEP_2)
	v_rcp_f32_e32 v5, v2
	s_mul_hi_u32 s8, s15, s0
	s_mul_i32 s3, s3, s0
	s_add_i32 s1, s8, s1
	s_mul_i32 s0, s15, s0
	s_add_i32 s1, s1, s3
	s_delay_alu instid0(SALU_CYCLE_1) | instskip(SKIP_2) | instid1(VALU_DEP_1)
	s_lshl_b64 s[0:1], s[0:1], 2
	s_waitcnt_depctr 0xfff
	v_fma_f32 v6, -v2, v5, 1.0
	v_fmac_f32_e32 v5, v6, v5
	s_delay_alu instid0(VALU_DEP_1) | instskip(NEXT) | instid1(VALU_DEP_1)
	v_mul_f32_e32 v6, v7, v5
	v_fma_f32 v8, -v2, v6, v7
	s_delay_alu instid0(VALU_DEP_1) | instskip(NEXT) | instid1(VALU_DEP_1)
	v_fmac_f32_e32 v6, v8, v5
	v_fma_f32 v2, -v2, v6, v7
	s_delay_alu instid0(VALU_DEP_1) | instskip(NEXT) | instid1(VALU_DEP_1)
	v_div_fmas_f32 v2, v2, v5, v6
	v_div_fixup_f32 v1, v2, v1, s2
	s_add_u32 s2, s4, s0
	s_addc_u32 s3, s5, s1
	s_add_u32 s0, s6, s0
	s_addc_u32 s1, s7, s1
	v_mul_f32_e32 v1, v4, v1
	s_clause 0x1
	global_store_b32 v0, v1, s[2:3]
	global_store_b32 v0, v3, s[0:1]
.LBB277_64:
	s_nop 0
	s_sendmsg sendmsg(MSG_DEALLOC_VGPRS)
	s_endpgm
.LBB277_65:
	v_dual_mov_b32 v3, 0 :: v_dual_mov_b32 v4, 0
	s_mov_b32 s2, exec_lo
	v_cmpx_gt_i32_e64 s8, v0
	s_cbranch_execnz .LBB277_63
	s_branch .LBB277_64
	.section	.rodata,"a",@progbits
	.p2align	6, 0x0
	.amdhsa_kernel _ZN5aiter24topk_softplus_kernel_optI12hip_bfloat16S1_Li256ELb1ELi1EEEvPKT_PKT0_PfPimiif
		.amdhsa_group_segment_fixed_size 0
		.amdhsa_private_segment_fixed_size 0
		.amdhsa_kernarg_size 52
		.amdhsa_user_sgpr_count 15
		.amdhsa_user_sgpr_dispatch_ptr 0
		.amdhsa_user_sgpr_queue_ptr 0
		.amdhsa_user_sgpr_kernarg_segment_ptr 1
		.amdhsa_user_sgpr_dispatch_id 0
		.amdhsa_user_sgpr_private_segment_size 0
		.amdhsa_wavefront_size32 1
		.amdhsa_uses_dynamic_stack 0
		.amdhsa_enable_private_segment 0
		.amdhsa_system_sgpr_workgroup_id_x 1
		.amdhsa_system_sgpr_workgroup_id_y 0
		.amdhsa_system_sgpr_workgroup_id_z 0
		.amdhsa_system_sgpr_workgroup_info 0
		.amdhsa_system_vgpr_workitem_id 0
		.amdhsa_next_free_vgpr 103
		.amdhsa_next_free_sgpr 16
		.amdhsa_reserve_vcc 1
		.amdhsa_float_round_mode_32 0
		.amdhsa_float_round_mode_16_64 0
		.amdhsa_float_denorm_mode_32 3
		.amdhsa_float_denorm_mode_16_64 3
		.amdhsa_dx10_clamp 1
		.amdhsa_ieee_mode 1
		.amdhsa_fp16_overflow 0
		.amdhsa_workgroup_processor_mode 1
		.amdhsa_memory_ordered 1
		.amdhsa_forward_progress 0
		.amdhsa_shared_vgpr_count 0
		.amdhsa_exception_fp_ieee_invalid_op 0
		.amdhsa_exception_fp_denorm_src 0
		.amdhsa_exception_fp_ieee_div_zero 0
		.amdhsa_exception_fp_ieee_overflow 0
		.amdhsa_exception_fp_ieee_underflow 0
		.amdhsa_exception_fp_ieee_inexact 0
		.amdhsa_exception_int_div_zero 0
	.end_amdhsa_kernel
	.section	.text._ZN5aiter24topk_softplus_kernel_optI12hip_bfloat16S1_Li256ELb1ELi1EEEvPKT_PKT0_PfPimiif,"axG",@progbits,_ZN5aiter24topk_softplus_kernel_optI12hip_bfloat16S1_Li256ELb1ELi1EEEvPKT_PKT0_PfPimiif,comdat
.Lfunc_end277:
	.size	_ZN5aiter24topk_softplus_kernel_optI12hip_bfloat16S1_Li256ELb1ELi1EEEvPKT_PKT0_PfPimiif, .Lfunc_end277-_ZN5aiter24topk_softplus_kernel_optI12hip_bfloat16S1_Li256ELb1ELi1EEEvPKT_PKT0_PfPimiif
                                        ; -- End function
	.section	.AMDGPU.csdata,"",@progbits
; Kernel info:
; codeLenInByte = 6960
; NumSgprs: 18
; NumVgprs: 103
; ScratchSize: 0
; MemoryBound: 0
; FloatMode: 240
; IeeeMode: 1
; LDSByteSize: 0 bytes/workgroup (compile time only)
; SGPRBlocks: 2
; VGPRBlocks: 12
; NumSGPRsForWavesPerEU: 18
; NumVGPRsForWavesPerEU: 103
; Occupancy: 12
; WaveLimiterHint : 0
; COMPUTE_PGM_RSRC2:SCRATCH_EN: 0
; COMPUTE_PGM_RSRC2:USER_SGPR: 15
; COMPUTE_PGM_RSRC2:TRAP_HANDLER: 0
; COMPUTE_PGM_RSRC2:TGID_X_EN: 1
; COMPUTE_PGM_RSRC2:TGID_Y_EN: 0
; COMPUTE_PGM_RSRC2:TGID_Z_EN: 0
; COMPUTE_PGM_RSRC2:TIDIG_COMP_CNT: 0
	.section	.text._ZN5aiter24topk_softplus_kernel_optI12hip_bfloat16S1_Li256ELb0ELi1EEEvPKT_PKT0_PfPimiif,"axG",@progbits,_ZN5aiter24topk_softplus_kernel_optI12hip_bfloat16S1_Li256ELb0ELi1EEEvPKT_PKT0_PfPimiif,comdat
	.protected	_ZN5aiter24topk_softplus_kernel_optI12hip_bfloat16S1_Li256ELb0ELi1EEEvPKT_PKT0_PfPimiif ; -- Begin function _ZN5aiter24topk_softplus_kernel_optI12hip_bfloat16S1_Li256ELb0ELi1EEEvPKT_PKT0_PfPimiif
	.globl	_ZN5aiter24topk_softplus_kernel_optI12hip_bfloat16S1_Li256ELb0ELi1EEEvPKT_PKT0_PfPimiif
	.p2align	8
	.type	_ZN5aiter24topk_softplus_kernel_optI12hip_bfloat16S1_Li256ELb0ELi1EEEvPKT_PKT0_PfPimiif,@function
_ZN5aiter24topk_softplus_kernel_optI12hip_bfloat16S1_Li256ELb0ELi1EEEvPKT_PKT0_PfPimiif: ; @_ZN5aiter24topk_softplus_kernel_optI12hip_bfloat16S1_Li256ELb0ELi1EEEvPKT_PKT0_PfPimiif
; %bb.0:
	s_load_b128 s[4:7], s[0:1], 0x0
	s_lshl_b32 s2, s15, 8
	v_lshlrev_b32_e32 v3, 1, v0
	s_ashr_i32 s3, s2, 31
	s_delay_alu instid0(SALU_CYCLE_1)
	s_lshl_b64 s[2:3], s[2:3], 1
	s_waitcnt lgkmcnt(0)
	s_add_u32 s4, s4, s2
	s_addc_u32 s5, s5, s3
	s_cmp_lg_u64 s[6:7], 0
	global_load_u16 v1, v3, s[4:5]
	s_cselect_b32 s2, -1, 0
	s_waitcnt vmcnt(0)
	v_lshlrev_b32_e32 v1, 16, v1
	s_delay_alu instid0(VALU_DEP_1) | instskip(NEXT) | instid1(VALU_DEP_1)
	v_mul_f32_e32 v2, 0xbfb8aa3b, v1
	v_cmp_gt_f32_e32 vcc_lo, 0xc2fc0000, v2
	v_cndmask_b32_e64 v2, 0, 0x42800000, vcc_lo
	s_delay_alu instid0(VALU_DEP_1) | instskip(NEXT) | instid1(VALU_DEP_1)
	v_fmac_f32_e32 v2, 0xbfb8aa3b, v1
	v_exp_f32_e32 v1, v2
	v_cndmask_b32_e64 v2, 1.0, 0x1f800000, vcc_lo
	s_and_b32 vcc_lo, exec_lo, s2
	s_waitcnt_depctr 0xfff
	v_fma_f32 v1, v1, v2, 1.0
	s_delay_alu instid0(VALU_DEP_1) | instskip(SKIP_1) | instid1(VALU_DEP_1)
	v_rcp_f32_e32 v48, v1
	v_add_co_u32 v1, s3, s4, v3
	v_add_co_ci_u32_e64 v2, null, s5, 0, s3
	s_waitcnt_depctr 0xfff
	v_mov_b32_e32 v32, v48
	s_cbranch_vccz .LBB278_2
; %bb.1:
	global_load_u16 v4, v3, s[6:7]
	s_waitcnt vmcnt(0)
	v_lshlrev_b32_e32 v4, 16, v4
	s_delay_alu instid0(VALU_DEP_1)
	v_add_f32_e32 v32, v48, v4
.LBB278_2:
	global_load_u16 v4, v[1:2], off offset:64
	s_waitcnt vmcnt(0)
	v_lshlrev_b32_e32 v4, 16, v4
	s_delay_alu instid0(VALU_DEP_1) | instskip(NEXT) | instid1(VALU_DEP_1)
	v_mul_f32_e32 v5, 0xbfb8aa3b, v4
	v_cmp_gt_f32_e32 vcc_lo, 0xc2fc0000, v5
	v_cndmask_b32_e64 v5, 0, 0x42800000, vcc_lo
	s_delay_alu instid0(VALU_DEP_1) | instskip(NEXT) | instid1(VALU_DEP_1)
	v_fmac_f32_e32 v5, 0xbfb8aa3b, v4
	v_exp_f32_e32 v4, v5
	v_cndmask_b32_e64 v5, 1.0, 0x1f800000, vcc_lo
	s_and_not1_b32 vcc_lo, exec_lo, s2
	s_waitcnt_depctr 0xfff
	v_fma_f32 v4, v4, v5, 1.0
	s_delay_alu instid0(VALU_DEP_1)
	v_rcp_f32_e32 v17, v4
	v_cndmask_b32_e64 v4, 0, 1, s2
	s_waitcnt_depctr 0xfff
	v_mov_b32_e32 v33, v17
	s_cbranch_vccnz .LBB278_4
; %bb.3:
	global_load_u16 v5, v3, s[6:7] offset:64
	s_waitcnt vmcnt(0)
	v_lshlrev_b32_e32 v5, 16, v5
	s_delay_alu instid0(VALU_DEP_1)
	v_add_f32_e32 v33, v17, v5
.LBB278_4:
	global_load_u16 v5, v[1:2], off offset:128
	s_waitcnt vmcnt(0)
	v_lshlrev_b32_e32 v5, 16, v5
	s_delay_alu instid0(VALU_DEP_1) | instskip(NEXT) | instid1(VALU_DEP_1)
	v_mul_f32_e32 v6, 0xbfb8aa3b, v5
	v_cmp_gt_f32_e32 vcc_lo, 0xc2fc0000, v6
	v_cndmask_b32_e64 v6, 0, 0x42800000, vcc_lo
	s_delay_alu instid0(VALU_DEP_1) | instskip(NEXT) | instid1(VALU_DEP_1)
	v_fmac_f32_e32 v6, 0xbfb8aa3b, v5
	v_exp_f32_e32 v5, v6
	v_cndmask_b32_e64 v6, 1.0, 0x1f800000, vcc_lo
	v_cmp_ne_u32_e32 vcc_lo, 1, v4
	s_waitcnt_depctr 0xfff
	v_fma_f32 v5, v5, v6, 1.0
	s_delay_alu instid0(VALU_DEP_1)
	v_rcp_f32_e32 v18, v5
	s_waitcnt_depctr 0xfff
	v_mov_b32_e32 v34, v18
	s_cbranch_vccnz .LBB278_6
; %bb.5:
	global_load_u16 v5, v3, s[6:7] offset:128
	s_waitcnt vmcnt(0)
	v_lshlrev_b32_e32 v5, 16, v5
	s_delay_alu instid0(VALU_DEP_1)
	v_add_f32_e32 v34, v18, v5
.LBB278_6:
	global_load_u16 v5, v[1:2], off offset:192
	s_waitcnt vmcnt(0)
	v_lshlrev_b32_e32 v5, 16, v5
	s_delay_alu instid0(VALU_DEP_1) | instskip(NEXT) | instid1(VALU_DEP_1)
	v_mul_f32_e32 v6, 0xbfb8aa3b, v5
	v_cmp_gt_f32_e32 vcc_lo, 0xc2fc0000, v6
	v_cndmask_b32_e64 v6, 0, 0x42800000, vcc_lo
	s_delay_alu instid0(VALU_DEP_1) | instskip(NEXT) | instid1(VALU_DEP_1)
	v_fmac_f32_e32 v6, 0xbfb8aa3b, v5
	v_exp_f32_e32 v5, v6
	v_cndmask_b32_e64 v6, 1.0, 0x1f800000, vcc_lo
	v_cmp_ne_u32_e32 vcc_lo, 1, v4
	s_waitcnt_depctr 0xfff
	v_fma_f32 v5, v5, v6, 1.0
	s_delay_alu instid0(VALU_DEP_1)
	v_rcp_f32_e32 v19, v5
	;; [unrolled: 26-line block ×6, first 2 shown]
	s_cbranch_vccnz .LBB278_16
; %bb.15:
	global_load_u16 v1, v3, s[6:7] offset:448
	s_waitcnt vmcnt(0)
	v_lshlrev_b32_e32 v1, 16, v1
	s_delay_alu instid0(VALU_DEP_1)
	v_add_f32_e32 v39, v23, v1
	s_branch .LBB278_17
.LBB278_16:
	s_waitcnt_depctr 0xfff
	v_mov_b32_e32 v39, v23
.LBB278_17:
	v_add_nc_u32_e32 v7, 0xe0, v0
	v_dual_mov_b32 v8, v32 :: v_dual_add_nc_u32 v1, 32, v0
	v_dual_mov_b32 v9, v33 :: v_dual_add_nc_u32 v2, 64, v0
	;; [unrolled: 1-line block ×6, first 2 shown]
	v_dual_mov_b32 v14, v38 :: v_dual_mov_b32 v31, v7
	s_delay_alu instid0(VALU_DEP_2)
	v_dual_mov_b32 v47, v7 :: v_dual_mov_b32 v46, v6
	v_dual_mov_b32 v78, v7 :: v_dual_mov_b32 v77, v6
	;; [unrolled: 1-line block ×9, first 2 shown]
	v_mov_b32_e32 v40, v0
	v_dual_mov_b32 v76, v5 :: v_dual_mov_b32 v75, v4
	v_dual_mov_b32 v74, v3 :: v_dual_mov_b32 v73, v2
	;; [unrolled: 1-line block ×7, first 2 shown]
	s_mov_b32 s2, exec_lo
	v_cmpx_lt_f32_e32 v32, v33
	s_xor_b32 s2, exec_lo, s2
	s_cbranch_execz .LBB278_19
; %bb.18:
	v_dual_mov_b32 v30, v6 :: v_dual_mov_b32 v31, v7
	v_dual_mov_b32 v24, v1 :: v_dual_mov_b32 v25, v0
	;; [unrolled: 1-line block ×4, first 2 shown]
	s_delay_alu instid0(VALU_DEP_4)
	v_dual_mov_b32 v47, v31 :: v_dual_mov_b32 v46, v30
	v_dual_mov_b32 v78, v31 :: v_dual_mov_b32 v77, v30
	;; [unrolled: 1-line block ×17, first 2 shown]
	v_mov_b32_e32 v17, v48
	v_mov_b32_e32 v1, v0
.LBB278_19:
	s_or_b32 exec_lo, exec_lo, s2
	v_dual_mov_b32 v62, v23 :: v_dual_mov_b32 v61, v22
	v_dual_mov_b32 v86, v23 :: v_dual_mov_b32 v85, v22
	;; [unrolled: 1-line block ×16, first 2 shown]
	v_mov_b32_e32 v32, v10
	s_mov_b32 s2, exec_lo
	v_cmpx_lt_f32_e32 v33, v10
	s_cbranch_execz .LBB278_21
; %bb.20:
	v_dual_mov_b32 v70, v31 :: v_dual_mov_b32 v69, v30
	v_dual_mov_b32 v64, v25 :: v_dual_mov_b32 v63, v24
	;; [unrolled: 1-line block ×13, first 2 shown]
	v_mov_b32_e32 v74, v3
	v_dual_mov_b32 v87, v95 :: v_dual_mov_b32 v88, v96
	v_dual_mov_b32 v76, v68 :: v_dual_mov_b32 v75, v67
	;; [unrolled: 1-line block ×5, first 2 shown]
	v_mov_b32_e32 v90, v19
	v_dual_mov_b32 v40, v71 :: v_dual_mov_b32 v45, v76
	v_mov_b32_e32 v41, v72
	v_dual_mov_b32 v43, v74 :: v_dual_mov_b32 v46, v77
	v_mov_b32_e32 v79, v87
	v_dual_mov_b32 v44, v75 :: v_dual_mov_b32 v9, v10
	v_dual_mov_b32 v42, v73 :: v_dual_mov_b32 v47, v78
	v_dual_mov_b32 v44, v4 :: v_dual_mov_b32 v81, v89
	;; [unrolled: 1-line block ×5, first 2 shown]
	v_mov_b32_e32 v84, v92
	v_mov_b32_e32 v86, v94
	v_dual_mov_b32 v24, v40 :: v_dual_mov_b32 v29, v45
	v_dual_mov_b32 v30, v46 :: v_dual_mov_b32 v25, v41
	;; [unrolled: 1-line block ×6, first 2 shown]
	v_mov_b32_e32 v61, v22
	v_mov_b32_e32 v62, v86
	v_dual_mov_b32 v28, v44 :: v_dual_mov_b32 v29, v5
	v_dual_mov_b32 v31, v7 :: v_dual_mov_b32 v32, v33
	;; [unrolled: 1-line block ×3, first 2 shown]
	v_mov_b32_e32 v57, v81
	v_mov_b32_e32 v60, v21
	v_mov_b32_e32 v62, v23
	v_mov_b32_e32 v18, v17
	v_mov_b32_e32 v2, v1
.LBB278_21:
	s_or_b32 exec_lo, exec_lo, s2
	v_mov_b32_e32 v1, v11
	s_mov_b32 s2, exec_lo
	v_cmpx_lt_f32_e32 v32, v11
	s_cbranch_execz .LBB278_23
; %bb.22:
	v_mov_b32_e32 v97, v19
	v_mov_b32_e32 v65, v3
	v_dual_mov_b32 v87, v95 :: v_dual_mov_b32 v88, v96
	v_mov_b32_e32 v78, v70
	v_dual_mov_b32 v92, v100 :: v_dual_mov_b32 v71, v63
	v_dual_mov_b32 v90, v98 :: v_dual_mov_b32 v91, v99
	;; [unrolled: 1-line block ×8, first 2 shown]
	v_mov_b32_e32 v80, v88
	s_delay_alu instid0(VALU_DEP_3)
	v_dual_mov_b32 v40, v71 :: v_dual_mov_b32 v41, v72
	v_dual_mov_b32 v83, v91 :: v_dual_mov_b32 v84, v92
	;; [unrolled: 1-line block ×20, first 2 shown]
	v_mov_b32_e32 v1, v32
	v_mov_b32_e32 v19, v18
	;; [unrolled: 1-line block ×3, first 2 shown]
.LBB278_23:
	s_or_b32 exec_lo, exec_lo, s2
	v_mov_b32_e32 v2, v12
	s_mov_b32 s2, exec_lo
	v_cmpx_lt_f32_e32 v1, v12
	s_cbranch_execz .LBB278_25
; %bb.24:
	v_mov_b32_e32 v98, v20
	v_dual_mov_b32 v66, v4 :: v_dual_mov_b32 v79, v95
	v_dual_mov_b32 v40, v63 :: v_dual_mov_b32 v41, v64
	;; [unrolled: 1-line block ×3, first 2 shown]
	s_delay_alu instid0(VALU_DEP_3)
	v_dual_mov_b32 v43, v66 :: v_dual_mov_b32 v80, v96
	v_mov_b32_e32 v81, v97
	v_dual_mov_b32 v46, v69 :: v_dual_mov_b32 v83, v99
	v_dual_mov_b32 v42, v65 :: v_dual_mov_b32 v45, v68
	;; [unrolled: 1-line block ×5, first 2 shown]
	v_mov_b32_e32 v44, v3
	v_dual_mov_b32 v55, v79 :: v_dual_mov_b32 v56, v80
	v_dual_mov_b32 v57, v81 :: v_dual_mov_b32 v24, v40
	;; [unrolled: 1-line block ×10, first 2 shown]
	v_mov_b32_e32 v73, v65
	v_dual_mov_b32 v12, v1 :: v_dual_mov_b32 v27, v43
	v_dual_mov_b32 v60, v21 :: v_dual_mov_b32 v61, v22
	;; [unrolled: 1-line block ×8, first 2 shown]
	v_mov_b32_e32 v74, v66
	v_mov_b32_e32 v72, v64
	;; [unrolled: 1-line block ×5, first 2 shown]
.LBB278_25:
	s_or_b32 exec_lo, exec_lo, s2
	v_mov_b32_e32 v1, v13
	s_mov_b32 s2, exec_lo
	v_cmpx_lt_f32_e32 v2, v13
	s_cbranch_execz .LBB278_27
; %bb.26:
	v_mov_b32_e32 v75, v5
	v_dual_mov_b32 v91, v21 :: v_dual_mov_b32 v24, v71
	v_mov_b32_e32 v30, v77
	v_mov_b32_e32 v30, v6
	;; [unrolled: 1-line block ×4, first 2 shown]
	v_dual_mov_b32 v55, v87 :: v_dual_mov_b32 v60, v92
	v_dual_mov_b32 v79, v87 :: v_dual_mov_b32 v82, v90
	;; [unrolled: 1-line block ×17, first 2 shown]
	v_mov_b32_e32 v21, v20
	v_mov_b32_e32 v5, v4
	;; [unrolled: 1-line block ×4, first 2 shown]
.LBB278_27:
	s_or_b32 exec_lo, exec_lo, s2
	v_mov_b32_e32 v2, v14
	s_mov_b32 s2, exec_lo
	v_cmpx_lt_f32_e32 v1, v14
	s_cbranch_execz .LBB278_29
; %bb.28:
	v_dual_mov_b32 v45, v6 :: v_dual_mov_b32 v46, v5
	v_dual_mov_b32 v84, v22 :: v_dual_mov_b32 v85, v21
	;; [unrolled: 1-line block ×12, first 2 shown]
	v_mov_b32_e32 v2, v1
.LBB278_29:
	s_or_b32 exec_lo, exec_lo, s2
	s_delay_alu instid0(VALU_DEP_1)
	v_cmp_lt_f32_e32 vcc_lo, v2, v15
	v_dual_mov_b32 v40, v56 :: v_dual_mov_b32 v43, v59
	v_cmp_lt_f32_e64 s2, v8, v9
	v_dual_mov_b32 v41, v57 :: v_dual_mov_b32 v42, v58
	v_dual_cndmask_b32 v23, v15, v2 :: v_dual_cndmask_b32 v14, v14, v15
	v_dual_cndmask_b32 v46, v62, v61 :: v_dual_mov_b32 v39, v55
	s_delay_alu instid0(VALU_DEP_2) | instskip(SKIP_3) | instid1(VALU_DEP_4)
	v_dual_mov_b32 v44, v60 :: v_dual_mov_b32 v15, v23
	v_cndmask_b32_e32 v45, v61, v62, vcc_lo
	v_dual_cndmask_b32 v54, v31, v30 :: v_dual_cndmask_b32 v53, v30, v31
	v_dual_mov_b32 v47, v24 :: v_dual_mov_b32 v50, v27
	v_mov_b32_e32 v22, v15
	v_dual_mov_b32 v21, v14 :: v_dual_mov_b32 v20, v13
	v_dual_mov_b32 v19, v12 :: v_dual_mov_b32 v18, v11
	;; [unrolled: 1-line block ×5, first 2 shown]
	v_mov_b32_e32 v51, v28
	s_and_saveexec_b32 s3, s2
	s_delay_alu instid0(SALU_CYCLE_1)
	s_xor_b32 s2, exec_lo, s3
	s_cbranch_execz .LBB278_31
; %bb.30:
	v_dual_mov_b32 v16, v9 :: v_dual_mov_b32 v17, v8
	v_dual_mov_b32 v18, v10 :: v_dual_mov_b32 v19, v11
	;; [unrolled: 1-line block ×4, first 2 shown]
	s_delay_alu instid0(VALU_DEP_4)
	v_dual_mov_b32 v15, v16 :: v_dual_mov_b32 v40, v55
	v_dual_mov_b32 v16, v17 :: v_dual_mov_b32 v39, v56
	;; [unrolled: 1-line block ×10, first 2 shown]
.LBB278_31:
	s_or_b32 exec_lo, exec_lo, s2
	v_dual_mov_b32 v31, v39 :: v_dual_mov_b32 v32, v40
	v_dual_mov_b32 v78, v46 :: v_dual_mov_b32 v77, v45
	;; [unrolled: 1-line block ×22, first 2 shown]
	v_mov_b32_e32 v10, v17
	s_mov_b32 s2, exec_lo
	v_dual_mov_b32 v76, v44 :: v_dual_mov_b32 v75, v43
	v_dual_mov_b32 v68, v52 :: v_dual_mov_b32 v67, v51
	v_cmpx_lt_f32_e32 v9, v17
	s_cbranch_execz .LBB278_33
; %bb.32:
	v_dual_mov_b32 v1, v47 :: v_dual_mov_b32 v2, v48
	v_dual_mov_b32 v7, v53 :: v_dual_mov_b32 v8, v54
	v_mov_b32_e32 v2, v49
	v_dual_mov_b32 v3, v49 :: v_dual_mov_b32 v4, v50
	v_dual_mov_b32 v5, v51 :: v_dual_mov_b32 v6, v52
	;; [unrolled: 1-line block ×7, first 2 shown]
	v_mov_b32_e32 v57, v40
	v_dual_mov_b32 v70, v8 :: v_dual_mov_b32 v69, v7
	v_dual_mov_b32 v64, v2 :: v_dual_mov_b32 v63, v1
	;; [unrolled: 1-line block ×6, first 2 shown]
	v_mov_b32_e32 v66, v50
	v_dual_mov_b32 v16, v17 :: v_dual_mov_b32 v75, v59
	v_dual_mov_b32 v17, v9 :: v_dual_mov_b32 v76, v60
	;; [unrolled: 1-line block ×17, first 2 shown]
.LBB278_33:
	s_or_b32 exec_lo, exec_lo, s2
	v_mov_b32_e32 v9, v18
	s_mov_b32 s2, exec_lo
	s_delay_alu instid0(VALU_DEP_2)
	v_cmpx_lt_f32_e32 v10, v18
	s_cbranch_execz .LBB278_35
; %bb.34:
	v_mov_b32_e32 v3, v50
	v_dual_mov_b32 v57, v42 :: v_dual_mov_b32 v70, v8
	v_mov_b32_e32 v66, v4
	v_dual_mov_b32 v78, v62 :: v_dual_mov_b32 v77, v61
	v_mov_b32_e32 v66, v49
	v_mov_b32_e32 v63, v1
	;; [unrolled: 1-line block ×3, first 2 shown]
	v_dual_mov_b32 v69, v7 :: v_dual_mov_b32 v68, v6
	v_dual_mov_b32 v67, v5 :: v_dual_mov_b32 v64, v2
	;; [unrolled: 1-line block ×4, first 2 shown]
	v_mov_b32_e32 v65, v3
	v_dual_mov_b32 v73, v57 :: v_dual_mov_b32 v72, v56
	v_mov_b32_e32 v74, v41
	v_dual_mov_b32 v18, v10 :: v_dual_mov_b32 v23, v63
	v_dual_mov_b32 v24, v64 :: v_dual_mov_b32 v31, v71
	s_delay_alu instid0(VALU_DEP_4)
	v_dual_mov_b32 v32, v72 :: v_dual_mov_b32 v27, v67
	v_dual_mov_b32 v28, v68 :: v_dual_mov_b32 v29, v69
	;; [unrolled: 1-line block ×10, first 2 shown]
	v_mov_b32_e32 v38, v46
	v_dual_mov_b32 v9, v10 :: v_dual_mov_b32 v42, v41
	v_mov_b32_e32 v50, v49
.LBB278_35:
	s_or_b32 exec_lo, exec_lo, s2
	v_mov_b32_e32 v4, v19
	s_mov_b32 s2, exec_lo
	v_cmpx_lt_f32_e32 v9, v19
	s_cbranch_execz .LBB278_37
; %bb.36:
	v_mov_b32_e32 v4, v51
	v_dual_mov_b32 v18, v19 :: v_dual_mov_b32 v19, v9
	v_mov_b32_e32 v58, v43
	v_dual_mov_b32 v30, v8 :: v_dual_mov_b32 v29, v7
	v_dual_mov_b32 v28, v6 :: v_dual_mov_b32 v25, v3
	v_dual_mov_b32 v23, v1 :: v_dual_mov_b32 v28, v52
	v_mov_b32_e32 v31, v55
	v_dual_mov_b32 v27, v5 :: v_dual_mov_b32 v32, v56
	v_dual_mov_b32 v35, v59 :: v_dual_mov_b32 v34, v58
	;; [unrolled: 4-line block ×3, first 2 shown]
	v_dual_mov_b32 v70, v8 :: v_dual_mov_b32 v65, v3
	v_dual_mov_b32 v26, v4 :: v_dual_mov_b32 v27, v50
	;; [unrolled: 1-line block ×11, first 2 shown]
	v_mov_b32_e32 v64, v2
	v_dual_mov_b32 v4, v9 :: v_dual_mov_b32 v51, v50
.LBB278_37:
	s_or_b32 exec_lo, exec_lo, s2
	v_mov_b32_e32 v1, v20
	s_mov_b32 s2, exec_lo
	s_delay_alu instid0(VALU_DEP_2)
	v_cmpx_lt_f32_e32 v4, v20
	s_cbranch_execz .LBB278_39
; %bb.38:
	v_dual_mov_b32 v67, v52 :: v_dual_mov_b32 v68, v51
	v_dual_mov_b32 v69, v53 :: v_dual_mov_b32 v76, v43
	;; [unrolled: 1-line block ×4, first 2 shown]
	v_mov_b32_e32 v19, v20
	v_dual_mov_b32 v20, v4 :: v_dual_mov_b32 v31, v71
	v_dual_mov_b32 v23, v63 :: v_dual_mov_b32 v24, v64
	v_dual_mov_b32 v32, v72 :: v_dual_mov_b32 v33, v73
	v_dual_mov_b32 v34, v74 :: v_dual_mov_b32 v35, v75
	v_dual_mov_b32 v36, v76 :: v_dual_mov_b32 v37, v77
	v_dual_mov_b32 v38, v78 :: v_dual_mov_b32 v25, v65
	v_dual_mov_b32 v26, v66 :: v_dual_mov_b32 v27, v67
	v_dual_mov_b32 v28, v68 :: v_dual_mov_b32 v29, v69
	v_dual_mov_b32 v30, v70 :: v_dual_mov_b32 v1, v4
.LBB278_39:
	s_or_b32 exec_lo, exec_lo, s2
	s_delay_alu instid0(VALU_DEP_1)
	v_cmp_lt_f32_e32 vcc_lo, v1, v21
	v_mov_b32_e32 v4, v18
	v_mov_b32_e32 v8, v22
	s_mov_b32 s2, exec_lo
	v_dual_mov_b32 v2, v16 :: v_dual_cndmask_b32 v9, v37, v36
	v_cndmask_b32_e32 v36, v36, v37, vcc_lo
	v_cndmask_b32_e32 v10, v29, v28, vcc_lo
	v_dual_cndmask_b32 v28, v28, v29 :: v_dual_mov_b32 v3, v17
	v_cndmask_b32_e32 v7, v21, v1, vcc_lo
	v_dual_cndmask_b32 v6, v20, v21 :: v_dual_mov_b32 v5, v19
	v_mov_b32_e32 v1, v15
	v_cmpx_lt_f32_e32 v15, v16
	s_cbranch_execz .LBB278_41
; %bb.40:
	s_delay_alu instid0(VALU_DEP_2)
	v_dual_mov_b32 v39, v2 :: v_dual_mov_b32 v40, v1
	v_dual_mov_b32 v41, v3 :: v_dual_mov_b32 v42, v4
	;; [unrolled: 1-line block ×4, first 2 shown]
	v_mov_b32_e32 v11, v31
	v_mov_b32_e32 v12, v23
	v_dual_mov_b32 v1, v39 :: v_dual_mov_b32 v4, v42
	v_swap_b32 v31, v32
	v_swap_b32 v23, v24
	v_dual_mov_b32 v2, v40 :: v_dual_mov_b32 v3, v41
	v_dual_mov_b32 v5, v43 :: v_dual_mov_b32 v6, v44
	;; [unrolled: 1-line block ×3, first 2 shown]
	v_mov_b32_e32 v16, v15
.LBB278_41:
	s_or_b32 exec_lo, exec_lo, s2
	v_mov_b32_e32 v29, v10
	v_dual_mov_b32 v37, v9 :: v_dual_mov_b32 v54, v30
	v_mov_b32_e32 v46, v38
	v_dual_mov_b32 v44, v36 :: v_dual_mov_b32 v39, v31
	v_dual_mov_b32 v70, v38 :: v_dual_mov_b32 v49, v25
	s_delay_alu instid0(VALU_DEP_4)
	v_dual_mov_b32 v62, v30 :: v_dual_mov_b32 v45, v37
	v_dual_mov_b32 v43, v35 :: v_dual_mov_b32 v42, v34
	;; [unrolled: 1-line block ×12, first 2 shown]
	v_mov_b32_e32 v57, v25
	v_mov_b32_e32 v55, v23
	;; [unrolled: 1-line block ×3, first 2 shown]
	s_mov_b32 s2, exec_lo
	v_cmpx_lt_f32_e32 v16, v3
	s_cbranch_execz .LBB278_43
; %bb.42:
	v_dual_mov_b32 v62, v30 :: v_dual_mov_b32 v61, v29
	v_dual_mov_b32 v58, v26 :: v_dual_mov_b32 v57, v25
	;; [unrolled: 1-line block ×7, first 2 shown]
	s_delay_alu instid0(VALU_DEP_4)
	v_dual_mov_b32 v47, v55 :: v_dual_mov_b32 v48, v56
	v_dual_mov_b32 v68, v36 :: v_dual_mov_b32 v67, v35
	;; [unrolled: 1-line block ×16, first 2 shown]
	v_mov_b32_e32 v44, v36
	v_dual_mov_b32 v46, v38 :: v_dual_mov_b32 v11, v16
	v_mov_b32_e32 v33, v32
	v_mov_b32_e32 v25, v24
.LBB278_43:
	s_or_b32 exec_lo, exec_lo, s2
	v_mov_b32_e32 v12, v4
	s_mov_b32 s2, exec_lo
	v_cmpx_lt_f32_e32 v11, v4
	s_cbranch_execz .LBB278_45
; %bb.44:
	v_mov_b32_e32 v57, v26
	v_dual_mov_b32 v3, v4 :: v_dual_mov_b32 v4, v11
	v_mov_b32_e32 v65, v34
	v_dual_mov_b32 v47, v55 :: v_dual_mov_b32 v52, v60
	v_dual_mov_b32 v48, v56 :: v_dual_mov_b32 v39, v63
	;; [unrolled: 1-line block ×3, first 2 shown]
	v_mov_b32_e32 v54, v62
	v_dual_mov_b32 v50, v58 :: v_dual_mov_b32 v51, v59
	v_mov_b32_e32 v50, v25
	v_dual_mov_b32 v53, v61 :: v_dual_mov_b32 v52, v28
	v_dual_mov_b32 v41, v65 :: v_dual_mov_b32 v44, v68
	;; [unrolled: 1-line block ×8, first 2 shown]
	v_mov_b32_e32 v12, v11
	v_mov_b32_e32 v34, v33
	;; [unrolled: 1-line block ×3, first 2 shown]
.LBB278_45:
	s_or_b32 exec_lo, exec_lo, s2
	v_mov_b32_e32 v11, v5
	s_mov_b32 s2, exec_lo
	v_cmpx_lt_f32_e32 v12, v5
	s_cbranch_execz .LBB278_47
; %bb.46:
	v_dual_mov_b32 v68, v36 :: v_dual_mov_b32 v69, v9
	v_dual_mov_b32 v58, v27 :: v_dual_mov_b32 v59, v26
	;; [unrolled: 1-line block ×4, first 2 shown]
	v_mov_b32_e32 v70, v38
	v_dual_mov_b32 v4, v5 :: v_dual_mov_b32 v5, v12
	v_dual_mov_b32 v62, v30 :: v_dual_mov_b32 v39, v63
	;; [unrolled: 1-line block ×10, first 2 shown]
.LBB278_47:
	s_or_b32 exec_lo, exec_lo, s2
	s_delay_alu instid0(VALU_DEP_1)
	v_cmp_lt_f32_e32 vcc_lo, v11, v6
	v_dual_mov_b32 v19, v1 :: v_dual_mov_b32 v26, v8
	v_mov_b32_e32 v21, v3
	v_mov_b32_e32 v25, v7
	v_dual_cndmask_b32 v27, v44, v43 :: v_dual_mov_b32 v20, v2
	v_dual_cndmask_b32 v43, v43, v44 :: v_dual_cndmask_b32 v28, v52, v51
	v_dual_cndmask_b32 v51, v51, v52 :: v_dual_cndmask_b32 v24, v6, v11
	v_dual_cndmask_b32 v23, v5, v6 :: v_dual_mov_b32 v22, v4
	s_mov_b32 s2, exec_lo
	v_cmpx_lt_f32_e32 v1, v2
	s_cbranch_execz .LBB278_49
; %bb.48:
	v_dual_mov_b32 v8, v25 :: v_dual_mov_b32 v9, v26
	v_dual_mov_b32 v2, v20 :: v_dual_mov_b32 v3, v19
	v_dual_mov_b32 v4, v21 :: v_dual_mov_b32 v5, v22
	v_dual_mov_b32 v6, v23 :: v_dual_mov_b32 v7, v24
	v_mov_b32_e32 v10, v39
	v_dual_mov_b32 v11, v47 :: v_dual_mov_b32 v26, v9
	v_swap_b32 v39, v40
	v_swap_b32 v47, v48
	v_dual_mov_b32 v25, v8 :: v_dual_mov_b32 v24, v7
	v_dual_mov_b32 v23, v6 :: v_dual_mov_b32 v22, v5
	;; [unrolled: 1-line block ×4, first 2 shown]
.LBB278_49:
	s_or_b32 exec_lo, exec_lo, s2
	v_mov_b32_e32 v52, v28
	v_mov_b32_e32 v44, v27
	;; [unrolled: 1-line block ×4, first 2 shown]
	v_dual_mov_b32 v11, v39 :: v_dual_mov_b32 v4, v48
	v_dual_mov_b32 v12, v40 :: v_dual_mov_b32 v13, v41
	;; [unrolled: 1-line block ×7, first 2 shown]
	v_mov_b32_e32 v10, v54
	s_mov_b32 s2, exec_lo
	v_cmpx_lt_f32_e32 v2, v21
	s_cbranch_execz .LBB278_51
; %bb.50:
	v_dual_mov_b32 v3, v47 :: v_dual_mov_b32 v4, v48
	v_dual_mov_b32 v9, v53 :: v_dual_mov_b32 v10, v54
	;; [unrolled: 1-line block ×17, first 2 shown]
	v_mov_b32_e32 v49, v48
.LBB278_51:
	s_or_b32 exec_lo, exec_lo, s2
	v_mov_b32_e32 v29, v22
	s_mov_b32 s2, exec_lo
	v_cmpx_lt_f32_e32 v1, v22
; %bb.52:
	v_dual_mov_b32 v21, v22 :: v_dual_mov_b32 v22, v1
	v_dual_mov_b32 v5, v50 :: v_dual_mov_b32 v6, v49
	;; [unrolled: 1-line block ×7, first 2 shown]
	v_mov_b32_e32 v29, v1
; %bb.53:
	s_or_b32 exec_lo, exec_lo, s2
	s_delay_alu instid0(VALU_DEP_1)
	v_cmp_lt_f32_e32 vcc_lo, v29, v23
	v_dual_mov_b32 v28, v20 :: v_dual_mov_b32 v33, v25
	v_mov_b32_e32 v32, v24
	v_dual_mov_b32 v34, v26 :: v_dual_cndmask_b32 v1, v15, v14
	v_cndmask_b32_e32 v14, v14, v15, vcc_lo
	v_cndmask_b32_e32 v2, v7, v6, vcc_lo
	v_dual_cndmask_b32 v6, v6, v7 :: v_dual_cndmask_b32 v31, v23, v29
	v_dual_cndmask_b32 v30, v22, v23 :: v_dual_mov_b32 v27, v19
	v_mov_b32_e32 v29, v21
	s_mov_b32 s2, exec_lo
	v_cmpx_lt_f32_e32 v19, v20
	s_cbranch_execz .LBB278_55
; %bb.54:
	v_dual_mov_b32 v20, v28 :: v_dual_mov_b32 v21, v27
	v_dual_mov_b32 v26, v33 :: v_dual_mov_b32 v27, v34
	;; [unrolled: 1-line block ×4, first 2 shown]
	s_delay_alu instid0(VALU_DEP_3)
	v_mov_b32_e32 v34, v27
	v_mov_b32_e32 v7, v11
	v_dual_mov_b32 v15, v3 :: v_dual_mov_b32 v28, v21
	v_swap_b32 v11, v12
	v_swap_b32 v3, v4
	v_dual_mov_b32 v33, v26 :: v_dual_mov_b32 v30, v23
	v_dual_mov_b32 v32, v25 :: v_dual_mov_b32 v31, v24
	v_mov_b32_e32 v29, v22
	v_dual_mov_b32 v27, v20 :: v_dual_mov_b32 v20, v19
.LBB278_55:
	s_or_b32 exec_lo, exec_lo, s2
	v_mov_b32_e32 v7, v2
	v_mov_b32_e32 v15, v1
	;; [unrolled: 1-line block ×3, first 2 shown]
	s_mov_b32 s2, exec_lo
	v_cmpx_lt_f32_e32 v20, v29
	s_cbranch_execz .LBB278_57
; %bb.56:
	v_dual_mov_b32 v42, v10 :: v_dual_mov_b32 v41, v9
	v_dual_mov_b32 v40, v8 :: v_dual_mov_b32 v39, v7
	;; [unrolled: 1-line block ×16, first 2 shown]
	v_mov_b32_e32 v18, v9
	s_delay_alu instid0(VALU_DEP_3) | instskip(NEXT) | instid1(VALU_DEP_4)
	v_dual_mov_b32 v16, v7 :: v_dual_mov_b32 v15, v6
	v_dual_mov_b32 v17, v8 :: v_dual_mov_b32 v14, v5
	;; [unrolled: 1-line block ×3, first 2 shown]
	v_mov_b32_e32 v11, v2
	v_dual_mov_b32 v3, v35 :: v_dual_mov_b32 v4, v36
	v_dual_mov_b32 v5, v37 :: v_dual_mov_b32 v6, v38
	;; [unrolled: 1-line block ×4, first 2 shown]
	v_mov_b32_e32 v19, v20
.LBB278_57:
	s_or_b32 exec_lo, exec_lo, s2
	s_delay_alu instid0(VALU_DEP_1)
	v_cmp_lt_f32_e32 vcc_lo, v19, v30
	v_dual_mov_b32 v20, v7 :: v_dual_mov_b32 v21, v8
	v_dual_mov_b32 v22, v9 :: v_dual_mov_b32 v23, v10
	v_dual_cndmask_b32 v1, v14, v13 :: v_dual_cndmask_b32 v36, v5, v6
	v_dual_cndmask_b32 v35, v13, v14 :: v_dual_cndmask_b32 v2, v6, v5
	;; [unrolled: 1-line block ×3, first 2 shown]
	v_dual_mov_b32 v6, v15 :: v_dual_mov_b32 v13, v16
	v_dual_mov_b32 v14, v17 :: v_dual_mov_b32 v19, v18
	;; [unrolled: 1-line block ×4, first 2 shown]
	v_mov_b32_e32 v29, v34
	s_mov_b32 s2, exec_lo
	v_cmpx_lt_f32_e32 v27, v28
	s_cbranch_execz .LBB278_59
; %bb.58:
	v_dual_mov_b32 v24, v28 :: v_dual_mov_b32 v37, v27
	v_dual_mov_b32 v6, v11 :: v_dual_mov_b32 v13, v16
	;; [unrolled: 1-line block ×3, first 2 shown]
	v_swap_b32 v11, v12
	v_swap_b32 v3, v4
	v_dual_mov_b32 v28, v27 :: v_dual_mov_b32 v21, v8
	v_dual_mov_b32 v6, v15 :: v_dual_mov_b32 v23, v10
	;; [unrolled: 1-line block ×5, first 2 shown]
	v_mov_b32_e32 v24, v31
	v_mov_b32_e32 v26, v33
.LBB278_59:
	s_or_b32 exec_lo, exec_lo, s2
	s_clause 0x1
	s_load_b32 s8, s[0:1], 0x28
	s_load_b128 s[4:7], s[0:1], 0x10
	s_waitcnt lgkmcnt(0)
	s_cmp_lt_i32 s8, 1
	s_cbranch_scc1 .LBB278_65
; %bb.60:
	v_cmp_lt_f32_e32 vcc_lo, v28, v30
	v_mov_b32_e32 v9, 0
	s_mov_b32 s9, 0x76543210
	s_mov_b32 s10, s8
	v_mov_b32_e32 v8, 0
	v_dual_cndmask_b32 v10, v35, v12 :: v_dual_cndmask_b32 v17, v37, v30
	v_cndmask_b32_e32 v7, v36, v4, vcc_lo
	v_cndmask_b32_e32 v15, v4, v36, vcc_lo
	;; [unrolled: 1-line block ×4, first 2 shown]
	v_cmp_lt_f32_e64 s2, v27, v17
	s_delay_alu instid0(VALU_DEP_1)
	v_cndmask_b32_e64 v12, v15, v3, s2
	v_cndmask_b32_e64 v15, v3, v15, s2
	v_mov_b32_e32 v3, 0
	v_cndmask_b32_e64 v16, v17, v27, s2
	v_cndmask_b32_e64 v17, v27, v17, s2
	;; [unrolled: 1-line block ×4, first 2 shown]
	v_mov_b32_e32 v27, v0
.LBB278_61:                             ; =>This Inner Loop Header: Depth=1
	v_cmp_eq_u32_e32 vcc_lo, 1, v9
	v_cmp_eq_u32_e64 s2, 2, v9
	v_cmp_gt_u32_e64 s3, 8, v9
	v_dual_cndmask_b32 v28, v17, v16 :: v_dual_cndmask_b32 v31, v11, v18
	v_cndmask_b32_e32 v30, v15, v12, vcc_lo
	v_cmp_eq_u32_e32 vcc_lo, 3, v9
	s_delay_alu instid0(VALU_DEP_3) | instskip(NEXT) | instid1(VALU_DEP_4)
	v_cndmask_b32_e64 v28, v28, v4, s2
	v_cndmask_b32_e64 v31, v31, v10, s2
	s_delay_alu instid0(VALU_DEP_4) | instskip(SKIP_1) | instid1(VALU_DEP_4)
	v_cndmask_b32_e64 v30, v30, v7, s2
	v_cmp_eq_u32_e64 s2, 4, v9
	v_cndmask_b32_e32 v28, v28, v5, vcc_lo
	s_delay_alu instid0(VALU_DEP_3) | instskip(SKIP_1) | instid1(VALU_DEP_3)
	v_dual_cndmask_b32 v31, v31, v1 :: v_dual_cndmask_b32 v30, v30, v2
	v_cmp_eq_u32_e32 vcc_lo, 5, v9
	v_cndmask_b32_e64 v28, v28, v24, s2
	s_delay_alu instid0(VALU_DEP_3) | instskip(NEXT) | instid1(VALU_DEP_4)
	v_cndmask_b32_e64 v31, v31, v6, s2
	v_cndmask_b32_e64 v30, v30, v20, s2
	v_cmp_eq_u32_e64 s2, 6, v9
	s_delay_alu instid0(VALU_DEP_4) | instskip(NEXT) | instid1(VALU_DEP_4)
	v_cndmask_b32_e32 v28, v28, v25, vcc_lo
	v_cndmask_b32_e32 v31, v31, v13, vcc_lo
	s_delay_alu instid0(VALU_DEP_4) | instskip(SKIP_1) | instid1(VALU_DEP_4)
	v_cndmask_b32_e32 v30, v30, v21, vcc_lo
	v_cmp_eq_u32_e32 vcc_lo, 7, v9
	v_cndmask_b32_e64 v28, v28, v26, s2
	s_delay_alu instid0(VALU_DEP_3) | instskip(NEXT) | instid1(VALU_DEP_2)
	v_cndmask_b32_e64 v30, v30, v22, s2
	v_cndmask_b32_e32 v28, v28, v29, vcc_lo
	s_delay_alu instid0(VALU_DEP_2) | instskip(NEXT) | instid1(VALU_DEP_2)
	v_cndmask_b32_e32 v30, v30, v23, vcc_lo
	v_cndmask_b32_e64 v28, 0xff800000, v28, s3
	;;#ASMSTART
	v_max_f32 v32, v28, v28 quad_perm:[1,0,3,2] row_mask:0xf bank_mask:0xf bound_ctrl:1
	;;#ASMEND
	;;#ASMSTART
	v_max_f32 v33, v32, v32 quad_perm:[2,3,0,1] row_mask:0xf bank_mask:0xf bound_ctrl:1
	;;#ASMEND
	;;#ASMSTART
	v_max_f32 v32, v33, v33 row_half_mirror row_mask:0xf bank_mask:0xf bound_ctrl:1
	;;#ASMEND
	;;#ASMSTART
	v_max_f32 v33, v32, v32 row_mirror row_mask:0xf bank_mask:0xf bound_ctrl:1
	;;#ASMEND
	v_permlanex16_b32 v32, v33, s9, 0xfedcba98 op_sel:[1,1]
	s_delay_alu instid0(VALU_DEP_1) | instskip(SKIP_1) | instid1(VALU_DEP_2)
	v_dual_max_f32 v33, v33, v33 :: v_dual_max_f32 v32, v32, v32
	v_cndmask_b32_e64 v31, v31, v14, s2
	v_max_f32_e32 v32, v33, v32
	s_delay_alu instid0(VALU_DEP_1) | instskip(SKIP_1) | instid1(VALU_DEP_2)
	v_cmp_eq_f32_e64 s2, v28, v32
	v_cndmask_b32_e64 v28, 0, v30, s3
	s_ctz_i32_b32 s11, s2
	s_cmp_lg_u32 s2, 0
	s_cselect_b32 s2, s11, 0
	s_add_i32 s10, s10, -1
	v_readlane_b32 s11, v28, s2
	v_cndmask_b32_e32 v28, v31, v19, vcc_lo
	s_delay_alu instid0(VALU_DEP_2)
	v_cmp_eq_u32_e32 vcc_lo, s11, v30
	s_and_b32 s2, s11, 31
	s_and_b32 vcc_lo, s3, vcc_lo
	s_cmp_eq_u32 s10, 0
	v_cndmask_b32_e32 v28, 0, v28, vcc_lo
	v_add_co_ci_u32_e32 v9, vcc_lo, 0, v9, vcc_lo
	s_delay_alu instid0(VALU_DEP_2) | instskip(SKIP_2) | instid1(VALU_DEP_2)
	v_readlane_b32 s3, v28, s2
	v_cmp_eq_u32_e64 s2, 0, v27
	v_add_nc_u32_e32 v27, -1, v27
	v_cndmask_b32_e64 v8, v8, s3, s2
	v_cndmask_b32_e64 v3, v3, s11, s2
	s_cbranch_scc0 .LBB278_61
; %bb.62:
	s_mov_b32 s2, exec_lo
	v_cmpx_gt_i32_e64 s8, v0
	s_cbranch_execz .LBB278_64
.LBB278_63:
	s_clause 0x1
	s_load_b64 s[2:3], s[0:1], 0x20
	s_load_b32 s8, s[0:1], 0x30
	s_ashr_i32 s0, s15, 31
	v_lshlrev_b32_e32 v0, 2, v0
	s_waitcnt lgkmcnt(0)
	s_mul_i32 s1, s15, s3
	s_mul_hi_u32 s3, s15, s2
	s_mul_i32 s0, s0, s2
	s_add_i32 s1, s3, s1
	v_mul_f32_e32 v1, s8, v8
	s_add_i32 s1, s1, s0
	s_mul_i32 s0, s15, s2
	s_delay_alu instid0(SALU_CYCLE_1) | instskip(NEXT) | instid1(SALU_CYCLE_1)
	s_lshl_b64 s[0:1], s[0:1], 2
	s_add_u32 s2, s4, s0
	s_addc_u32 s3, s5, s1
	s_add_u32 s0, s6, s0
	s_addc_u32 s1, s7, s1
	s_clause 0x1
	global_store_b32 v0, v1, s[2:3]
	global_store_b32 v0, v3, s[0:1]
.LBB278_64:
	s_nop 0
	s_sendmsg sendmsg(MSG_DEALLOC_VGPRS)
	s_endpgm
.LBB278_65:
	v_dual_mov_b32 v3, 0 :: v_dual_mov_b32 v8, 0
	s_mov_b32 s2, exec_lo
	v_cmpx_gt_i32_e64 s8, v0
	s_cbranch_execnz .LBB278_63
	s_branch .LBB278_64
	.section	.rodata,"a",@progbits
	.p2align	6, 0x0
	.amdhsa_kernel _ZN5aiter24topk_softplus_kernel_optI12hip_bfloat16S1_Li256ELb0ELi1EEEvPKT_PKT0_PfPimiif
		.amdhsa_group_segment_fixed_size 0
		.amdhsa_private_segment_fixed_size 0
		.amdhsa_kernarg_size 52
		.amdhsa_user_sgpr_count 15
		.amdhsa_user_sgpr_dispatch_ptr 0
		.amdhsa_user_sgpr_queue_ptr 0
		.amdhsa_user_sgpr_kernarg_segment_ptr 1
		.amdhsa_user_sgpr_dispatch_id 0
		.amdhsa_user_sgpr_private_segment_size 0
		.amdhsa_wavefront_size32 1
		.amdhsa_uses_dynamic_stack 0
		.amdhsa_enable_private_segment 0
		.amdhsa_system_sgpr_workgroup_id_x 1
		.amdhsa_system_sgpr_workgroup_id_y 0
		.amdhsa_system_sgpr_workgroup_id_z 0
		.amdhsa_system_sgpr_workgroup_info 0
		.amdhsa_system_vgpr_workitem_id 0
		.amdhsa_next_free_vgpr 103
		.amdhsa_next_free_sgpr 16
		.amdhsa_reserve_vcc 1
		.amdhsa_float_round_mode_32 0
		.amdhsa_float_round_mode_16_64 0
		.amdhsa_float_denorm_mode_32 3
		.amdhsa_float_denorm_mode_16_64 3
		.amdhsa_dx10_clamp 1
		.amdhsa_ieee_mode 1
		.amdhsa_fp16_overflow 0
		.amdhsa_workgroup_processor_mode 1
		.amdhsa_memory_ordered 1
		.amdhsa_forward_progress 0
		.amdhsa_shared_vgpr_count 0
		.amdhsa_exception_fp_ieee_invalid_op 0
		.amdhsa_exception_fp_denorm_src 0
		.amdhsa_exception_fp_ieee_div_zero 0
		.amdhsa_exception_fp_ieee_overflow 0
		.amdhsa_exception_fp_ieee_underflow 0
		.amdhsa_exception_fp_ieee_inexact 0
		.amdhsa_exception_int_div_zero 0
	.end_amdhsa_kernel
	.section	.text._ZN5aiter24topk_softplus_kernel_optI12hip_bfloat16S1_Li256ELb0ELi1EEEvPKT_PKT0_PfPimiif,"axG",@progbits,_ZN5aiter24topk_softplus_kernel_optI12hip_bfloat16S1_Li256ELb0ELi1EEEvPKT_PKT0_PfPimiif,comdat
.Lfunc_end278:
	.size	_ZN5aiter24topk_softplus_kernel_optI12hip_bfloat16S1_Li256ELb0ELi1EEEvPKT_PKT0_PfPimiif, .Lfunc_end278-_ZN5aiter24topk_softplus_kernel_optI12hip_bfloat16S1_Li256ELb0ELi1EEEvPKT_PKT0_PfPimiif
                                        ; -- End function
	.section	.AMDGPU.csdata,"",@progbits
; Kernel info:
; codeLenInByte = 6840
; NumSgprs: 18
; NumVgprs: 103
; ScratchSize: 0
; MemoryBound: 0
; FloatMode: 240
; IeeeMode: 1
; LDSByteSize: 0 bytes/workgroup (compile time only)
; SGPRBlocks: 2
; VGPRBlocks: 12
; NumSGPRsForWavesPerEU: 18
; NumVGPRsForWavesPerEU: 103
; Occupancy: 12
; WaveLimiterHint : 0
; COMPUTE_PGM_RSRC2:SCRATCH_EN: 0
; COMPUTE_PGM_RSRC2:USER_SGPR: 15
; COMPUTE_PGM_RSRC2:TRAP_HANDLER: 0
; COMPUTE_PGM_RSRC2:TGID_X_EN: 1
; COMPUTE_PGM_RSRC2:TGID_Y_EN: 0
; COMPUTE_PGM_RSRC2:TGID_Z_EN: 0
; COMPUTE_PGM_RSRC2:TIDIG_COMP_CNT: 0
	.section	.text._ZN5aiter24topk_softplus_kernel_optI12hip_bfloat16S1_Li384ELb1ELi1EEEvPKT_PKT0_PfPimiif,"axG",@progbits,_ZN5aiter24topk_softplus_kernel_optI12hip_bfloat16S1_Li384ELb1ELi1EEEvPKT_PKT0_PfPimiif,comdat
	.protected	_ZN5aiter24topk_softplus_kernel_optI12hip_bfloat16S1_Li384ELb1ELi1EEEvPKT_PKT0_PfPimiif ; -- Begin function _ZN5aiter24topk_softplus_kernel_optI12hip_bfloat16S1_Li384ELb1ELi1EEEvPKT_PKT0_PfPimiif
	.globl	_ZN5aiter24topk_softplus_kernel_optI12hip_bfloat16S1_Li384ELb1ELi1EEEvPKT_PKT0_PfPimiif
	.p2align	8
	.type	_ZN5aiter24topk_softplus_kernel_optI12hip_bfloat16S1_Li384ELb1ELi1EEEvPKT_PKT0_PfPimiif,@function
_ZN5aiter24topk_softplus_kernel_optI12hip_bfloat16S1_Li384ELb1ELi1EEEvPKT_PKT0_PfPimiif: ; @_ZN5aiter24topk_softplus_kernel_optI12hip_bfloat16S1_Li384ELb1ELi1EEEvPKT_PKT0_PfPimiif
; %bb.0:
	s_load_b128 s[4:7], s[0:1], 0x0
	s_mul_i32 s2, s15, 0x180
	v_lshlrev_b32_e32 v3, 1, v0
	s_ashr_i32 s3, s2, 31
	s_delay_alu instid0(SALU_CYCLE_1)
	s_lshl_b64 s[2:3], s[2:3], 1
	s_waitcnt lgkmcnt(0)
	s_add_u32 s4, s4, s2
	s_addc_u32 s5, s5, s3
	s_cmp_lg_u64 s[6:7], 0
	global_load_u16 v1, v3, s[4:5]
	s_cselect_b32 s2, -1, 0
	s_waitcnt vmcnt(0)
	v_lshlrev_b32_e32 v1, 16, v1
	s_delay_alu instid0(VALU_DEP_1) | instskip(NEXT) | instid1(VALU_DEP_1)
	v_mul_f32_e32 v2, 0xbfb8aa3b, v1
	v_cmp_gt_f32_e32 vcc_lo, 0xc2fc0000, v2
	v_cndmask_b32_e64 v2, 0, 0x42800000, vcc_lo
	s_delay_alu instid0(VALU_DEP_1) | instskip(NEXT) | instid1(VALU_DEP_1)
	v_fmac_f32_e32 v2, 0xbfb8aa3b, v1
	v_exp_f32_e32 v1, v2
	v_cndmask_b32_e64 v2, 1.0, 0x1f800000, vcc_lo
	s_and_b32 vcc_lo, exec_lo, s2
	s_waitcnt_depctr 0xfff
	v_fma_f32 v1, v1, v2, 1.0
	s_delay_alu instid0(VALU_DEP_1) | instskip(SKIP_1) | instid1(VALU_DEP_1)
	v_rcp_f32_e32 v37, v1
	v_add_co_u32 v1, s3, s4, v3
	v_add_co_ci_u32_e64 v2, null, s5, 0, s3
	s_waitcnt_depctr 0xfff
	v_mov_b32_e32 v48, v37
	s_cbranch_vccz .LBB279_2
; %bb.1:
	global_load_u16 v4, v3, s[6:7]
	s_waitcnt vmcnt(0)
	v_lshlrev_b32_e32 v4, 16, v4
	s_delay_alu instid0(VALU_DEP_1)
	v_add_f32_e32 v48, v37, v4
.LBB279_2:
	global_load_u16 v4, v[1:2], off offset:64
	s_waitcnt vmcnt(0)
	v_lshlrev_b32_e32 v4, 16, v4
	s_delay_alu instid0(VALU_DEP_1) | instskip(NEXT) | instid1(VALU_DEP_1)
	v_mul_f32_e32 v5, 0xbfb8aa3b, v4
	v_cmp_gt_f32_e32 vcc_lo, 0xc2fc0000, v5
	v_cndmask_b32_e64 v5, 0, 0x42800000, vcc_lo
	s_delay_alu instid0(VALU_DEP_1) | instskip(NEXT) | instid1(VALU_DEP_1)
	v_fmac_f32_e32 v5, 0xbfb8aa3b, v4
	v_exp_f32_e32 v4, v5
	v_cndmask_b32_e64 v5, 1.0, 0x1f800000, vcc_lo
	s_and_not1_b32 vcc_lo, exec_lo, s2
	s_waitcnt_depctr 0xfff
	v_fma_f32 v4, v4, v5, 1.0
	s_delay_alu instid0(VALU_DEP_1)
	v_rcp_f32_e32 v14, v4
	v_cndmask_b32_e64 v4, 0, 1, s2
	s_waitcnt_depctr 0xfff
	v_mov_b32_e32 v49, v14
	s_cbranch_vccnz .LBB279_4
; %bb.3:
	global_load_u16 v5, v3, s[6:7] offset:64
	s_waitcnt vmcnt(0)
	v_lshlrev_b32_e32 v5, 16, v5
	s_delay_alu instid0(VALU_DEP_1)
	v_add_f32_e32 v49, v14, v5
.LBB279_4:
	global_load_u16 v5, v[1:2], off offset:128
	s_waitcnt vmcnt(0)
	v_lshlrev_b32_e32 v5, 16, v5
	s_delay_alu instid0(VALU_DEP_1) | instskip(NEXT) | instid1(VALU_DEP_1)
	v_mul_f32_e32 v6, 0xbfb8aa3b, v5
	v_cmp_gt_f32_e32 vcc_lo, 0xc2fc0000, v6
	v_cndmask_b32_e64 v6, 0, 0x42800000, vcc_lo
	s_delay_alu instid0(VALU_DEP_1) | instskip(NEXT) | instid1(VALU_DEP_1)
	v_fmac_f32_e32 v6, 0xbfb8aa3b, v5
	v_exp_f32_e32 v5, v6
	v_cndmask_b32_e64 v6, 1.0, 0x1f800000, vcc_lo
	v_cmp_ne_u32_e32 vcc_lo, 1, v4
	s_waitcnt_depctr 0xfff
	v_fma_f32 v5, v5, v6, 1.0
	s_delay_alu instid0(VALU_DEP_1)
	v_rcp_f32_e32 v15, v5
	s_waitcnt_depctr 0xfff
	v_mov_b32_e32 v50, v15
	s_cbranch_vccnz .LBB279_6
; %bb.5:
	global_load_u16 v5, v3, s[6:7] offset:128
	s_waitcnt vmcnt(0)
	v_lshlrev_b32_e32 v5, 16, v5
	s_delay_alu instid0(VALU_DEP_1)
	v_add_f32_e32 v50, v15, v5
.LBB279_6:
	global_load_u16 v5, v[1:2], off offset:192
	s_waitcnt vmcnt(0)
	v_lshlrev_b32_e32 v5, 16, v5
	s_delay_alu instid0(VALU_DEP_1) | instskip(NEXT) | instid1(VALU_DEP_1)
	v_mul_f32_e32 v6, 0xbfb8aa3b, v5
	v_cmp_gt_f32_e32 vcc_lo, 0xc2fc0000, v6
	v_cndmask_b32_e64 v6, 0, 0x42800000, vcc_lo
	s_delay_alu instid0(VALU_DEP_1) | instskip(NEXT) | instid1(VALU_DEP_1)
	v_fmac_f32_e32 v6, 0xbfb8aa3b, v5
	v_exp_f32_e32 v5, v6
	v_cndmask_b32_e64 v6, 1.0, 0x1f800000, vcc_lo
	v_cmp_ne_u32_e32 vcc_lo, 1, v4
	s_waitcnt_depctr 0xfff
	v_fma_f32 v5, v5, v6, 1.0
	s_delay_alu instid0(VALU_DEP_1)
	v_rcp_f32_e32 v16, v5
	;; [unrolled: 26-line block ×10, first 2 shown]
	s_cbranch_vccnz .LBB279_24
; %bb.23:
	global_load_u16 v1, v3, s[6:7] offset:704
	s_waitcnt vmcnt(0)
	v_lshlrev_b32_e32 v1, 16, v1
	s_delay_alu instid0(VALU_DEP_1)
	v_add_f32_e32 v59, v24, v1
	s_branch .LBB279_25
.LBB279_24:
	s_waitcnt_depctr 0xfff
	v_mov_b32_e32 v59, v24
.LBB279_25:
	v_dual_mov_b32 v1, v48 :: v_dual_add_nc_u32 v26, 32, v0
	v_dual_mov_b32 v2, v49 :: v_dual_add_nc_u32 v27, 64, v0
	;; [unrolled: 1-line block ×11, first 2 shown]
	v_dual_mov_b32 v12, v59 :: v_dual_mov_b32 v13, v37
	v_mov_b32_e32 v25, v0
	s_mov_b32 s2, exec_lo
	v_cmpx_lt_f32_e32 v48, v49
	s_xor_b32 s2, exec_lo, s2
; %bb.26:
	v_dual_mov_b32 v1, v49 :: v_dual_mov_b32 v2, v48
	v_dual_mov_b32 v3, v50 :: v_dual_mov_b32 v4, v51
	;; [unrolled: 1-line block ×6, first 2 shown]
	v_mov_b32_e32 v49, v48
	v_dual_mov_b32 v13, v14 :: v_dual_mov_b32 v14, v37
	v_dual_mov_b32 v25, v26 :: v_dual_mov_b32 v26, v0
; %bb.27:
	s_or_b32 exec_lo, exec_lo, s2
	v_dual_mov_b32 v122, v24 :: v_dual_mov_b32 v119, v21
	v_dual_mov_b32 v86, v24 :: v_dual_mov_b32 v85, v23
	v_dual_mov_b32 v146, v24 :: v_dual_mov_b32 v143, v21
	v_dual_mov_b32 v112, v14 :: v_dual_mov_b32 v61, v24
	v_dual_mov_b32 v134, v24 :: v_dual_mov_b32 v131, v21
	v_dual_mov_b32 v74, v36 :: v_dual_mov_b32 v71, v33
	v_dual_mov_b32 v98, v36 :: v_dual_mov_b32 v95, v33
	v_dual_mov_b32 v48, v36 :: v_dual_mov_b32 v45, v33
	v_dual_mov_b32 v110, v36 :: v_dual_mov_b32 v107, v33
	v_dual_mov_b32 v158, v36 :: v_dual_mov_b32 v155, v33
	v_dual_mov_b32 v170, v36 :: v_dual_mov_b32 v167, v33
	v_dual_mov_b32 v62, v3 :: v_dual_mov_b32 v83, v21
	v_dual_mov_b32 v84, v22 :: v_dual_mov_b32 v81, v19
	v_dual_mov_b32 v82, v20 :: v_dual_mov_b32 v79, v17
	v_dual_mov_b32 v80, v18 :: v_dual_mov_b32 v77, v15
	v_dual_mov_b32 v78, v16 :: v_dual_mov_b32 v75, v13
	v_dual_mov_b32 v76, v14 :: v_dual_mov_b32 v145, v23
	v_dual_mov_b32 v144, v22 :: v_dual_mov_b32 v141, v19
	v_dual_mov_b32 v142, v20 :: v_dual_mov_b32 v139, v17
	v_dual_mov_b32 v140, v18 :: v_dual_mov_b32 v137, v15
	v_dual_mov_b32 v138, v16 :: v_dual_mov_b32 v135, v13
	v_dual_mov_b32 v136, v14 :: v_dual_mov_b32 v121, v23
	v_dual_mov_b32 v120, v22 :: v_dual_mov_b32 v117, v19
	v_dual_mov_b32 v118, v20 :: v_dual_mov_b32 v115, v17
	v_dual_mov_b32 v116, v18 :: v_dual_mov_b32 v113, v15
	v_dual_mov_b32 v114, v16 :: v_dual_mov_b32 v111, v13
	v_dual_mov_b32 v60, v23 :: v_dual_mov_b32 v59, v22
	v_dual_mov_b32 v58, v21 :: v_dual_mov_b32 v57, v20
	v_dual_mov_b32 v56, v19 :: v_dual_mov_b32 v55, v18
	v_dual_mov_b32 v54, v17 :: v_dual_mov_b32 v53, v16
	v_dual_mov_b32 v52, v15 :: v_dual_mov_b32 v51, v14
	v_dual_mov_b32 v50, v13 :: v_dual_mov_b32 v133, v23
	v_dual_mov_b32 v132, v22 :: v_dual_mov_b32 v129, v19
	v_dual_mov_b32 v130, v20 :: v_dual_mov_b32 v127, v17
	v_dual_mov_b32 v128, v18 :: v_dual_mov_b32 v125, v15
	v_dual_mov_b32 v126, v16 :: v_dual_mov_b32 v123, v13
	v_dual_mov_b32 v124, v14 :: v_dual_mov_b32 v73, v35
	s_clause 0x8
	scratch_store_b128 off, v[13:16], off
	scratch_store_b128 off, v[17:20], off offset:16
	scratch_store_b128 off, v[21:24], off offset:32
	;; [unrolled: 1-line block ×8, first 2 shown]
	v_dual_mov_b32 v72, v34 :: v_dual_mov_b32 v69, v31
	v_dual_mov_b32 v70, v32 :: v_dual_mov_b32 v67, v29
	;; [unrolled: 1-line block ×29, first 2 shown]
	v_mov_b32_e32 v160, v26
	s_clause 0x2
	scratch_store_b128 off, v[25:28], off offset:144
	scratch_store_b128 off, v[29:32], off offset:160
	;; [unrolled: 1-line block ×3, first 2 shown]
	s_mov_b32 s2, exec_lo
	v_dual_mov_b32 v182, v36 :: v_dual_mov_b32 v179, v33
	v_dual_mov_b32 v181, v35 :: v_dual_mov_b32 v180, v34
	;; [unrolled: 1-line block ×6, first 2 shown]
	v_cmpx_lt_f32_e32 v49, v3
	s_cbranch_execz .LBB279_29
; %bb.28:
	v_dual_mov_b32 v182, v36 :: v_dual_mov_b32 v179, v33
	v_dual_mov_b32 v174, v28 :: v_dual_mov_b32 v171, v25
	;; [unrolled: 1-line block ×3, first 2 shown]
	v_mov_b32_e32 v172, v26
	v_dual_mov_b32 v62, v49 :: v_dual_mov_b32 v181, v35
	v_dual_mov_b32 v180, v34 :: v_dual_mov_b32 v177, v31
	;; [unrolled: 1-line block ×11, first 2 shown]
	v_mov_b32_e32 v125, v14
	v_dual_mov_b32 v162, v174 :: v_dual_mov_b32 v163, v175
	v_dual_mov_b32 v164, v176 :: v_dual_mov_b32 v165, v177
	;; [unrolled: 1-line block ×5, first 2 shown]
	v_mov_b32_e32 v162, v28
	v_dual_mov_b32 v170, v182 :: v_dual_mov_b32 v37, v159
	s_clause 0x2
	scratch_store_b128 off, v[123:126], off offset:96
	scratch_store_b128 off, v[127:130], off offset:112
	;; [unrolled: 1-line block ×3, first 2 shown]
	v_dual_mov_b32 v42, v164 :: v_dual_mov_b32 v47, v169
	v_dual_mov_b32 v126, v16 :: v_dual_mov_b32 v45, v167
	;; [unrolled: 1-line block ×5, first 2 shown]
	v_mov_b32_e32 v38, v160
	v_mov_b32_e32 v40, v162
	s_clause 0x2
	scratch_store_b128 off, v[37:40], off offset:144
	scratch_store_b128 off, v[41:44], off offset:160
	;; [unrolled: 1-line block ×3, first 2 shown]
	v_dual_mov_b32 v2, v3 :: v_dual_mov_b32 v3, v49
	v_mov_b32_e32 v147, v159
	v_mov_b32_e32 v127, v17
	;; [unrolled: 1-line block ×3, first 2 shown]
	v_dual_mov_b32 v151, v163 :: v_dual_mov_b32 v148, v160
	v_dual_mov_b32 v153, v165 :: v_dual_mov_b32 v152, v164
	;; [unrolled: 1-line block ×3, first 2 shown]
	v_mov_b32_e32 v158, v170
	v_dual_mov_b32 v150, v162 :: v_dual_mov_b32 v155, v167
	v_mov_b32_e32 v156, v168
	v_mov_b32_e32 v152, v30
	;; [unrolled: 1-line block ×3, first 2 shown]
	v_dual_mov_b32 v27, v26 :: v_dual_mov_b32 v42, v128
	v_mov_b32_e32 v37, v123
	v_dual_mov_b32 v43, v129 :: v_dual_mov_b32 v44, v130
	v_mov_b32_e32 v39, v125
	v_dual_mov_b32 v45, v131 :: v_dual_mov_b32 v46, v132
	v_dual_mov_b32 v47, v133 :: v_dual_mov_b32 v48, v134
	v_mov_b32_e32 v38, v124
	v_mov_b32_e32 v40, v126
	s_clause 0x2
	scratch_store_b128 off, v[37:40], off offset:48
	scratch_store_b128 off, v[41:44], off offset:64
	;; [unrolled: 1-line block ×3, first 2 shown]
	v_mov_b32_e32 v37, v123
	v_mov_b32_e32 v39, v125
	v_dual_mov_b32 v41, v127 :: v_dual_mov_b32 v38, v124
	v_mov_b32_e32 v99, v147
	v_mov_b32_e32 v105, v153
	v_dual_mov_b32 v105, v31 :: v_dual_mov_b32 v106, v154
	v_dual_mov_b32 v40, v126 :: v_dual_mov_b32 v101, v149
	;; [unrolled: 1-line block ×3, first 2 shown]
	v_mov_b32_e32 v110, v158
	v_mov_b32_e32 v50, v123
	v_dual_mov_b32 v100, v148 :: v_dual_mov_b32 v107, v155
	v_dual_mov_b32 v102, v150 :: v_dual_mov_b32 v109, v157
	;; [unrolled: 1-line block ×7, first 2 shown]
	v_mov_b32_e32 v58, v131
	v_mov_b32_e32 v56, v19
	s_clause 0x2
	scratch_store_b128 off, v[37:40], off
	scratch_store_b128 off, v[41:44], off offset:16
	scratch_store_b128 off, v[45:48], off offset:32
	v_dual_mov_b32 v60, v133 :: v_dual_mov_b32 v55, v128
	v_mov_b32_e32 v37, v99
	v_mov_b32_e32 v41, v103
	;; [unrolled: 1-line block ×3, first 2 shown]
	v_dual_mov_b32 v43, v105 :: v_dual_mov_b32 v48, v110
	v_dual_mov_b32 v38, v100 :: v_dual_mov_b32 v45, v107
	v_mov_b32_e32 v44, v106
	v_dual_mov_b32 v122, v61 :: v_dual_mov_b32 v113, v52
	v_dual_mov_b32 v40, v102 :: v_dual_mov_b32 v47, v109
	;; [unrolled: 1-line block ×7, first 2 shown]
	v_mov_b32_e32 v114, v53
	v_mov_b32_e32 v116, v55
	;; [unrolled: 1-line block ×4, first 2 shown]
	v_dual_mov_b32 v98, v48 :: v_dual_mov_b32 v95, v45
	v_mov_b32_e32 v95, v33
	v_mov_b32_e32 v93, v43
	;; [unrolled: 1-line block ×4, first 2 shown]
	v_dual_mov_b32 v87, v37 :: v_dual_mov_b32 v146, v122
	v_dual_mov_b32 v137, v113 :: v_dual_mov_b32 v96, v46
	;; [unrolled: 1-line block ×3, first 2 shown]
	v_mov_b32_e32 v135, v111
	v_dual_mov_b32 v97, v47 :: v_dual_mov_b32 v94, v44
	v_dual_mov_b32 v92, v42 :: v_dual_mov_b32 v143, v119
	;; [unrolled: 1-line block ×4, first 2 shown]
	v_mov_b32_e32 v138, v114
	v_dual_mov_b32 v142, v118 :: v_dual_mov_b32 v143, v21
	v_dual_mov_b32 v140, v116 :: v_dual_mov_b32 v63, v87
	;; [unrolled: 1-line block ×8, first 2 shown]
	v_mov_b32_e32 v86, v146
	v_dual_mov_b32 v64, v88 :: v_dual_mov_b32 v69, v93
	v_dual_mov_b32 v66, v90 :: v_dual_mov_b32 v71, v95
	;; [unrolled: 1-line block ×7, first 2 shown]
	v_mov_b32_e32 v82, v142
	v_mov_b32_e32 v84, v22
	v_mov_b32_e32 v86, v24
.LBB279_29:
	s_or_b32 exec_lo, exec_lo, s2
	v_mov_b32_e32 v13, v4
	s_mov_b32 s2, exec_lo
	v_cmpx_lt_f32_e32 v62, v4
	s_cbranch_execz .LBB279_31
; %bb.30:
	s_clause 0x2
	scratch_load_b128 v[37:40], off, off offset:96
	scratch_load_b128 v[41:44], off, off offset:112
	;; [unrolled: 1-line block ×3, first 2 shown]
	v_dual_mov_b32 v173, v28 :: v_dual_mov_b32 v28, v27
	v_mov_b32_e32 v3, v4
	s_waitcnt vmcnt(0)
	v_dual_mov_b32 v13, v62 :: v_dual_mov_b32 v134, v48
	v_dual_mov_b32 v133, v47 :: v_dual_mov_b32 v124, v38
	v_dual_mov_b32 v123, v37 :: v_dual_mov_b32 v132, v46
	v_mov_b32_e32 v125, v16
	v_dual_mov_b32 v159, v171 :: v_dual_mov_b32 v160, v172
	s_delay_alu instid0(VALU_DEP_3) | instskip(NEXT) | instid1(VALU_DEP_3)
	v_dual_mov_b32 v162, v174 :: v_dual_mov_b32 v37, v123
	v_dual_mov_b32 v38, v124 :: v_dual_mov_b32 v39, v125
	;; [unrolled: 1-line block ×5, first 2 shown]
	v_mov_b32_e32 v126, v15
	s_clause 0x2
	scratch_store_b128 off, v[37:40], off offset:96
	scratch_store_b128 off, v[41:44], off offset:112
	;; [unrolled: 1-line block ×3, first 2 shown]
	v_dual_mov_b32 v161, v173 :: v_dual_mov_b32 v164, v176
	v_dual_mov_b32 v167, v179 :: v_dual_mov_b32 v170, v182
	;; [unrolled: 1-line block ×5, first 2 shown]
	s_delay_alu instid0(VALU_DEP_2) | instskip(SKIP_2) | instid1(VALU_DEP_4)
	v_dual_mov_b32 v42, v164 :: v_dual_mov_b32 v43, v165
	v_dual_mov_b32 v48, v170 :: v_dual_mov_b32 v37, v159
	;; [unrolled: 1-line block ×6, first 2 shown]
	s_clause 0x2
	scratch_store_b128 off, v[37:40], off offset:144
	scratch_store_b128 off, v[41:44], off offset:160
	scratch_store_b128 off, v[45:48], off offset:176
	v_dual_mov_b32 v42, v128 :: v_dual_mov_b32 v43, v129
	v_dual_mov_b32 v48, v134 :: v_dual_mov_b32 v37, v123
	;; [unrolled: 1-line block ×6, first 2 shown]
	s_clause 0x2
	scratch_store_b128 off, v[37:40], off offset:48
	scratch_store_b128 off, v[41:44], off offset:64
	;; [unrolled: 1-line block ×3, first 2 shown]
	v_dual_mov_b32 v147, v159 :: v_dual_mov_b32 v148, v160
	v_dual_mov_b32 v151, v163 :: v_dual_mov_b32 v152, v164
	;; [unrolled: 1-line block ×10, first 2 shown]
	s_delay_alu instid0(VALU_DEP_4)
	v_dual_mov_b32 v106, v154 :: v_dual_mov_b32 v107, v155
	v_mov_b32_e32 v110, v158
	v_dual_mov_b32 v100, v148 :: v_dual_mov_b32 v101, v149
	v_dual_mov_b32 v104, v152 :: v_dual_mov_b32 v105, v153
	;; [unrolled: 1-line block ×5, first 2 shown]
	v_mov_b32_e32 v61, v134
	s_clause 0x2
	scratch_store_b128 off, v[37:40], off
	scratch_store_b128 off, v[41:44], off offset:16
	scratch_store_b128 off, v[45:48], off offset:32
	v_dual_mov_b32 v54, v127 :: v_dual_mov_b32 v55, v128
	v_dual_mov_b32 v56, v129 :: v_dual_mov_b32 v57, v130
	v_dual_mov_b32 v102, v150 :: v_dual_mov_b32 v103, v151
	v_dual_mov_b32 v58, v131 :: v_dual_mov_b32 v59, v132
	v_dual_mov_b32 v37, v99 :: v_dual_mov_b32 v38, v100
	v_dual_mov_b32 v52, v125 :: v_dual_mov_b32 v53, v126
	v_dual_mov_b32 v56, v19 :: v_dual_mov_b32 v39, v101
	v_dual_mov_b32 v44, v106 :: v_dual_mov_b32 v45, v107
	v_mov_b32_e32 v48, v110
	v_mov_b32_e32 v44, v32
	v_dual_mov_b32 v42, v104 :: v_dual_mov_b32 v43, v105
	v_dual_mov_b32 v46, v108 :: v_dual_mov_b32 v47, v109
	v_dual_mov_b32 v122, v61 :: v_dual_mov_b32 v117, v56
	v_dual_mov_b32 v118, v57 :: v_dual_mov_b32 v113, v52
	v_dual_mov_b32 v116, v55 :: v_dual_mov_b32 v111, v50
	v_dual_mov_b32 v40, v102 :: v_dual_mov_b32 v41, v103
	v_dual_mov_b32 v4, v62 :: v_dual_mov_b32 v121, v60
	v_dual_mov_b32 v120, v59 :: v_dual_mov_b32 v115, v54
	v_dual_mov_b32 v119, v58 :: v_dual_mov_b32 v118, v20
	v_mov_b32_e32 v114, v53
	v_mov_b32_e32 v112, v51
	v_dual_mov_b32 v98, v48 :: v_dual_mov_b32 v91, v41
	v_dual_mov_b32 v94, v44 :: v_dual_mov_b32 v87, v37
	;; [unrolled: 1-line block ×3, first 2 shown]
	v_mov_b32_e32 v89, v39
	v_mov_b32_e32 v95, v45
	v_dual_mov_b32 v93, v43 :: v_dual_mov_b32 v146, v122
	v_dual_mov_b32 v143, v119 :: v_dual_mov_b32 v140, v116
	;; [unrolled: 1-line block ×15, first 2 shown]
	v_mov_b32_e32 v86, v146
	v_dual_mov_b32 v64, v88 :: v_dual_mov_b32 v65, v89
	v_dual_mov_b32 v66, v90 :: v_dual_mov_b32 v67, v91
	;; [unrolled: 1-line block ×8, first 2 shown]
	v_mov_b32_e32 v84, v22
	v_mov_b32_e32 v86, v24
.LBB279_31:
	s_or_b32 exec_lo, exec_lo, s2
	v_mov_b32_e32 v14, v5
	s_mov_b32 s2, exec_lo
	v_cmpx_lt_f32_e32 v13, v5
	s_cbranch_execz .LBB279_33
; %bb.32:
	s_clause 0x2
	scratch_load_b128 v[37:40], off, off offset:96
	scratch_load_b128 v[41:44], off, off offset:112
	;; [unrolled: 1-line block ×3, first 2 shown]
	v_mov_b32_e32 v174, v29
	v_mov_b32_e32 v14, v13
	;; [unrolled: 1-line block ×3, first 2 shown]
	v_dual_mov_b32 v17, v16 :: v_dual_mov_b32 v4, v5
	v_mov_b32_e32 v29, v28
	s_waitcnt vmcnt(0)
	v_dual_mov_b32 v73, v48 :: v_dual_mov_b32 v64, v39
	v_dual_mov_b32 v70, v45 :: v_dual_mov_b32 v69, v44
	;; [unrolled: 1-line block ×18, first 2 shown]
	v_mov_b32_e32 v127, v16
	v_dual_mov_b32 v147, v159 :: v_dual_mov_b32 v148, v160
	v_dual_mov_b32 v149, v161 :: v_dual_mov_b32 v152, v164
	;; [unrolled: 1-line block ×19, first 2 shown]
	v_mov_b32_e32 v61, v134
	s_clause 0x2
	scratch_store_b128 off, v[37:40], off
	scratch_store_b128 off, v[41:44], off offset:16
	scratch_store_b128 off, v[45:48], off offset:32
	v_dual_mov_b32 v53, v126 :: v_dual_mov_b32 v54, v127
	v_dual_mov_b32 v101, v149 :: v_dual_mov_b32 v102, v150
	;; [unrolled: 1-line block ×10, first 2 shown]
	v_mov_b32_e32 v46, v108
	v_dual_mov_b32 v122, v61 :: v_dual_mov_b32 v121, v60
	v_dual_mov_b32 v43, v105 :: v_dual_mov_b32 v44, v106
	;; [unrolled: 1-line block ×8, first 2 shown]
	v_mov_b32_e32 v112, v51
	v_mov_b32_e32 v118, v20
	v_dual_mov_b32 v98, v48 :: v_dual_mov_b32 v93, v43
	v_dual_mov_b32 v92, v42 :: v_dual_mov_b32 v87, v37
	v_mov_b32_e32 v97, v47
	v_dual_mov_b32 v95, v45 :: v_dual_mov_b32 v146, v122
	v_dual_mov_b32 v143, v119 :: v_dual_mov_b32 v138, v114
	;; [unrolled: 1-line block ×7, first 2 shown]
	v_mov_b32_e32 v89, v39
	s_clause 0x5
	scratch_store_b128 off, v[62:65], off offset:48
	scratch_store_b128 off, v[66:69], off offset:64
	;; [unrolled: 1-line block ×6, first 2 shown]
	v_dual_mov_b32 v142, v118 :: v_dual_mov_b32 v139, v115
	v_dual_mov_b32 v140, v116 :: v_dual_mov_b32 v137, v113
	v_dual_mov_b32 v136, v112 :: v_dual_mov_b32 v143, v21
	v_dual_mov_b32 v63, v87 :: v_dual_mov_b32 v64, v88
	v_dual_mov_b32 v73, v97 :: v_dual_mov_b32 v74, v98
	v_dual_mov_b32 v74, v36 :: v_dual_mov_b32 v75, v135
	v_dual_mov_b32 v71, v95 :: v_dual_mov_b32 v72, v96
	v_dual_mov_b32 v84, v144 :: v_dual_mov_b32 v85, v145
	v_dual_mov_b32 v86, v146 :: v_dual_mov_b32 v85, v23
	v_dual_mov_b32 v65, v89 :: v_dual_mov_b32 v66, v90
	v_dual_mov_b32 v67, v91 :: v_dual_mov_b32 v68, v92
	v_dual_mov_b32 v69, v93 :: v_dual_mov_b32 v70, v94
	v_dual_mov_b32 v72, v34 :: v_dual_mov_b32 v73, v35
	v_dual_mov_b32 v76, v136 :: v_dual_mov_b32 v77, v137
	v_dual_mov_b32 v78, v138 :: v_dual_mov_b32 v79, v139
	v_dual_mov_b32 v80, v140 :: v_dual_mov_b32 v81, v141
	v_dual_mov_b32 v82, v142 :: v_dual_mov_b32 v83, v143
	v_mov_b32_e32 v84, v22
	v_mov_b32_e32 v86, v24
.LBB279_33:
	s_or_b32 exec_lo, exec_lo, s2
	v_mov_b32_e32 v13, v6
	s_mov_b32 s2, exec_lo
	v_cmpx_lt_f32_e32 v14, v6
	s_cbranch_execz .LBB279_35
; %bb.34:
	s_clause 0x2
	scratch_load_b128 v[37:40], off, off offset:144
	scratch_load_b128 v[41:44], off, off offset:160
	;; [unrolled: 1-line block ×3, first 2 shown]
	v_mov_b32_e32 v5, v6
	s_waitcnt vmcnt(0)
	v_dual_mov_b32 v13, v14 :: v_dual_mov_b32 v170, v48
	v_dual_mov_b32 v169, v47 :: v_dual_mov_b32 v162, v40
	;; [unrolled: 1-line block ×6, first 2 shown]
	s_clause 0x2
	scratch_load_b128 v[37:40], off, off offset:48
	scratch_load_b128 v[41:44], off, off offset:64
	;; [unrolled: 1-line block ×3, first 2 shown]
	v_dual_mov_b32 v163, v30 :: v_dual_mov_b32 v30, v29
	s_waitcnt vmcnt(0)
	v_dual_mov_b32 v73, v48 :: v_dual_mov_b32 v72, v47
	v_dual_mov_b32 v65, v40 :: v_dual_mov_b32 v62, v37
	v_mov_b32_e32 v63, v38
	v_dual_mov_b32 v67, v42 :: v_dual_mov_b32 v64, v39
	v_dual_mov_b32 v71, v46 :: v_dual_mov_b32 v70, v45
	;; [unrolled: 1-line block ×4, first 2 shown]
	v_mov_b32_e32 v148, v160
	v_dual_mov_b32 v134, v73 :: v_dual_mov_b32 v133, v72
	v_dual_mov_b32 v124, v63 :: v_dual_mov_b32 v123, v62
	;; [unrolled: 1-line block ×11, first 2 shown]
	v_mov_b32_e32 v128, v17
	v_mov_b32_e32 v152, v29
	v_dual_mov_b32 v50, v123 :: v_dual_mov_b32 v51, v124
	v_mov_b32_e32 v99, v147
	s_delay_alu instid0(VALU_DEP_3)
	v_dual_mov_b32 v53, v126 :: v_dual_mov_b32 v104, v152
	v_dual_mov_b32 v105, v153 :: v_dual_mov_b32 v100, v148
	;; [unrolled: 1-line block ×7, first 2 shown]
	v_mov_b32_e32 v57, v130
	v_dual_mov_b32 v102, v150 :: v_dual_mov_b32 v103, v151
	v_dual_mov_b32 v108, v156 :: v_dual_mov_b32 v109, v157
	;; [unrolled: 1-line block ×3, first 2 shown]
	v_mov_b32_e32 v58, v131
	v_mov_b32_e32 v56, v19
	v_dual_mov_b32 v37, v99 :: v_dual_mov_b32 v38, v100
	v_mov_b32_e32 v39, v101
	v_dual_mov_b32 v43, v105 :: v_dual_mov_b32 v48, v110
	s_delay_alu instid0(VALU_DEP_4)
	v_dual_mov_b32 v122, v61 :: v_dual_mov_b32 v117, v56
	v_dual_mov_b32 v42, v104 :: v_dual_mov_b32 v45, v107
	;; [unrolled: 1-line block ×9, first 2 shown]
	v_mov_b32_e32 v118, v20
	v_mov_b32_e32 v44, v32
	;; [unrolled: 1-line block ×3, first 2 shown]
	v_dual_mov_b32 v98, v48 :: v_dual_mov_b32 v95, v45
	v_dual_mov_b32 v146, v122 :: v_dual_mov_b32 v145, v121
	s_delay_alu instid0(VALU_DEP_4)
	v_dual_mov_b32 v94, v44 :: v_dual_mov_b32 v87, v37
	v_dual_mov_b32 v97, v47 :: v_dual_mov_b32 v144, v120
	;; [unrolled: 1-line block ×5, first 2 shown]
	v_mov_b32_e32 v93, v43
	v_dual_mov_b32 v91, v41 :: v_dual_mov_b32 v90, v40
	v_dual_mov_b32 v141, v117 :: v_dual_mov_b32 v88, v38
	;; [unrolled: 1-line block ×6, first 2 shown]
	s_clause 0x2
	scratch_store_b128 off, v[62:65], off
	scratch_store_b128 off, v[66:69], off offset:16
	scratch_store_b128 off, v[70:73], off offset:32
	v_dual_mov_b32 v63, v87 :: v_dual_mov_b32 v74, v98
	v_dual_mov_b32 v75, v135 :: v_dual_mov_b32 v72, v96
	;; [unrolled: 1-line block ×14, first 2 shown]
	v_mov_b32_e32 v84, v22
	v_mov_b32_e32 v86, v24
	v_mov_b32_e32 v18, v17
.LBB279_35:
	s_or_b32 exec_lo, exec_lo, s2
	v_mov_b32_e32 v14, v7
	s_mov_b32 s2, exec_lo
	v_cmpx_lt_f32_e32 v13, v7
	s_cbranch_execz .LBB279_37
; %bb.36:
	s_clause 0x2
	scratch_load_b128 v[37:40], off, off
	scratch_load_b128 v[41:44], off, off offset:16
	scratch_load_b128 v[45:48], off, off offset:32
	v_mov_b32_e32 v164, v31
	v_dual_mov_b32 v14, v13 :: v_dual_mov_b32 v31, v30
	s_waitcnt vmcnt(0)
	v_dual_mov_b32 v134, v48 :: v_dual_mov_b32 v133, v47
	v_dual_mov_b32 v130, v44 :: v_dual_mov_b32 v127, v41
	v_dual_mov_b32 v124, v38 :: v_dual_mov_b32 v123, v37
	v_dual_mov_b32 v131, v45 :: v_dual_mov_b32 v132, v46
	v_dual_mov_b32 v129, v43 :: v_dual_mov_b32 v126, v40
	v_mov_b32_e32 v125, v39
	v_dual_mov_b32 v99, v159 :: v_dual_mov_b32 v100, v160
	v_dual_mov_b32 v128, v19 :: v_dual_mov_b32 v101, v161
	v_mov_b32_e32 v110, v170
	v_dual_mov_b32 v50, v123 :: v_dual_mov_b32 v53, v126
	v_dual_mov_b32 v106, v166 :: v_dual_mov_b32 v107, v167
	;; [unrolled: 1-line block ×19, first 2 shown]
	v_mov_b32_e32 v47, v109
	v_dual_mov_b32 v114, v53 :: v_dual_mov_b32 v111, v50
	v_mov_b32_e32 v118, v20
	v_dual_mov_b32 v120, v59 :: v_dual_mov_b32 v117, v56
	v_dual_mov_b32 v116, v55 :: v_dual_mov_b32 v113, v52
	v_mov_b32_e32 v44, v32
	v_mov_b32_e32 v112, v51
	v_dual_mov_b32 v98, v48 :: v_dual_mov_b32 v95, v45
	v_dual_mov_b32 v146, v122 :: v_dual_mov_b32 v145, v121
	;; [unrolled: 1-line block ×8, first 2 shown]
	v_mov_b32_e32 v89, v39
	v_dual_mov_b32 v93, v43 :: v_dual_mov_b32 v88, v38
	v_dual_mov_b32 v141, v117 :: v_dual_mov_b32 v140, v116
	v_mov_b32_e32 v95, v33
	v_dual_mov_b32 v139, v115 :: v_dual_mov_b32 v138, v114
	v_dual_mov_b32 v143, v21 :: v_dual_mov_b32 v136, v112
	;; [unrolled: 1-line block ×24, first 2 shown]
	v_mov_b32_e32 v158, v170
.LBB279_37:
	s_or_b32 exec_lo, exec_lo, s2
	v_mov_b32_e32 v13, v8
	s_mov_b32 s2, exec_lo
	v_cmpx_lt_f32_e32 v14, v8
	s_cbranch_execz .LBB279_39
; %bb.38:
	v_mov_b32_e32 v129, v20
	v_mov_b32_e32 v153, v32
	v_dual_mov_b32 v111, v123 :: v_dual_mov_b32 v114, v126
	v_dual_mov_b32 v37, v147 :: v_dual_mov_b32 v38, v148
	;; [unrolled: 1-line block ×10, first 2 shown]
	v_mov_b32_e32 v120, v132
	v_dual_mov_b32 v116, v128 :: v_dual_mov_b32 v121, v133
	v_mov_b32_e32 v44, v31
	v_dual_mov_b32 v119, v131 :: v_dual_mov_b32 v98, v48
	v_dual_mov_b32 v118, v19 :: v_dual_mov_b32 v95, v45
	;; [unrolled: 1-line block ×13, first 2 shown]
	v_mov_b32_e32 v95, v33
	v_dual_mov_b32 v7, v8 :: v_dual_mov_b32 v8, v14
	v_mov_b32_e32 v143, v21
	v_dual_mov_b32 v63, v87 :: v_dual_mov_b32 v68, v92
	v_dual_mov_b32 v64, v88 :: v_dual_mov_b32 v75, v135
	v_dual_mov_b32 v80, v140 :: v_dual_mov_b32 v67, v91
	v_dual_mov_b32 v72, v96 :: v_dual_mov_b32 v69, v93
	v_dual_mov_b32 v74, v98 :: v_dual_mov_b32 v73, v97
	v_dual_mov_b32 v78, v138 :: v_dual_mov_b32 v79, v139
	v_dual_mov_b32 v84, v144 :: v_dual_mov_b32 v81, v141
	v_dual_mov_b32 v86, v146 :: v_dual_mov_b32 v85, v145
	v_mov_b32_e32 v74, v36
	v_dual_mov_b32 v50, v123 :: v_dual_mov_b32 v51, v124
	v_dual_mov_b32 v99, v147 :: v_dual_mov_b32 v100, v148
	v_dual_mov_b32 v65, v89 :: v_dual_mov_b32 v70, v94
	v_dual_mov_b32 v66, v90 :: v_dual_mov_b32 v71, v95
	v_dual_mov_b32 v76, v136 :: v_dual_mov_b32 v77, v137
	v_dual_mov_b32 v82, v142 :: v_dual_mov_b32 v83, v143
	v_dual_mov_b32 v72, v34 :: v_dual_mov_b32 v73, v35
	;; [unrolled: 9-line block ×3, first 2 shown]
	v_dual_mov_b32 v105, v153 :: v_dual_mov_b32 v106, v154
	v_dual_mov_b32 v107, v155 :: v_dual_mov_b32 v108, v156
	;; [unrolled: 1-line block ×4, first 2 shown]
	v_mov_b32_e32 v32, v31
.LBB279_39:
	s_or_b32 exec_lo, exec_lo, s2
	v_mov_b32_e32 v14, v9
	s_mov_b32 s2, exec_lo
	v_cmpx_lt_f32_e32 v13, v9
	s_cbranch_execz .LBB279_41
; %bb.40:
	v_mov_b32_e32 v57, v21
	v_mov_b32_e32 v106, v33
	v_dual_mov_b32 v146, v61 :: v_dual_mov_b32 v145, v60
	v_dual_mov_b32 v87, v99 :: v_dual_mov_b32 v90, v102
	v_mov_b32_e32 v88, v100
	v_dual_mov_b32 v136, v51 :: v_dual_mov_b32 v135, v50
	v_dual_mov_b32 v91, v103 :: v_dual_mov_b32 v94, v106
	;; [unrolled: 1-line block ×7, first 2 shown]
	v_mov_b32_e32 v139, v54
	v_dual_mov_b32 v89, v101 :: v_dual_mov_b32 v92, v104
	v_dual_mov_b32 v138, v53 :: v_dual_mov_b32 v137, v52
	;; [unrolled: 1-line block ×3, first 2 shown]
	v_mov_b32_e32 v143, v20
	s_delay_alu instid0(VALU_DEP_4)
	v_dual_mov_b32 v63, v87 :: v_dual_mov_b32 v68, v92
	v_dual_mov_b32 v66, v90 :: v_dual_mov_b32 v75, v135
	;; [unrolled: 1-line block ×8, first 2 shown]
	v_mov_b32_e32 v74, v36
	v_dual_mov_b32 v122, v61 :: v_dual_mov_b32 v121, v60
	v_dual_mov_b32 v37, v99 :: v_dual_mov_b32 v38, v100
	;; [unrolled: 1-line block ×20, first 2 shown]
	v_mov_b32_e32 v33, v32
.LBB279_41:
	s_or_b32 exec_lo, exec_lo, s2
	v_mov_b32_e32 v15, v10
	s_mov_b32 s2, exec_lo
	v_cmpx_lt_f32_e32 v14, v10
	s_cbranch_execz .LBB279_43
; %bb.42:
	v_mov_b32_e32 v45, v34
	v_dual_mov_b32 v9, v10 :: v_dual_mov_b32 v74, v48
	v_mov_b32_e32 v72, v46
	v_mov_b32_e32 v72, v33
	s_delay_alu instid0(VALU_DEP_4) | instskip(SKIP_4) | instid1(VALU_DEP_4)
	v_mov_b32_e32 v71, v45
	v_dual_mov_b32 v119, v22 :: v_dual_mov_b32 v70, v44
	v_dual_mov_b32 v75, v111 :: v_dual_mov_b32 v78, v114
	;; [unrolled: 1-line block ×27, first 2 shown]
	v_mov_b32_e32 v34, v33
.LBB279_43:
	s_or_b32 exec_lo, exec_lo, s2
	v_mov_b32_e32 v13, v11
	s_mov_b32 s2, exec_lo
	v_cmpx_lt_f32_e32 v15, v11
	s_cbranch_execz .LBB279_45
; %bb.44:
	v_dual_mov_b32 v144, v23 :: v_dual_mov_b32 v145, v22
	v_dual_mov_b32 v96, v35 :: v_dual_mov_b32 v97, v34
	v_mov_b32_e32 v146, v24
	v_mov_b32_e32 v10, v11
	v_dual_mov_b32 v11, v15 :: v_dual_mov_b32 v98, v36
	v_dual_mov_b32 v75, v135 :: v_dual_mov_b32 v84, v144
	v_dual_mov_b32 v63, v87 :: v_dual_mov_b32 v76, v136
	v_mov_b32_e32 v79, v139
	v_dual_mov_b32 v77, v137 :: v_dual_mov_b32 v78, v138
	v_dual_mov_b32 v81, v141 :: v_dual_mov_b32 v80, v140
	;; [unrolled: 1-line block ×10, first 2 shown]
.LBB279_45:
	s_or_b32 exec_lo, exec_lo, s2
	s_delay_alu instid0(VALU_DEP_1)
	v_cmp_lt_f32_e32 vcc_lo, v13, v12
	v_cmp_lt_f32_e64 s2, v1, v2
	v_dual_mov_b32 v40, v76 :: v_dual_mov_b32 v41, v77
	v_dual_mov_b32 v43, v79 :: v_dual_mov_b32 v44, v80
	v_dual_cndmask_b32 v23, v12, v13 :: v_dual_mov_b32 v42, v78
	v_dual_cndmask_b32 v11, v11, v12 :: v_dual_cndmask_b32 v62, v74, v73
	s_delay_alu instid0(VALU_DEP_2) | instskip(SKIP_3) | instid1(VALU_DEP_4)
	v_dual_cndmask_b32 v49, v85, v86 :: v_dual_mov_b32 v12, v23
	v_dual_cndmask_b32 v61, v73, v74 :: v_dual_cndmask_b32 v50, v86, v85
	v_mov_b32_e32 v39, v75
	v_dual_mov_b32 v45, v81 :: v_dual_mov_b32 v48, v84
	v_dual_mov_b32 v38, v12 :: v_dual_mov_b32 v37, v11
	;; [unrolled: 1-line block ×13, first 2 shown]
	s_and_saveexec_b32 s3, s2
	s_delay_alu instid0(SALU_CYCLE_1)
	s_xor_b32 s2, exec_lo, s3
	s_cbranch_execz .LBB279_47
; %bb.46:
	v_dual_mov_b32 v12, v2 :: v_dual_mov_b32 v13, v1
	v_dual_mov_b32 v14, v3 :: v_dual_mov_b32 v15, v4
	;; [unrolled: 1-line block ×6, first 2 shown]
	s_delay_alu instid0(VALU_DEP_2) | instskip(NEXT) | instid1(VALU_DEP_2)
	v_dual_mov_b32 v38, v23 :: v_dual_mov_b32 v35, v20
	v_dual_mov_b32 v36, v21 :: v_dual_mov_b32 v37, v22
	v_dual_mov_b32 v34, v19 :: v_dual_mov_b32 v33, v18
	v_dual_mov_b32 v32, v17 :: v_dual_mov_b32 v31, v16
	v_dual_mov_b32 v30, v15 :: v_dual_mov_b32 v29, v14
	v_dual_mov_b32 v28, v13 :: v_dual_mov_b32 v27, v12
	v_dual_mov_b32 v2, v1 :: v_dual_mov_b32 v43, v79
	v_dual_mov_b32 v40, v75 :: v_dual_mov_b32 v41, v77
	v_dual_mov_b32 v42, v78 :: v_dual_mov_b32 v45, v81
	v_dual_mov_b32 v44, v80 :: v_dual_mov_b32 v47, v83
	v_dual_mov_b32 v46, v82 :: v_dual_mov_b32 v51, v64
	v_dual_mov_b32 v48, v84 :: v_dual_mov_b32 v53, v65
	v_dual_mov_b32 v52, v63 :: v_dual_mov_b32 v57, v69
	v_dual_mov_b32 v54, v66 :: v_dual_mov_b32 v55, v67
	v_dual_mov_b32 v56, v68 :: v_dual_mov_b32 v59, v71
	v_mov_b32_e32 v58, v70
	v_mov_b32_e32 v60, v72
.LBB279_47:
	s_or_b32 exec_lo, exec_lo, s2
	v_dual_mov_b32 v1, v29 :: v_dual_mov_b32 v122, v50
	v_dual_mov_b32 v15, v39 :: v_dual_mov_b32 v16, v40
	;; [unrolled: 1-line block ×30, first 2 shown]
	v_mov_b32_e32 v135, v39
	s_clause 0x2
	scratch_store_b128 off, v[39:42], off offset:48
	scratch_store_b128 off, v[43:46], off offset:64
	;; [unrolled: 1-line block ×3, first 2 shown]
	v_dual_mov_b32 v3, v51 :: v_dual_mov_b32 v6, v54
	v_dual_mov_b32 v13, v61 :: v_dual_mov_b32 v74, v62
	;; [unrolled: 1-line block ×34, first 2 shown]
	v_mov_b32_e32 v159, v51
	s_mov_b32 s2, exec_lo
	v_dual_mov_b32 v73, v61 :: v_dual_mov_b32 v72, v60
	v_mov_b32_e32 v4, v52
	s_clause 0x2
	scratch_store_b128 off, v[51:54], off
	scratch_store_b128 off, v[55:58], off offset:16
	scratch_store_b128 off, v[59:62], off offset:32
	v_dual_mov_b32 v182, v50 :: v_dual_mov_b32 v181, v49
	v_dual_mov_b32 v180, v48 :: v_dual_mov_b32 v179, v47
	;; [unrolled: 1-line block ×6, first 2 shown]
	v_cmpx_lt_f32_e32 v2, v29
	s_cbranch_execz .LBB279_49
; %bb.48:
	v_dual_mov_b32 v170, v62 :: v_dual_mov_b32 v169, v61
	v_dual_mov_b32 v162, v54 :: v_dual_mov_b32 v161, v53
	;; [unrolled: 1-line block ×7, first 2 shown]
	s_clause 0x2
	scratch_store_b128 off, v[159:162], off
	scratch_store_b128 off, v[163:166], off offset:16
	scratch_store_b128 off, v[167:170], off offset:32
	v_dual_mov_b32 v182, v50 :: v_dual_mov_b32 v181, v49
	v_dual_mov_b32 v172, v40 :: v_dual_mov_b32 v171, v39
	;; [unrolled: 1-line block ×8, first 2 shown]
	s_delay_alu instid0(VALU_DEP_3)
	v_dual_mov_b32 v140, v176 :: v_dual_mov_b32 v141, v177
	v_dual_mov_b32 v138, v174 :: v_dual_mov_b32 v139, v175
	;; [unrolled: 1-line block ×3, first 2 shown]
	v_mov_b32_e32 v146, v182
	v_dual_mov_b32 v136, v172 :: v_dual_mov_b32 v137, v173
	v_mov_b32_e32 v138, v42
	v_dual_mov_b32 v142, v178 :: v_dual_mov_b32 v143, v179
	v_mov_b32_e32 v53, v52
	v_mov_b32_e32 v139, v43
	;; [unrolled: 1-line block ×3, first 2 shown]
	v_dual_mov_b32 v147, v159 :: v_dual_mov_b32 v148, v160
	v_mov_b32_e32 v151, v163
	v_dual_mov_b32 v149, v161 :: v_dual_mov_b32 v150, v162
	v_dual_mov_b32 v153, v165 :: v_dual_mov_b32 v152, v164
	;; [unrolled: 1-line block ×16, first 2 shown]
	v_mov_b32_e32 v122, v146
	v_dual_mov_b32 v114, v138 :: v_dual_mov_b32 v117, v141
	v_dual_mov_b32 v116, v140 :: v_dual_mov_b32 v119, v143
	v_dual_mov_b32 v118, v142 :: v_dual_mov_b32 v121, v145
	v_dual_mov_b32 v112, v136 :: v_dual_mov_b32 v115, v139
	v_dual_mov_b32 v120, v144 :: v_dual_mov_b32 v87, v123
	v_dual_mov_b32 v116, v44 :: v_dual_mov_b32 v91, v127
	v_dual_mov_b32 v88, v124 :: v_dual_mov_b32 v93, v129
	v_dual_mov_b32 v89, v125 :: v_dual_mov_b32 v96, v132
	v_dual_mov_b32 v75, v111 :: v_dual_mov_b32 v90, v126
	v_dual_mov_b32 v95, v131 :: v_dual_mov_b32 v92, v128
	v_dual_mov_b32 v97, v133 :: v_dual_mov_b32 v94, v130
	v_dual_mov_b32 v93, v57 :: v_dual_mov_b32 v98, v134
	v_dual_mov_b32 v77, v113 :: v_dual_mov_b32 v86, v122
	v_dual_mov_b32 v78, v114 :: v_dual_mov_b32 v83, v119
	v_mov_b32_e32 v82, v118
	v_dual_mov_b32 v76, v112 :: v_dual_mov_b32 v81, v117
	v_dual_mov_b32 v80, v116 :: v_dual_mov_b32 v85, v121
	;; [unrolled: 1-line block ×6, first 2 shown]
	v_mov_b32_e32 v81, v45
	v_dual_mov_b32 v65, v89 :: v_dual_mov_b32 v72, v96
	v_mov_b32_e32 v29, v2
	s_delay_alu instid0(VALU_DEP_3)
	v_dual_mov_b32 v110, v86 :: v_dual_mov_b32 v105, v81
	v_dual_mov_b32 v70, v94 :: v_dual_mov_b32 v73, v97
	;; [unrolled: 1-line block ×11, first 2 shown]
	v_mov_b32_e32 v106, v46
	s_clause 0x2
	scratch_store_b128 off, v[3:6], off offset:48
	scratch_store_b128 off, v[7:10], off offset:64
	;; [unrolled: 1-line block ×3, first 2 shown]
	v_dual_mov_b32 v100, v76 :: v_dual_mov_b32 v3, v63
	v_dual_mov_b32 v12, v72 :: v_dual_mov_b32 v5, v65
	;; [unrolled: 1-line block ×16, first 2 shown]
	v_mov_b32_e32 v26, v50
.LBB279_49:
	s_or_b32 exec_lo, exec_lo, s2
	v_mov_b32_e32 v2, v30
	s_mov_b32 s2, exec_lo
	v_cmpx_lt_f32_e32 v1, v30
	s_cbranch_execz .LBB279_51
; %bb.50:
	s_clause 0x2
	scratch_load_b128 v[2:5], off, off
	scratch_load_b128 v[6:9], off, off offset:16
	scratch_load_b128 v[10:13], off, off offset:32
	v_dual_mov_b32 v29, v30 :: v_dual_mov_b32 v30, v1
	v_dual_mov_b32 v161, v54 :: v_dual_mov_b32 v54, v53
	s_waitcnt vmcnt(0)
	v_dual_mov_b32 v170, v13 :: v_dual_mov_b32 v169, v12
	v_mov_b32_e32 v160, v3
	v_dual_mov_b32 v162, v5 :: v_dual_mov_b32 v159, v2
	v_dual_mov_b32 v173, v42 :: v_dual_mov_b32 v168, v11
	;; [unrolled: 1-line block ×3, first 2 shown]
	s_delay_alu instid0(VALU_DEP_3)
	v_dual_mov_b32 v165, v8 :: v_dual_mov_b32 v2, v159
	v_dual_mov_b32 v3, v160 :: v_dual_mov_b32 v4, v161
	;; [unrolled: 1-line block ×3, first 2 shown]
	s_clause 0x2
	scratch_store_b128 off, v[2:5], off
	scratch_store_b128 off, v[6:9], off offset:16
	scratch_store_b128 off, v[10:13], off offset:32
	v_dual_mov_b32 v162, v53 :: v_dual_mov_b32 v135, v171
	v_dual_mov_b32 v140, v176 :: v_dual_mov_b32 v141, v177
	;; [unrolled: 1-line block ×14, first 2 shown]
	v_mov_b32_e32 v137, v173
	v_dual_mov_b32 v123, v147 :: v_dual_mov_b32 v126, v150
	v_dual_mov_b32 v124, v148 :: v_dual_mov_b32 v111, v135
	s_delay_alu instid0(VALU_DEP_4)
	v_dual_mov_b32 v112, v136 :: v_dual_mov_b32 v125, v149
	v_dual_mov_b32 v128, v152 :: v_dual_mov_b32 v115, v139
	;; [unrolled: 1-line block ×7, first 2 shown]
	v_mov_b32_e32 v128, v56
	v_dual_mov_b32 v116, v44 :: v_dual_mov_b32 v87, v123
	v_dual_mov_b32 v113, v137 :: v_dual_mov_b32 v114, v138
	;; [unrolled: 1-line block ×21, first 2 shown]
	v_mov_b32_e32 v81, v45
	v_dual_mov_b32 v63, v87 :: v_dual_mov_b32 v66, v90
	v_mov_b32_e32 v64, v88
	v_dual_mov_b32 v110, v86 :: v_dual_mov_b32 v109, v85
	v_dual_mov_b32 v65, v89 :: v_dual_mov_b32 v68, v92
	;; [unrolled: 1-line block ×9, first 2 shown]
	v_mov_b32_e32 v102, v78
	v_dual_mov_b32 v42, v41 :: v_dual_mov_b32 v103, v79
	v_mov_b32_e32 v100, v76
	v_mov_b32_e32 v106, v46
	s_clause 0x2
	scratch_store_b128 off, v[2:5], off offset:48
	scratch_store_b128 off, v[6:9], off offset:64
	;; [unrolled: 1-line block ×3, first 2 shown]
	v_dual_mov_b32 v2, v1 :: v_dual_mov_b32 v107, v83
	v_mov_b32_e32 v3, v63
	v_mov_b32_e32 v5, v65
	v_dual_mov_b32 v7, v67 :: v_dual_mov_b32 v14, v74
	v_dual_mov_b32 v15, v99 :: v_dual_mov_b32 v6, v66
	;; [unrolled: 1-line block ×14, first 2 shown]
	v_mov_b32_e32 v24, v48
	v_mov_b32_e32 v26, v50
.LBB279_51:
	s_or_b32 exec_lo, exec_lo, s2
	v_mov_b32_e32 v1, v31
	s_mov_b32 s2, exec_lo
	v_cmpx_lt_f32_e32 v2, v31
	s_cbranch_execz .LBB279_53
; %bb.52:
	s_clause 0x2
	scratch_load_b128 v[3:6], off, off
	scratch_load_b128 v[7:10], off, off offset:16
	scratch_load_b128 v[11:14], off, off offset:32
	v_dual_mov_b32 v30, v31 :: v_dual_mov_b32 v31, v2
	v_mov_b32_e32 v1, v2
	s_waitcnt vmcnt(0)
	v_dual_mov_b32 v170, v14 :: v_dual_mov_b32 v169, v13
	v_dual_mov_b32 v161, v5 :: v_dual_mov_b32 v160, v4
	;; [unrolled: 1-line block ×5, first 2 shown]
	v_mov_b32_e32 v174, v43
	v_mov_b32_e32 v159, v3
	;; [unrolled: 1-line block ×3, first 2 shown]
	v_dual_mov_b32 v135, v171 :: v_dual_mov_b32 v136, v172
	v_mov_b32_e32 v137, v173
	s_delay_alu instid0(VALU_DEP_4) | instskip(NEXT) | instid1(VALU_DEP_4)
	v_dual_mov_b32 v147, v159 :: v_dual_mov_b32 v148, v160
	v_dual_mov_b32 v149, v161 :: v_dual_mov_b32 v150, v162
	;; [unrolled: 1-line block ×10, first 2 shown]
	v_mov_b32_e32 v139, v42
	v_mov_b32_e32 v151, v54
	v_dual_mov_b32 v146, v182 :: v_dual_mov_b32 v123, v147
	v_dual_mov_b32 v111, v135 :: v_dual_mov_b32 v112, v136
	;; [unrolled: 1-line block ×3, first 2 shown]
	s_delay_alu instid0(VALU_DEP_4)
	v_dual_mov_b32 v124, v148 :: v_dual_mov_b32 v127, v151
	v_dual_mov_b32 v128, v152 :: v_dual_mov_b32 v131, v155
	;; [unrolled: 1-line block ×9, first 2 shown]
	v_mov_b32_e32 v120, v144
	v_dual_mov_b32 v116, v44 :: v_dual_mov_b32 v87, v123
	v_mov_b32_e32 v114, v138
	v_dual_mov_b32 v98, v134 :: v_dual_mov_b32 v75, v111
	v_dual_mov_b32 v88, v124 :: v_dual_mov_b32 v89, v125
	;; [unrolled: 1-line block ×3, first 2 shown]
	v_mov_b32_e32 v86, v122
	v_dual_mov_b32 v90, v126 :: v_dual_mov_b32 v91, v127
	v_dual_mov_b32 v92, v128 :: v_dual_mov_b32 v93, v129
	;; [unrolled: 1-line block ×8, first 2 shown]
	v_mov_b32_e32 v79, v115
	v_mov_b32_e32 v81, v45
	v_dual_mov_b32 v63, v87 :: v_dual_mov_b32 v66, v90
	v_dual_mov_b32 v64, v88 :: v_dual_mov_b32 v73, v97
	;; [unrolled: 1-line block ×9, first 2 shown]
	v_mov_b32_e32 v108, v84
	v_dual_mov_b32 v106, v46 :: v_dual_mov_b32 v3, v63
	v_dual_mov_b32 v105, v81 :: v_dual_mov_b32 v104, v80
	;; [unrolled: 1-line block ×19, first 2 shown]
	v_mov_b32_e32 v26, v50
	v_mov_b32_e32 v43, v42
	;; [unrolled: 1-line block ×3, first 2 shown]
	s_clause 0x2
	scratch_store_b128 off, v[171:174], off offset:48
	scratch_store_b128 off, v[175:178], off offset:64
	;; [unrolled: 1-line block ×3, first 2 shown]
.LBB279_53:
	s_or_b32 exec_lo, exec_lo, s2
	v_mov_b32_e32 v2, v32
	s_mov_b32 s2, exec_lo
	v_cmpx_lt_f32_e32 v1, v32
	s_cbranch_execz .LBB279_55
; %bb.54:
	s_clause 0x2
	scratch_load_b128 v[2:5], off, off offset:48
	scratch_load_b128 v[6:9], off, off offset:64
	;; [unrolled: 1-line block ×3, first 2 shown]
	v_dual_mov_b32 v163, v56 :: v_dual_mov_b32 v56, v55
	s_waitcnt vmcnt(0)
	v_dual_mov_b32 v31, v32 :: v_dual_mov_b32 v146, v13
	v_dual_mov_b32 v138, v5 :: v_dual_mov_b32 v137, v4
	;; [unrolled: 1-line block ×6, first 2 shown]
	v_mov_b32_e32 v139, v44
	v_dual_mov_b32 v123, v159 :: v_dual_mov_b32 v124, v160
	v_dual_mov_b32 v125, v161 :: v_dual_mov_b32 v128, v164
	;; [unrolled: 1-line block ×12, first 2 shown]
	v_mov_b32_e32 v120, v144
	v_mov_b32_e32 v116, v43
	v_dual_mov_b32 v87, v123 :: v_dual_mov_b32 v88, v124
	v_dual_mov_b32 v89, v125 :: v_dual_mov_b32 v98, v134
	;; [unrolled: 1-line block ×12, first 2 shown]
	v_mov_b32_e32 v79, v115
	v_mov_b32_e32 v81, v45
	v_dual_mov_b32 v63, v87 :: v_dual_mov_b32 v66, v90
	v_dual_mov_b32 v64, v88 :: v_dual_mov_b32 v73, v97
	;; [unrolled: 1-line block ×8, first 2 shown]
	v_mov_b32_e32 v70, v58
	v_dual_mov_b32 v106, v46 :: v_dual_mov_b32 v65, v89
	v_dual_mov_b32 v68, v92 :: v_dual_mov_b32 v105, v81
	;; [unrolled: 1-line block ×4, first 2 shown]
	v_mov_b32_e32 v100, v76
	v_dual_mov_b32 v32, v1 :: v_dual_mov_b32 v3, v63
	v_dual_mov_b32 v14, v74 :: v_dual_mov_b32 v15, v99
	v_mov_b32_e32 v26, v110
	v_dual_mov_b32 v10, v70 :: v_dual_mov_b32 v11, v71
	v_dual_mov_b32 v12, v72 :: v_dual_mov_b32 v13, v73
	;; [unrolled: 1-line block ×20, first 2 shown]
	v_mov_b32_e32 v2, v1
	v_mov_b32_e32 v44, v43
.LBB279_55:
	s_or_b32 exec_lo, exec_lo, s2
	v_mov_b32_e32 v1, v33
	s_mov_b32 s2, exec_lo
	v_cmpx_lt_f32_e32 v2, v33
	s_cbranch_execz .LBB279_57
; %bb.56:
	v_mov_b32_e32 v140, v45
	v_dual_mov_b32 v152, v57 :: v_dual_mov_b32 v75, v135
	v_dual_mov_b32 v87, v147 :: v_dual_mov_b32 v90, v150
	;; [unrolled: 1-line block ×3, first 2 shown]
	s_delay_alu instid0(VALU_DEP_3)
	v_dual_mov_b32 v92, v152 :: v_dual_mov_b32 v93, v153
	v_dual_mov_b32 v76, v136 :: v_dual_mov_b32 v79, v139
	;; [unrolled: 1-line block ×6, first 2 shown]
	v_mov_b32_e32 v93, v56
	v_dual_mov_b32 v84, v144 :: v_dual_mov_b32 v63, v87
	v_dual_mov_b32 v78, v138 :: v_dual_mov_b32 v81, v141
	;; [unrolled: 1-line block ×5, first 2 shown]
	s_delay_alu instid0(VALU_DEP_3) | instskip(SKIP_1) | instid1(VALU_DEP_4)
	v_dual_mov_b32 v110, v86 :: v_dual_mov_b32 v109, v85
	v_dual_mov_b32 v100, v76 :: v_dual_mov_b32 v99, v75
	;; [unrolled: 1-line block ×11, first 2 shown]
	v_mov_b32_e32 v106, v46
	v_dual_mov_b32 v70, v58 :: v_dual_mov_b32 v15, v99
	v_dual_mov_b32 v3, v63 :: v_dual_mov_b32 v24, v108
	;; [unrolled: 1-line block ×3, first 2 shown]
	s_delay_alu instid0(VALU_DEP_3)
	v_dual_mov_b32 v10, v70 :: v_dual_mov_b32 v11, v71
	v_dual_mov_b32 v12, v72 :: v_dual_mov_b32 v13, v73
	;; [unrolled: 1-line block ×26, first 2 shown]
	v_mov_b32_e32 v1, v2
	v_dual_mov_b32 v134, v158 :: v_dual_mov_b32 v45, v44
	v_mov_b32_e32 v57, v56
.LBB279_57:
	s_or_b32 exec_lo, exec_lo, s2
	v_mov_b32_e32 v2, v34
	s_mov_b32 s2, exec_lo
	v_cmpx_lt_f32_e32 v1, v34
	s_cbranch_execz .LBB279_59
; %bb.58:
	v_mov_b32_e32 v129, v58
	v_dual_mov_b32 v63, v123 :: v_dual_mov_b32 v70, v130
	v_dual_mov_b32 v70, v57 :: v_dual_mov_b32 v71, v131
	;; [unrolled: 1-line block ×22, first 2 shown]
	v_mov_b32_e32 v34, v1
	v_dual_mov_b32 v5, v65 :: v_dual_mov_b32 v6, v66
	v_dual_mov_b32 v7, v67 :: v_dual_mov_b32 v8, v68
	;; [unrolled: 1-line block ×20, first 2 shown]
	v_mov_b32_e32 v2, v1
	v_mov_b32_e32 v46, v45
	;; [unrolled: 1-line block ×3, first 2 shown]
.LBB279_59:
	s_or_b32 exec_lo, exec_lo, s2
	v_mov_b32_e32 v1, v35
	s_mov_b32 s2, exec_lo
	v_cmpx_lt_f32_e32 v2, v35
	s_cbranch_execz .LBB279_61
; %bb.60:
	v_mov_b32_e32 v94, v59
	v_dual_mov_b32 v34, v35 :: v_dual_mov_b32 v35, v2
	v_mov_b32_e32 v82, v47
	v_dual_mov_b32 v3, v87 :: v_dual_mov_b32 v4, v88
	v_dual_mov_b32 v12, v96 :: v_dual_mov_b32 v9, v93
	;; [unrolled: 1-line block ×13, first 2 shown]
	v_mov_b32_e32 v7, v91
	v_mov_b32_e32 v11, v58
	v_dual_mov_b32 v14, v62 :: v_dual_mov_b32 v17, v77
	v_dual_mov_b32 v16, v76 :: v_dual_mov_b32 v19, v79
	;; [unrolled: 1-line block ×14, first 2 shown]
	v_mov_b32_e32 v47, v46
	v_mov_b32_e32 v59, v58
	;; [unrolled: 1-line block ×3, first 2 shown]
.LBB279_61:
	s_or_b32 exec_lo, exec_lo, s2
	v_mov_b32_e32 v39, v36
	s_mov_b32 s2, exec_lo
	v_cmpx_lt_f32_e32 v1, v36
	s_cbranch_execz .LBB279_63
; %bb.62:
	v_dual_mov_b32 v71, v60 :: v_dual_mov_b32 v72, v59
	v_dual_mov_b32 v73, v61 :: v_dual_mov_b32 v108, v47
	;; [unrolled: 1-line block ×17, first 2 shown]
	v_mov_b32_e32 v39, v1
.LBB279_63:
	s_or_b32 exec_lo, exec_lo, s2
	s_delay_alu instid0(VALU_DEP_1)
	v_cmp_lt_f32_e32 vcc_lo, v39, v37
	v_dual_mov_b32 v40, v28 :: v_dual_mov_b32 v43, v31
	v_dual_mov_b32 v42, v30 :: v_dual_mov_b32 v45, v33
	v_dual_cndmask_b32 v1, v25, v24 :: v_dual_cndmask_b32 v24, v24, v25
	v_cndmask_b32_e32 v2, v13, v12, vcc_lo
	v_dual_cndmask_b32 v12, v12, v13 :: v_dual_cndmask_b32 v49, v37, v39
	v_dual_cndmask_b32 v48, v36, v37 :: v_dual_mov_b32 v41, v29
	v_dual_mov_b32 v39, v27 :: v_dual_mov_b32 v44, v32
	v_dual_mov_b32 v47, v35 :: v_dual_mov_b32 v46, v34
	v_mov_b32_e32 v50, v38
	s_mov_b32 s2, exec_lo
	v_cmpx_lt_f32_e32 v27, v28
	s_cbranch_execz .LBB279_65
; %bb.64:
	v_dual_mov_b32 v28, v40 :: v_dual_mov_b32 v29, v39
	v_dual_mov_b32 v38, v49 :: v_dual_mov_b32 v39, v50
	;; [unrolled: 1-line block ×6, first 2 shown]
	v_mov_b32_e32 v50, v39
	v_mov_b32_e32 v13, v15
	v_dual_mov_b32 v25, v3 :: v_dual_mov_b32 v44, v33
	v_swap_b32 v15, v16
	v_swap_b32 v3, v4
	v_dual_mov_b32 v49, v38 :: v_dual_mov_b32 v46, v35
	v_dual_mov_b32 v48, v37 :: v_dual_mov_b32 v47, v36
	;; [unrolled: 1-line block ×4, first 2 shown]
	v_mov_b32_e32 v41, v30
	v_dual_mov_b32 v39, v28 :: v_dual_mov_b32 v28, v27
.LBB279_65:
	s_or_b32 exec_lo, exec_lo, s2
	v_mov_b32_e32 v13, v2
	v_dual_mov_b32 v25, v1 :: v_dual_mov_b32 v62, v14
	v_dual_mov_b32 v74, v26 :: v_dual_mov_b32 v63, v15
	v_mov_b32_e32 v86, v26
	v_dual_mov_b32 v72, v24 :: v_dual_mov_b32 v75, v15
	v_dual_mov_b32 v110, v26 :: v_dual_mov_b32 v53, v5
	;; [unrolled: 1-line block ×61, first 2 shown]
	v_mov_b32_e32 v149, v5
	v_mov_b32_e32 v147, v3
	;; [unrolled: 1-line block ×3, first 2 shown]
	s_mov_b32 s2, exec_lo
	v_dual_mov_b32 v85, v25 :: v_dual_mov_b32 v84, v24
	v_dual_mov_b32 v83, v23 :: v_dual_mov_b32 v82, v22
	s_clause 0x2
	scratch_store_b128 off, v[3:6], off
	scratch_store_b128 off, v[7:10], off offset:16
	scratch_store_b128 off, v[11:14], off offset:32
	v_cmpx_lt_f32_e32 v28, v41
	s_cbranch_execz .LBB279_67
; %bb.66:
	v_dual_mov_b32 v158, v14 :: v_dual_mov_b32 v157, v13
	v_dual_mov_b32 v150, v6 :: v_dual_mov_b32 v149, v5
	;; [unrolled: 1-line block ×7, first 2 shown]
	s_clause 0x2
	scratch_store_b128 off, v[147:150], off
	scratch_store_b128 off, v[151:154], off offset:16
	scratch_store_b128 off, v[155:158], off offset:32
	v_dual_mov_b32 v182, v26 :: v_dual_mov_b32 v181, v25
	v_dual_mov_b32 v172, v16 :: v_dual_mov_b32 v171, v15
	;; [unrolled: 1-line block ×8, first 2 shown]
	s_delay_alu instid0(VALU_DEP_4) | instskip(SKIP_1) | instid1(VALU_DEP_4)
	v_dual_mov_b32 v160, v172 :: v_dual_mov_b32 v161, v173
	v_dual_mov_b32 v162, v174 :: v_dual_mov_b32 v163, v175
	;; [unrolled: 1-line block ×4, first 2 shown]
	v_mov_b32_e32 v170, v182
	v_dual_mov_b32 v166, v178 :: v_dual_mov_b32 v167, v179
	v_mov_b32_e32 v162, v18
	v_dual_mov_b32 v40, v41 :: v_dual_mov_b32 v41, v28
	v_mov_b32_e32 v5, v4
	v_mov_b32_e32 v17, v16
	;; [unrolled: 1-line block ×3, first 2 shown]
	v_dual_mov_b32 v137, v149 :: v_dual_mov_b32 v144, v156
	v_dual_mov_b32 v123, v159 :: v_dual_mov_b32 v136, v148
	;; [unrolled: 1-line block ×12, first 2 shown]
	v_mov_b32_e32 v133, v169
	v_dual_mov_b32 v111, v135 :: v_dual_mov_b32 v112, v136
	v_dual_mov_b32 v99, v123 :: v_dual_mov_b32 v100, v124
	;; [unrolled: 1-line block ×12, first 2 shown]
	v_mov_b32_e32 v104, v20
	v_dual_mov_b32 v116, v8 :: v_dual_mov_b32 v75, v99
	v_mov_b32_e32 v87, v111
	v_dual_mov_b32 v93, v117 :: v_dual_mov_b32 v78, v102
	s_delay_alu instid0(VALU_DEP_3)
	v_dual_mov_b32 v81, v105 :: v_dual_mov_b32 v92, v116
	v_dual_mov_b32 v90, v114 :: v_dual_mov_b32 v91, v115
	;; [unrolled: 1-line block ×11, first 2 shown]
	v_mov_b32_e32 v51, v87
	v_dual_mov_b32 v63, v75 :: v_dual_mov_b32 v66, v78
	v_dual_mov_b32 v55, v91 :: v_dual_mov_b32 v58, v94
	;; [unrolled: 1-line block ×14, first 2 shown]
	v_mov_b32_e32 v72, v24
	v_dual_mov_b32 v62, v14 :: v_dual_mov_b32 v71, v23
	v_dual_mov_b32 v70, v22 :: v_dual_mov_b32 v73, v1
	v_mov_b32_e32 v74, v26
.LBB279_67:
	s_or_b32 exec_lo, exec_lo, s2
	v_mov_b32_e32 v3, v42
	v_cmp_lt_f32_e32 vcc_lo, v13, v42
	s_mov_b32 s2, exec_lo
	s_clause 0x2
	scratch_load_b128 v[27:30], off, off
	scratch_load_b128 v[31:34], off, off offset:16
	scratch_load_b128 v[35:38], off, off offset:32
	s_and_b32 s3, s2, vcc_lo
	s_delay_alu instid0(SALU_CYCLE_1)
	s_mov_b32 exec_lo, s3
	s_cbranch_execz .LBB279_69
; %bb.68:
	v_mov_b32_e32 v173, v18
	s_waitcnt vmcnt(2)
	v_mov_b32_e32 v29, v6
	v_dual_mov_b32 v159, v171 :: v_dual_mov_b32 v160, v172
	s_waitcnt vmcnt(0)
	v_dual_mov_b32 v158, v38 :: v_dual_mov_b32 v157, v37
	v_dual_mov_b32 v156, v36 :: v_dual_mov_b32 v147, v27
	;; [unrolled: 1-line block ×6, first 2 shown]
	v_mov_b32_e32 v168, v180
	v_dual_mov_b32 v164, v176 :: v_dual_mov_b32 v165, v177
	v_dual_mov_b32 v170, v182 :: v_dual_mov_b32 v155, v35
	;; [unrolled: 1-line block ×4, first 2 shown]
	v_mov_b32_e32 v150, v5
	v_mov_b32_e32 v169, v181
	v_dual_mov_b32 v162, v17 :: v_dual_mov_b32 v135, v147
	v_dual_mov_b32 v136, v148 :: v_dual_mov_b32 v123, v159
	;; [unrolled: 1-line block ×13, first 2 shown]
	v_mov_b32_e32 v139, v7
	v_dual_mov_b32 v99, v123 :: v_dual_mov_b32 v100, v124
	v_dual_mov_b32 v111, v135 :: v_dual_mov_b32 v114, v138
	;; [unrolled: 1-line block ×4, first 2 shown]
	v_mov_b32_e32 v120, v144
	v_dual_mov_b32 v104, v128 :: v_dual_mov_b32 v105, v129
	v_dual_mov_b32 v110, v134 :: v_dual_mov_b32 v115, v139
	;; [unrolled: 1-line block ×21, first 2 shown]
	v_mov_b32_e32 v93, v9
	v_dual_mov_b32 v63, v75 :: v_dual_mov_b32 v64, v76
	v_dual_mov_b32 v51, v87 :: v_dual_mov_b32 v54, v90
	;; [unrolled: 1-line block ×3, first 2 shown]
	s_delay_alu instid0(VALU_DEP_4)
	v_dual_mov_b32 v58, v94 :: v_dual_mov_b32 v57, v93
	v_dual_mov_b32 v60, v96 :: v_dual_mov_b32 v59, v95
	;; [unrolled: 1-line block ×9, first 2 shown]
	v_mov_b32_e32 v42, v13
	v_dual_mov_b32 v53, v89 :: v_dual_mov_b32 v56, v92
	v_dual_mov_b32 v68, v80 :: v_dual_mov_b32 v59, v11
	v_mov_b32_e32 v62, v14
	v_dual_mov_b32 v61, v2 :: v_dual_mov_b32 v72, v24
	v_dual_mov_b32 v70, v22 :: v_dual_mov_b32 v71, v23
	;; [unrolled: 1-line block ×3, first 2 shown]
	v_mov_b32_e32 v3, v13
	v_mov_b32_e32 v18, v17
	;; [unrolled: 1-line block ×3, first 2 shown]
.LBB279_69:
	s_or_b32 exec_lo, exec_lo, s2
	v_mov_b32_e32 v4, v43
	s_mov_b32 s2, exec_lo
	v_cmpx_lt_f32_e32 v3, v43
	s_cbranch_execz .LBB279_71
; %bb.70:
	v_mov_b32_e32 v174, v19
	s_waitcnt vmcnt(2)
	v_mov_b32_e32 v30, v7
	v_mov_b32_e32 v123, v171
	s_waitcnt vmcnt(0)
	v_dual_mov_b32 v125, v173 :: v_dual_mov_b32 v146, v38
	s_delay_alu instid0(VALU_DEP_3)
	v_dual_mov_b32 v143, v35 :: v_dual_mov_b32 v138, v30
	v_mov_b32_e32 v135, v27
	v_dual_mov_b32 v145, v37 :: v_dual_mov_b32 v142, v34
	v_dual_mov_b32 v139, v31 :: v_dual_mov_b32 v136, v28
	;; [unrolled: 1-line block ×6, first 2 shown]
	v_mov_b32_e32 v139, v6
	v_dual_mov_b32 v127, v18 :: v_dual_mov_b32 v124, v172
	v_dual_mov_b32 v126, v174 :: v_dual_mov_b32 v129, v177
	;; [unrolled: 1-line block ×15, first 2 shown]
	v_mov_b32_e32 v110, v134
	v_mov_b32_e32 v104, v20
	v_dual_mov_b32 v116, v8 :: v_dual_mov_b32 v75, v99
	v_mov_b32_e32 v87, v111
	v_dual_mov_b32 v93, v117 :: v_dual_mov_b32 v78, v102
	s_delay_alu instid0(VALU_DEP_3)
	v_dual_mov_b32 v81, v105 :: v_dual_mov_b32 v92, v116
	v_dual_mov_b32 v80, v104 :: v_dual_mov_b32 v83, v107
	;; [unrolled: 1-line block ×11, first 2 shown]
	v_mov_b32_e32 v63, v75
	s_delay_alu instid0(VALU_DEP_3)
	v_dual_mov_b32 v51, v87 :: v_dual_mov_b32 v54, v90
	v_dual_mov_b32 v71, v83 :: v_dual_mov_b32 v72, v84
	v_dual_mov_b32 v57, v93 :: v_dual_mov_b32 v58, v94
	v_dual_mov_b32 v59, v95 :: v_dual_mov_b32 v60, v96
	v_dual_mov_b32 v61, v97 :: v_dual_mov_b32 v62, v98
	v_dual_mov_b32 v69, v81 :: v_dual_mov_b32 v70, v82
	v_dual_mov_b32 v73, v85 :: v_dual_mov_b32 v74, v86
	v_dual_mov_b32 v72, v24 :: v_dual_mov_b32 v159, v171
	v_dual_mov_b32 v158, v38 :: v_dual_mov_b32 v153, v33
	v_dual_mov_b32 v42, v43 :: v_dual_mov_b32 v53, v89
	v_dual_mov_b32 v43, v3 :: v_dual_mov_b32 v52, v88
	v_dual_mov_b32 v55, v91 :: v_dual_mov_b32 v56, v92
	v_dual_mov_b32 v64, v76 :: v_dual_mov_b32 v65, v77
	v_dual_mov_b32 v66, v78 :: v_dual_mov_b32 v67, v79
	v_mov_b32_e32 v68, v80
	v_dual_mov_b32 v58, v10 :: v_dual_mov_b32 v59, v11
	v_dual_mov_b32 v60, v12 :: v_dual_mov_b32 v61, v2
	;; [unrolled: 1-line block ×14, first 2 shown]
	v_mov_b32_e32 v150, v30
	v_dual_mov_b32 v148, v28 :: v_dual_mov_b32 v19, v18
	v_dual_mov_b32 v4, v3 :: v_dual_mov_b32 v7, v6
.LBB279_71:
	s_or_b32 exec_lo, exec_lo, s2
	v_mov_b32_e32 v3, v44
	s_mov_b32 s2, exec_lo
	s_delay_alu instid0(VALU_DEP_2)
	v_cmpx_lt_f32_e32 v4, v44
	s_cbranch_execz .LBB279_73
; %bb.72:
	v_mov_b32_e32 v163, v20
	v_mov_b32_e32 v151, v8
	v_dual_mov_b32 v99, v159 :: v_dual_mov_b32 v102, v162
	v_dual_mov_b32 v111, v147 :: v_dual_mov_b32 v112, v148
	;; [unrolled: 1-line block ×10, first 2 shown]
	v_mov_b32_e32 v108, v168
	v_dual_mov_b32 v104, v164 :: v_dual_mov_b32 v109, v169
	v_mov_b32_e32 v116, v7
	v_mov_b32_e32 v107, v167
	;; [unrolled: 1-line block ×3, first 2 shown]
	v_dual_mov_b32 v87, v111 :: v_dual_mov_b32 v90, v114
	v_dual_mov_b32 v88, v112 :: v_dual_mov_b32 v89, v113
	;; [unrolled: 1-line block ×12, first 2 shown]
	v_mov_b32_e32 v93, v9
	v_mov_b32_e32 v43, v44
	v_dual_mov_b32 v44, v4 :: v_dual_mov_b32 v81, v21
	v_dual_mov_b32 v51, v87 :: v_dual_mov_b32 v56, v92
	;; [unrolled: 1-line block ×15, first 2 shown]
	v_mov_b32_e32 v136, v148
	v_dual_mov_b32 v54, v90 :: v_dual_mov_b32 v59, v11
	v_mov_b32_e32 v62, v14
	v_dual_mov_b32 v61, v2 :: v_dual_mov_b32 v72, v24
	v_dual_mov_b32 v70, v22 :: v_dual_mov_b32 v71, v23
	;; [unrolled: 1-line block ×14, first 2 shown]
	v_mov_b32_e32 v8, v7
.LBB279_73:
	s_or_b32 exec_lo, exec_lo, s2
	v_mov_b32_e32 v4, v45
	s_mov_b32 s2, exec_lo
	v_cmpx_lt_f32_e32 v3, v45
	s_cbranch_execz .LBB279_75
; %bb.74:
	v_mov_b32_e32 v140, v9
	v_dual_mov_b32 v128, v21 :: v_dual_mov_b32 v87, v135
	v_mov_b32_e32 v93, v141
	v_dual_mov_b32 v93, v8 :: v_dual_mov_b32 v94, v142
	v_dual_mov_b32 v96, v144 :: v_dual_mov_b32 v97, v145
	v_mov_b32_e32 v98, v146
	v_dual_mov_b32 v44, v45 :: v_dual_mov_b32 v75, v123
	v_dual_mov_b32 v84, v132 :: v_dual_mov_b32 v85, v133
	;; [unrolled: 1-line block ×8, first 2 shown]
	v_mov_b32_e32 v81, v20
	v_dual_mov_b32 v51, v87 :: v_dual_mov_b32 v52, v88
	v_dual_mov_b32 v76, v124 :: v_dual_mov_b32 v77, v125
	;; [unrolled: 1-line block ×30, first 2 shown]
	v_mov_b32_e32 v120, v144
	v_dual_mov_b32 v122, v146 :: v_dual_mov_b32 v21, v20
	v_dual_mov_b32 v4, v3 :: v_dual_mov_b32 v9, v8
.LBB279_75:
	s_or_b32 exec_lo, exec_lo, s2
	v_mov_b32_e32 v3, v46
	s_mov_b32 s2, exec_lo
	s_delay_alu instid0(VALU_DEP_2)
	v_cmpx_lt_f32_e32 v4, v46
	s_cbranch_execz .LBB279_77
; %bb.76:
	v_mov_b32_e32 v117, v10
	v_dual_mov_b32 v45, v46 :: v_dual_mov_b32 v46, v4
	v_mov_b32_e32 v105, v22
	v_dual_mov_b32 v51, v111 :: v_dual_mov_b32 v54, v114
	v_dual_mov_b32 v56, v116 :: v_dual_mov_b32 v63, v99
	v_dual_mov_b32 v66, v102 :: v_dual_mov_b32 v53, v113
	v_dual_mov_b32 v58, v118 :: v_dual_mov_b32 v55, v115
	v_dual_mov_b32 v60, v120 :: v_dual_mov_b32 v57, v117
	v_dual_mov_b32 v62, v122 :: v_dual_mov_b32 v59, v119
	v_mov_b32_e32 v58, v9
	v_dual_mov_b32 v61, v121 :: v_dual_mov_b32 v60, v12
	v_dual_mov_b32 v67, v103 :: v_dual_mov_b32 v70, v106
	;; [unrolled: 1-line block ×8, first 2 shown]
	v_mov_b32_e32 v62, v14
	v_dual_mov_b32 v61, v2 :: v_dual_mov_b32 v64, v100
	v_dual_mov_b32 v65, v101 :: v_dual_mov_b32 v68, v104
	;; [unrolled: 1-line block ×15, first 2 shown]
	v_mov_b32_e32 v98, v122
.LBB279_77:
	s_or_b32 exec_lo, exec_lo, s2
	v_mov_b32_e32 v4, v47
	s_mov_b32 s2, exec_lo
	v_cmpx_lt_f32_e32 v3, v47
	s_cbranch_execz .LBB279_79
; %bb.78:
	v_dual_mov_b32 v84, v24 :: v_dual_mov_b32 v85, v1
	v_dual_mov_b32 v94, v11 :: v_dual_mov_b32 v95, v10
	;; [unrolled: 1-line block ×4, first 2 shown]
	v_mov_b32_e32 v86, v26
	v_mov_b32_e32 v46, v47
	v_dual_mov_b32 v47, v3 :: v_dual_mov_b32 v98, v14
	v_dual_mov_b32 v63, v75 :: v_dual_mov_b32 v72, v84
	;; [unrolled: 1-line block ×3, first 2 shown]
	v_mov_b32_e32 v67, v79
	v_dual_mov_b32 v65, v77 :: v_dual_mov_b32 v66, v78
	v_dual_mov_b32 v69, v81 :: v_dual_mov_b32 v68, v80
	;; [unrolled: 1-line block ×9, first 2 shown]
	v_mov_b32_e32 v62, v98
	v_mov_b32_e32 v4, v3
.LBB279_79:
	s_or_b32 exec_lo, exec_lo, s2
	s_delay_alu instid0(VALU_DEP_1)
	v_cmp_lt_f32_e32 vcc_lo, v4, v48
	v_dual_mov_b32 v3, v41 :: v_dual_mov_b32 v8, v46
	v_dual_mov_b32 v5, v43 :: v_dual_mov_b32 v12, v50
	s_waitcnt vmcnt(0)
	v_cndmask_b32_e32 v37, v72, v71, vcc_lo
	v_dual_cndmask_b32 v71, v71, v72 :: v_dual_cndmask_b32 v38, v60, v59
	v_dual_cndmask_b32 v59, v59, v60 :: v_dual_mov_b32 v2, v40
	v_dual_cndmask_b32 v10, v48, v4 :: v_dual_mov_b32 v1, v39
	v_dual_cndmask_b32 v9, v47, v48 :: v_dual_mov_b32 v6, v44
	v_dual_mov_b32 v4, v42 :: v_dual_mov_b32 v7, v45
	v_mov_b32_e32 v11, v49
	s_mov_b32 s2, exec_lo
	v_cmpx_lt_f32_e32 v39, v40
	s_cbranch_execz .LBB279_81
; %bb.80:
	v_dual_mov_b32 v13, v2 :: v_dual_mov_b32 v14, v1
	v_dual_mov_b32 v15, v3 :: v_dual_mov_b32 v16, v4
	;; [unrolled: 1-line block ×6, first 2 shown]
	v_mov_b32_e32 v25, v63
	v_dual_mov_b32 v26, v51 :: v_dual_mov_b32 v1, v13
	v_swap_b32 v63, v64
	v_swap_b32 v51, v52
	v_dual_mov_b32 v2, v14 :: v_dual_mov_b32 v3, v15
	v_dual_mov_b32 v4, v16 :: v_dual_mov_b32 v5, v17
	v_dual_mov_b32 v6, v18 :: v_dual_mov_b32 v7, v19
	v_dual_mov_b32 v8, v20 :: v_dual_mov_b32 v9, v21
	v_dual_mov_b32 v10, v22 :: v_dual_mov_b32 v11, v23
	v_mov_b32_e32 v12, v24
	v_mov_b32_e32 v40, v39
.LBB279_81:
	s_or_b32 exec_lo, exec_lo, s2
	v_mov_b32_e32 v60, v38
	v_dual_mov_b32 v72, v37 :: v_dual_mov_b32 v13, v51
	v_dual_mov_b32 v25, v63 :: v_dual_mov_b32 v98, v74
	;; [unrolled: 1-line block ×60, first 2 shown]
	s_mov_b32 s2, exec_lo
	v_dual_mov_b32 v96, v72 :: v_dual_mov_b32 v93, v69
	v_cmpx_lt_f32_e32 v40, v3
	s_cbranch_execz .LBB279_83
; %bb.82:
	v_dual_mov_b32 v134, v62 :: v_dual_mov_b32 v133, v61
	v_dual_mov_b32 v124, v52 :: v_dual_mov_b32 v123, v51
	v_mov_b32_e32 v124, v53
	v_dual_mov_b32 v128, v56 :: v_dual_mov_b32 v127, v55
	v_dual_mov_b32 v132, v60 :: v_dual_mov_b32 v131, v59
	;; [unrolled: 1-line block ×11, first 2 shown]
	v_mov_b32_e32 v141, v69
	v_dual_mov_b32 v136, v65 :: v_dual_mov_b32 v137, v64
	v_dual_mov_b32 v160, v124 :: v_dual_mov_b32 v159, v123
	;; [unrolled: 1-line block ×40, first 2 shown]
	v_mov_b32_e32 v22, v84
	v_dual_mov_b32 v22, v38 :: v_dual_mov_b32 v25, v87
	v_dual_mov_b32 v16, v78 :: v_dual_mov_b32 v19, v81
	;; [unrolled: 1-line block ×16, first 2 shown]
	v_mov_b32_e32 v35, v73
	v_dual_mov_b32 v34, v37 :: v_dual_mov_b32 v39, v40
	v_dual_mov_b32 v36, v74 :: v_dual_mov_b32 v65, v64
	v_mov_b32_e32 v53, v52
.LBB279_83:
	s_or_b32 exec_lo, exec_lo, s2
	v_mov_b32_e32 v40, v4
	s_mov_b32 s2, exec_lo
	v_cmpx_lt_f32_e32 v39, v4
	s_cbranch_execz .LBB279_85
; %bb.84:
	v_mov_b32_e32 v137, v66
	v_mov_b32_e32 v125, v54
	;; [unrolled: 1-line block ×4, first 2 shown]
	v_dual_mov_b32 v170, v134 :: v_dual_mov_b32 v169, v133
	v_dual_mov_b32 v168, v132 :: v_dual_mov_b32 v159, v123
	;; [unrolled: 1-line block ×9, first 2 shown]
	v_mov_b32_e32 v157, v145
	v_dual_mov_b32 v155, v143 :: v_dual_mov_b32 v152, v140
	v_mov_b32_e32 v162, v53
	v_mov_b32_e32 v149, v137
	v_dual_mov_b32 v150, v65 :: v_dual_mov_b32 v111, v159
	v_dual_mov_b32 v112, v160 :: v_dual_mov_b32 v99, v147
	;; [unrolled: 1-line block ×13, first 2 shown]
	v_mov_b32_e32 v115, v55
	v_dual_mov_b32 v87, v99 :: v_dual_mov_b32 v88, v100
	v_dual_mov_b32 v75, v111 :: v_dual_mov_b32 v78, v114
	;; [unrolled: 1-line block ×3, first 2 shown]
	s_delay_alu instid0(VALU_DEP_4)
	v_dual_mov_b32 v80, v116 :: v_dual_mov_b32 v79, v115
	v_dual_mov_b32 v82, v118 :: v_dual_mov_b32 v81, v117
	;; [unrolled: 1-line block ×6, first 2 shown]
	v_mov_b32_e32 v96, v108
	v_dual_mov_b32 v92, v104 :: v_dual_mov_b32 v93, v105
	v_dual_mov_b32 v98, v110 :: v_dual_mov_b32 v95, v107
	;; [unrolled: 1-line block ×21, first 2 shown]
	v_mov_b32_e32 v34, v37
	v_dual_mov_b32 v35, v73 :: v_dual_mov_b32 v36, v74
	v_mov_b32_e32 v40, v39
	v_mov_b32_e32 v66, v65
	;; [unrolled: 1-line block ×3, first 2 shown]
.LBB279_85:
	s_or_b32 exec_lo, exec_lo, s2
	v_mov_b32_e32 v39, v5
	s_mov_b32 s2, exec_lo
	v_cmpx_lt_f32_e32 v40, v5
	s_cbranch_execz .LBB279_87
; %bb.86:
	v_mov_b32_e32 v126, v55
	v_mov_b32_e32 v111, v123
	;; [unrolled: 1-line block ×3, first 2 shown]
	v_dual_mov_b32 v115, v54 :: v_dual_mov_b32 v116, v128
	v_dual_mov_b32 v138, v67 :: v_dual_mov_b32 v113, v125
	v_mov_b32_e32 v112, v124
	v_dual_mov_b32 v118, v130 :: v_dual_mov_b32 v119, v131
	v_dual_mov_b32 v120, v132 :: v_dual_mov_b32 v121, v133
	;; [unrolled: 1-line block ×24, first 2 shown]
	v_mov_b32_e32 v22, v84
	v_dual_mov_b32 v22, v38 :: v_dual_mov_b32 v25, v87
	v_dual_mov_b32 v16, v78 :: v_dual_mov_b32 v19, v81
	;; [unrolled: 1-line block ×18, first 2 shown]
	v_mov_b32_e32 v35, v73
	v_dual_mov_b32 v34, v37 :: v_dual_mov_b32 v155, v143
	v_dual_mov_b32 v36, v74 :: v_dual_mov_b32 v157, v145
	v_dual_mov_b32 v156, v144 :: v_dual_mov_b32 v151, v139
	v_dual_mov_b32 v154, v142 :: v_dual_mov_b32 v149, v137
	v_dual_mov_b32 v152, v140 :: v_dual_mov_b32 v147, v135
	v_dual_mov_b32 v150, v138 :: v_dual_mov_b32 v169, v133
	v_dual_mov_b32 v148, v136 :: v_dual_mov_b32 v167, v131
	v_dual_mov_b32 v168, v132 :: v_dual_mov_b32 v163, v127
	v_dual_mov_b32 v166, v130 :: v_dual_mov_b32 v161, v125
	v_dual_mov_b32 v164, v128 :: v_dual_mov_b32 v159, v123
	v_dual_mov_b32 v162, v126 :: v_dual_mov_b32 v39, v40
	v_dual_mov_b32 v160, v124 :: v_dual_mov_b32 v67, v66
	v_mov_b32_e32 v55, v54
.LBB279_87:
	s_or_b32 exec_lo, exec_lo, s2
	v_mov_b32_e32 v40, v6
	s_mov_b32 s2, exec_lo
	v_cmpx_lt_f32_e32 v39, v6
	s_cbranch_execz .LBB279_89
; %bb.88:
	v_mov_b32_e32 v163, v56
	v_dual_mov_b32 v75, v159 :: v_dual_mov_b32 v80, v164
	v_dual_mov_b32 v80, v55 :: v_dual_mov_b32 v81, v165
	;; [unrolled: 1-line block ×7, first 2 shown]
	v_mov_b32_e32 v85, v169
	v_dual_mov_b32 v89, v149 :: v_dual_mov_b32 v92, v152
	v_dual_mov_b32 v91, v151 :: v_dual_mov_b32 v94, v154
	v_dual_mov_b32 v93, v153 :: v_dual_mov_b32 v96, v156
	v_dual_mov_b32 v95, v155 :: v_dual_mov_b32 v98, v158
	v_dual_mov_b32 v97, v157 :: v_dual_mov_b32 v92, v67
	v_dual_mov_b32 v76, v160 :: v_dual_mov_b32 v5, v6
	v_mov_b32_e32 v88, v148
	v_mov_b32_e32 v6, v39
	s_delay_alu instid0(VALU_DEP_3) | instskip(NEXT) | instid1(VALU_DEP_3)
	v_dual_mov_b32 v13, v75 :: v_dual_mov_b32 v14, v76
	v_dual_mov_b32 v25, v87 :: v_dual_mov_b32 v26, v88
	v_dual_mov_b32 v19, v81 :: v_dual_mov_b32 v20, v82
	v_dual_mov_b32 v21, v83 :: v_dual_mov_b32 v22, v84
	v_dual_mov_b32 v23, v85 :: v_dual_mov_b32 v24, v86
	v_dual_mov_b32 v31, v93 :: v_dual_mov_b32 v32, v94
	v_dual_mov_b32 v33, v95 :: v_dual_mov_b32 v34, v96
	v_dual_mov_b32 v35, v97 :: v_dual_mov_b32 v36, v98
	v_dual_mov_b32 v99, v147 :: v_dual_mov_b32 v100, v148
	v_dual_mov_b32 v111, v159 :: v_dual_mov_b32 v112, v160
	v_dual_mov_b32 v15, v77 :: v_dual_mov_b32 v16, v78
	v_dual_mov_b32 v17, v79 :: v_dual_mov_b32 v18, v80
	v_dual_mov_b32 v19, v57 :: v_dual_mov_b32 v20, v58
	v_dual_mov_b32 v21, v59 :: v_dual_mov_b32 v22, v38
	v_dual_mov_b32 v23, v61 :: v_dual_mov_b32 v24, v62
	v_dual_mov_b32 v27, v89 :: v_dual_mov_b32 v28, v90
	v_dual_mov_b32 v29, v91 :: v_dual_mov_b32 v30, v92
	v_dual_mov_b32 v31, v69 :: v_dual_mov_b32 v32, v70
	v_dual_mov_b32 v33, v71 :: v_dual_mov_b32 v34, v37
	v_dual_mov_b32 v35, v73 :: v_dual_mov_b32 v36, v74
	v_dual_mov_b32 v101, v149 :: v_dual_mov_b32 v102, v150
	v_dual_mov_b32 v103, v151 :: v_dual_mov_b32 v104, v152
	v_dual_mov_b32 v105, v153 :: v_dual_mov_b32 v106, v154
	v_dual_mov_b32 v107, v155 :: v_dual_mov_b32 v108, v156
	v_dual_mov_b32 v109, v157 :: v_dual_mov_b32 v110, v158
	v_dual_mov_b32 v113, v161 :: v_dual_mov_b32 v114, v162
	v_dual_mov_b32 v115, v163 :: v_dual_mov_b32 v116, v164
	v_dual_mov_b32 v117, v165 :: v_dual_mov_b32 v118, v166
	v_dual_mov_b32 v119, v167 :: v_dual_mov_b32 v120, v168
	v_dual_mov_b32 v121, v169 :: v_dual_mov_b32 v122, v170
	v_mov_b32_e32 v40, v39
	v_mov_b32_e32 v68, v67
	;; [unrolled: 1-line block ×3, first 2 shown]
.LBB279_89:
	s_or_b32 exec_lo, exec_lo, s2
	v_mov_b32_e32 v39, v7
	s_mov_b32 s2, exec_lo
	v_cmpx_lt_f32_e32 v40, v7
	s_cbranch_execz .LBB279_91
; %bb.90:
	v_mov_b32_e32 v116, v57
	v_dual_mov_b32 v6, v7 :: v_dual_mov_b32 v7, v40
	v_dual_mov_b32 v104, v69 :: v_dual_mov_b32 v13, v111
	v_mov_b32_e32 v22, v120
	v_dual_mov_b32 v22, v38 :: v_dual_mov_b32 v25, v99
	v_mov_b32_e32 v34, v108
	v_dual_mov_b32 v34, v37 :: v_dual_mov_b32 v87, v99
	v_dual_mov_b32 v16, v114 :: v_dual_mov_b32 v19, v117
	;; [unrolled: 1-line block ×12, first 2 shown]
	v_mov_b32_e32 v23, v61
	v_dual_mov_b32 v21, v59 :: v_dual_mov_b32 v24, v62
	v_dual_mov_b32 v27, v101 :: v_dual_mov_b32 v26, v100
	;; [unrolled: 1-line block ×3, first 2 shown]
	v_mov_b32_e32 v35, v73
	v_dual_mov_b32 v33, v71 :: v_dual_mov_b32 v36, v74
	v_dual_mov_b32 v89, v101 :: v_dual_mov_b32 v88, v100
	;; [unrolled: 1-line block ×9, first 2 shown]
	v_mov_b32_e32 v39, v40
	v_mov_b32_e32 v69, v68
	v_dual_mov_b32 v57, v56 :: v_dual_mov_b32 v94, v106
	v_dual_mov_b32 v97, v109 :: v_dual_mov_b32 v82, v118
	;; [unrolled: 1-line block ×3, first 2 shown]
.LBB279_91:
	s_or_b32 exec_lo, exec_lo, s2
	v_mov_b32_e32 v40, v8
	s_mov_b32 s2, exec_lo
	v_cmpx_lt_f32_e32 v39, v8
	s_cbranch_execz .LBB279_93
; %bb.92:
	v_dual_mov_b32 v81, v58 :: v_dual_mov_b32 v82, v57
	v_dual_mov_b32 v83, v59 :: v_dual_mov_b32 v84, v38
	;; [unrolled: 1-line block ×19, first 2 shown]
	v_mov_b32_e32 v40, v39
.LBB279_93:
	s_or_b32 exec_lo, exec_lo, s2
	s_delay_alu instid0(VALU_DEP_1)
	v_cmp_lt_f32_e32 vcc_lo, v40, v9
	v_dual_mov_b32 v38, v2 :: v_dual_mov_b32 v41, v5
	v_dual_mov_b32 v42, v6 :: v_dual_mov_b32 v47, v11
	v_dual_cndmask_b32 v145, v33, v32 :: v_dual_cndmask_b32 v32, v32, v33
	v_dual_cndmask_b32 v146, v21, v20 :: v_dual_mov_b32 v39, v3
	v_dual_cndmask_b32 v20, v20, v21 :: v_dual_cndmask_b32 v45, v9, v40
	v_dual_cndmask_b32 v44, v8, v9 :: v_dual_mov_b32 v37, v1
	v_dual_mov_b32 v40, v4 :: v_dual_mov_b32 v43, v7
	v_mov_b32_e32 v46, v10
	v_mov_b32_e32 v48, v12
	s_mov_b32 s2, exec_lo
	v_cmpx_lt_f32_e32 v1, v2
	s_cbranch_execz .LBB279_95
; %bb.94:
	v_dual_mov_b32 v49, v38 :: v_dual_mov_b32 v50, v37
	v_dual_mov_b32 v51, v39 :: v_dual_mov_b32 v52, v40
	;; [unrolled: 1-line block ×6, first 2 shown]
	v_mov_b32_e32 v3, v25
	v_mov_b32_e32 v4, v13
	v_dual_mov_b32 v37, v49 :: v_dual_mov_b32 v40, v52
	v_swap_b32 v25, v26
	v_swap_b32 v13, v14
	v_dual_mov_b32 v38, v50 :: v_dual_mov_b32 v39, v51
	v_dual_mov_b32 v41, v53 :: v_dual_mov_b32 v42, v54
	;; [unrolled: 1-line block ×5, first 2 shown]
	v_mov_b32_e32 v2, v1
.LBB279_95:
	s_or_b32 exec_lo, exec_lo, s2
	v_mov_b32_e32 v21, v146
	v_dual_mov_b32 v33, v145 :: v_dual_mov_b32 v60, v24
	v_dual_mov_b32 v72, v36 :: v_dual_mov_b32 v61, v25
	;; [unrolled: 1-line block ×43, first 2 shown]
	v_mov_b32_e32 v97, v13
	v_mov_b32_e32 v1, v39
	s_mov_b32 s2, exec_lo
	v_dual_mov_b32 v95, v35 :: v_dual_mov_b32 v94, v34
	v_dual_mov_b32 v93, v33 :: v_dual_mov_b32 v92, v32
	;; [unrolled: 1-line block ×5, first 2 shown]
	v_cmpx_lt_f32_e32 v2, v39
	s_cbranch_execz .LBB279_97
; %bb.96:
	v_dual_mov_b32 v108, v24 :: v_dual_mov_b32 v107, v23
	v_dual_mov_b32 v98, v14 :: v_dual_mov_b32 v97, v13
	v_mov_b32_e32 v98, v15
	v_dual_mov_b32 v104, v20 :: v_dual_mov_b32 v103, v19
	v_dual_mov_b32 v100, v16 :: v_dual_mov_b32 v99, v15
	;; [unrolled: 1-line block ×26, first 2 shown]
	v_mov_b32_e32 v84, v144
	v_dual_mov_b32 v74, v134 :: v_dual_mov_b32 v77, v137
	v_mov_b32_e32 v75, v135
	v_dual_mov_b32 v38, v39 :: v_dual_mov_b32 v85, v121
	v_dual_mov_b32 v76, v136 :: v_dual_mov_b32 v79, v139
	;; [unrolled: 1-line block ×10, first 2 shown]
	v_mov_b32_e32 v39, v2
	v_dual_mov_b32 v49, v73 :: v_dual_mov_b32 v50, v74
	v_dual_mov_b32 v59, v83 :: v_dual_mov_b32 v60, v84
	;; [unrolled: 1-line block ×18, first 2 shown]
	v_mov_b32_e32 v70, v34
	v_dual_mov_b32 v72, v36 :: v_dual_mov_b32 v1, v2
	v_mov_b32_e32 v27, v26
	v_mov_b32_e32 v15, v14
.LBB279_97:
	s_or_b32 exec_lo, exec_lo, s2
	v_mov_b32_e32 v2, v40
	s_mov_b32 s2, exec_lo
	v_cmpx_lt_f32_e32 v1, v40
	s_cbranch_execz .LBB279_99
; %bb.98:
	v_mov_b32_e32 v99, v16
	v_mov_b32_e32 v144, v108
	v_mov_b32_e32 v136, v100
	v_dual_mov_b32 v136, v15 :: v_dual_mov_b32 v111, v28
	v_dual_mov_b32 v142, v106 :: v_dual_mov_b32 v133, v97
	;; [unrolled: 1-line block ×4, first 2 shown]
	v_mov_b32_e32 v135, v99
	v_dual_mov_b32 v125, v113 :: v_dual_mov_b32 v124, v112
	v_mov_b32_e32 v143, v107
	v_dual_mov_b32 v141, v105 :: v_dual_mov_b32 v140, v104
	v_dual_mov_b32 v139, v103 :: v_dual_mov_b32 v138, v102
	;; [unrolled: 1-line block ×18, first 2 shown]
	v_mov_b32_e32 v95, v131
	v_dual_mov_b32 v89, v29 :: v_dual_mov_b32 v88, v124
	v_dual_mov_b32 v49, v73 :: v_dual_mov_b32 v54, v78
	v_mov_b32_e32 v50, v74
	v_dual_mov_b32 v52, v76 :: v_dual_mov_b32 v61, v85
	s_delay_alu instid0(VALU_DEP_4)
	v_dual_mov_b32 v64, v88 :: v_dual_mov_b32 v51, v75
	v_dual_mov_b32 v56, v80 :: v_dual_mov_b32 v53, v77
	;; [unrolled: 1-line block ×12, first 2 shown]
	v_mov_b32_e32 v58, v22
	v_dual_mov_b32 v57, v146 :: v_dual_mov_b32 v60, v24
	v_dual_mov_b32 v59, v23 :: v_dual_mov_b32 v62, v86
	v_dual_mov_b32 v67, v31 :: v_dual_mov_b32 v68, v32
	v_dual_mov_b32 v69, v145 :: v_dual_mov_b32 v70, v34
	v_dual_mov_b32 v71, v35 :: v_dual_mov_b32 v72, v36
	v_mov_b32_e32 v2, v1
	v_mov_b32_e32 v28, v27
	;; [unrolled: 1-line block ×3, first 2 shown]
.LBB279_99:
	s_or_b32 exec_lo, exec_lo, s2
	v_mov_b32_e32 v1, v41
	s_mov_b32 s2, exec_lo
	v_cmpx_lt_f32_e32 v2, v41
	s_cbranch_execz .LBB279_101
; %bb.100:
	v_mov_b32_e32 v100, v17
	v_mov_b32_e32 v73, v97
	;; [unrolled: 1-line block ×3, first 2 shown]
	v_dual_mov_b32 v77, v16 :: v_dual_mov_b32 v78, v102
	v_dual_mov_b32 v112, v29 :: v_dual_mov_b32 v75, v99
	;; [unrolled: 1-line block ×3, first 2 shown]
	v_mov_b32_e32 v84, v108
	v_dual_mov_b32 v74, v98 :: v_dual_mov_b32 v85, v109
	v_mov_b32_e32 v86, v110
	v_dual_mov_b32 v76, v100 :: v_dual_mov_b32 v79, v103
	v_dual_mov_b32 v80, v104 :: v_dual_mov_b32 v81, v105
	;; [unrolled: 1-line block ×8, first 2 shown]
	v_mov_b32_e32 v49, v73
	v_dual_mov_b32 v89, v28 :: v_dual_mov_b32 v50, v74
	v_dual_mov_b32 v59, v83 :: v_dual_mov_b32 v60, v84
	;; [unrolled: 1-line block ×32, first 2 shown]
	v_mov_b32_e32 v17, v16
.LBB279_101:
	s_or_b32 exec_lo, exec_lo, s2
	v_mov_b32_e32 v2, v42
	s_mov_b32 s2, exec_lo
	v_cmpx_lt_f32_e32 v1, v42
	s_cbranch_execz .LBB279_103
; %bb.102:
	v_mov_b32_e32 v137, v18
	v_mov_b32_e32 v125, v30
	v_dual_mov_b32 v41, v42 :: v_dual_mov_b32 v42, v1
	v_dual_mov_b32 v49, v133 :: v_dual_mov_b32 v50, v134
	;; [unrolled: 1-line block ×13, first 2 shown]
	v_mov_b32_e32 v66, v29
	v_dual_mov_b32 v85, v121 :: v_dual_mov_b32 v86, v122
	v_dual_mov_b32 v73, v133 :: v_dual_mov_b32 v74, v134
	;; [unrolled: 1-line block ×4, first 2 shown]
	v_mov_b32_e32 v64, v124
	v_dual_mov_b32 v58, v22 :: v_dual_mov_b32 v59, v23
	v_dual_mov_b32 v67, v31 :: v_dual_mov_b32 v68, v32
	;; [unrolled: 1-line block ×8, first 2 shown]
	v_mov_b32_e32 v2, v1
	v_mov_b32_e32 v30, v29
	v_dual_mov_b32 v18, v17 :: v_dual_mov_b32 v91, v127
	v_dual_mov_b32 v92, v128 :: v_dual_mov_b32 v93, v129
	;; [unrolled: 1-line block ×6, first 2 shown]
	v_mov_b32_e32 v84, v144
.LBB279_103:
	s_or_b32 exec_lo, exec_lo, s2
	v_mov_b32_e32 v1, v43
	s_mov_b32 s2, exec_lo
	v_cmpx_lt_f32_e32 v2, v43
	s_cbranch_execz .LBB279_105
; %bb.104:
	v_dual_mov_b32 v94, v34 :: v_dual_mov_b32 v95, v35
	v_dual_mov_b32 v78, v19 :: v_dual_mov_b32 v79, v18
	;; [unrolled: 1-line block ×6, first 2 shown]
	v_mov_b32_e32 v96, v36
	v_dual_mov_b32 v42, v43 :: v_dual_mov_b32 v43, v2
	v_dual_mov_b32 v84, v24 :: v_dual_mov_b32 v61, v85
	;; [unrolled: 1-line block ×14, first 2 shown]
.LBB279_105:
	s_or_b32 exec_lo, exec_lo, s2
	s_delay_alu instid0(VALU_DEP_1)
	v_cmp_lt_f32_e32 vcc_lo, v1, v44
	v_dual_mov_b32 v3, v39 :: v_dual_mov_b32 v10, v46
	v_dual_mov_b32 v5, v41 :: v_dual_mov_b32 v12, v48
	v_dual_cndmask_b32 v121, v68, v67 :: v_dual_mov_b32 v2, v38
	v_dual_cndmask_b32 v67, v67, v68 :: v_dual_cndmask_b32 v122, v56, v55
	v_dual_cndmask_b32 v55, v55, v56 :: v_dual_cndmask_b32 v8, v44, v1
	v_dual_cndmask_b32 v7, v43, v44 :: v_dual_mov_b32 v4, v40
	v_dual_mov_b32 v1, v37 :: v_dual_mov_b32 v6, v42
	v_mov_b32_e32 v9, v45
	v_mov_b32_e32 v11, v47
	s_mov_b32 s2, exec_lo
	v_cmpx_lt_f32_e32 v37, v38
	s_cbranch_execz .LBB279_107
; %bb.106:
	v_dual_mov_b32 v13, v2 :: v_dual_mov_b32 v14, v1
	v_dual_mov_b32 v15, v3 :: v_dual_mov_b32 v16, v4
	;; [unrolled: 1-line block ×6, first 2 shown]
	v_mov_b32_e32 v25, v61
	v_mov_b32_e32 v26, v49
	v_dual_mov_b32 v1, v13 :: v_dual_mov_b32 v4, v16
	v_swap_b32 v61, v62
	v_swap_b32 v49, v50
	v_dual_mov_b32 v2, v14 :: v_dual_mov_b32 v3, v15
	v_dual_mov_b32 v5, v17 :: v_dual_mov_b32 v6, v18
	;; [unrolled: 1-line block ×5, first 2 shown]
	v_mov_b32_e32 v38, v37
.LBB279_107:
	s_or_b32 exec_lo, exec_lo, s2
	v_mov_b32_e32 v56, v122
	v_mov_b32_e32 v68, v121
	;; [unrolled: 1-line block ×3, first 2 shown]
	v_dual_mov_b32 v27, v51 :: v_dual_mov_b32 v84, v72
	v_mov_b32_e32 v81, v69
	v_dual_mov_b32 v83, v71 :: v_dual_mov_b32 v96, v60
	v_dual_mov_b32 v91, v55 :: v_dual_mov_b32 v120, v72
	;; [unrolled: 1-line block ×31, first 2 shown]
	v_mov_b32_e32 v24, v60
	s_mov_b32 s2, exec_lo
	v_dual_mov_b32 v118, v70 :: v_dual_mov_b32 v115, v67
	v_dual_mov_b32 v116, v68 :: v_dual_mov_b32 v113, v65
	;; [unrolled: 1-line block ×3, first 2 shown]
	v_cmpx_lt_f32_e32 v38, v3
	s_cbranch_execz .LBB279_109
; %bb.108:
	v_dual_mov_b32 v13, v49 :: v_dual_mov_b32 v14, v50
	v_dual_mov_b32 v23, v59 :: v_dual_mov_b32 v24, v60
	;; [unrolled: 1-line block ×30, first 2 shown]
	v_mov_b32_e32 v112, v64
	v_dual_mov_b32 v34, v94 :: v_dual_mov_b32 v35, v95
	v_dual_mov_b32 v35, v59 :: v_dual_mov_b32 v34, v58
	;; [unrolled: 1-line block ×15, first 2 shown]
	v_mov_b32_e32 v81, v69
	v_dual_mov_b32 v80, v121 :: v_dual_mov_b32 v83, v71
	v_mov_b32_e32 v82, v70
	v_dual_mov_b32 v84, v72 :: v_dual_mov_b32 v37, v38
	v_mov_b32_e32 v63, v62
	v_mov_b32_e32 v51, v50
.LBB279_109:
	s_or_b32 exec_lo, exec_lo, s2
	v_mov_b32_e32 v38, v4
	s_mov_b32 s2, exec_lo
	v_cmpx_lt_f32_e32 v37, v4
	s_cbranch_execz .LBB279_111
; %bb.110:
	v_mov_b32_e32 v15, v52
	v_mov_b32_e32 v96, v24
	;; [unrolled: 1-line block ×3, first 2 shown]
	v_dual_mov_b32 v88, v51 :: v_dual_mov_b32 v99, v64
	v_dual_mov_b32 v94, v22 :: v_dual_mov_b32 v85, v13
	v_dual_mov_b32 v120, v108 :: v_dual_mov_b32 v109, v97
	v_mov_b32_e32 v95, v23
	v_dual_mov_b32 v93, v21 :: v_dual_mov_b32 v92, v20
	v_dual_mov_b32 v91, v19 :: v_dual_mov_b32 v90, v18
	;; [unrolled: 1-line block ×7, first 2 shown]
	v_mov_b32_e32 v87, v15
	v_dual_mov_b32 v111, v99 :: v_dual_mov_b32 v110, v98
	v_dual_mov_b32 v112, v63 :: v_dual_mov_b32 v25, v85
	;; [unrolled: 1-line block ×3, first 2 shown]
	s_delay_alu instid0(VALU_DEP_3)
	v_dual_mov_b32 v74, v110 :: v_dual_mov_b32 v29, v89
	v_dual_mov_b32 v30, v90 :: v_dual_mov_b32 v31, v91
	;; [unrolled: 1-line block ×8, first 2 shown]
	v_mov_b32_e32 v84, v120
	v_dual_mov_b32 v3, v4 :: v_dual_mov_b32 v4, v37
	v_dual_mov_b32 v27, v87 :: v_dual_mov_b32 v28, v88
	;; [unrolled: 1-line block ×11, first 2 shown]
	v_mov_b32_e32 v38, v37
	v_mov_b32_e32 v64, v63
	;; [unrolled: 1-line block ×3, first 2 shown]
.LBB279_111:
	s_or_b32 exec_lo, exec_lo, s2
	v_mov_b32_e32 v16, v5
	s_mov_b32 s2, exec_lo
	v_cmpx_lt_f32_e32 v38, v5
	s_cbranch_execz .LBB279_113
; %bb.112:
	v_mov_b32_e32 v100, v65
	v_mov_b32_e32 v16, v53
	v_dual_mov_b32 v4, v5 :: v_dual_mov_b32 v5, v38
	v_dual_mov_b32 v36, v24 :: v_dual_mov_b32 v33, v21
	;; [unrolled: 1-line block ×3, first 2 shown]
	v_mov_b32_e32 v31, v19
	v_dual_mov_b32 v35, v59 :: v_dual_mov_b32 v34, v58
	v_dual_mov_b32 v73, v97 :: v_dual_mov_b32 v32, v20
	;; [unrolled: 1-line block ×8, first 2 shown]
	v_mov_b32_e32 v77, v64
	v_dual_mov_b32 v84, v108 :: v_dual_mov_b32 v79, v67
	v_dual_mov_b32 v120, v108 :: v_dual_mov_b32 v115, v103
	;; [unrolled: 1-line block ×19, first 2 shown]
	v_mov_b32_e32 v88, v16
	v_dual_mov_b32 v86, v14 :: v_dual_mov_b32 v65, v64
	v_dual_mov_b32 v16, v38 :: v_dual_mov_b32 v53, v52
	;; [unrolled: 1-line block ×3, first 2 shown]
.LBB279_113:
	s_or_b32 exec_lo, exec_lo, s2
	v_mov_b32_e32 v13, v6
	s_mov_b32 s2, exec_lo
	v_cmpx_lt_f32_e32 v16, v6
	s_cbranch_execz .LBB279_115
; %bb.114:
	v_dual_mov_b32 v89, v54 :: v_dual_mov_b32 v90, v53
	v_dual_mov_b32 v91, v55 :: v_dual_mov_b32 v92, v122
	;; [unrolled: 1-line block ×21, first 2 shown]
	v_mov_b32_e32 v13, v16
.LBB279_115:
	s_or_b32 exec_lo, exec_lo, s2
	s_delay_alu instid0(VALU_DEP_1)
	v_cmp_lt_f32_e32 vcc_lo, v13, v7
	v_dual_mov_b32 v14, v2 :: v_dual_mov_b32 v17, v5
	v_dual_mov_b32 v16, v4 :: v_dual_mov_b32 v21, v9
	v_dual_cndmask_b32 v37, v79, v78 :: v_dual_cndmask_b32 v78, v78, v79
	v_cndmask_b32_e32 v38, v31, v30, vcc_lo
	v_dual_cndmask_b32 v30, v30, v31 :: v_dual_cndmask_b32 v19, v7, v13
	v_dual_cndmask_b32 v18, v6, v7 :: v_dual_mov_b32 v15, v3
	v_dual_mov_b32 v13, v1 :: v_dual_mov_b32 v20, v8
	v_dual_mov_b32 v23, v11 :: v_dual_mov_b32 v22, v10
	v_mov_b32_e32 v24, v12
	s_mov_b32 s2, exec_lo
	v_cmpx_lt_f32_e32 v1, v2
	s_cbranch_execz .LBB279_117
; %bb.116:
	v_dual_mov_b32 v2, v14 :: v_dual_mov_b32 v3, v13
	v_dual_mov_b32 v12, v23 :: v_dual_mov_b32 v13, v24
	;; [unrolled: 1-line block ×6, first 2 shown]
	v_mov_b32_e32 v24, v13
	v_mov_b32_e32 v31, v73
	v_dual_mov_b32 v39, v25 :: v_dual_mov_b32 v18, v7
	v_swap_b32 v73, v74
	v_swap_b32 v25, v26
	v_dual_mov_b32 v23, v12 :: v_dual_mov_b32 v20, v9
	v_dual_mov_b32 v22, v11 :: v_dual_mov_b32 v21, v10
	;; [unrolled: 1-line block ×4, first 2 shown]
	v_mov_b32_e32 v15, v4
	v_dual_mov_b32 v13, v2 :: v_dual_mov_b32 v2, v1
.LBB279_117:
	s_or_b32 exec_lo, exec_lo, s2
	v_mov_b32_e32 v31, v38
	v_dual_mov_b32 v79, v37 :: v_dual_mov_b32 v50, v36
	v_dual_mov_b32 v51, v73 :: v_dual_mov_b32 v52, v74
	;; [unrolled: 1-line block ×24, first 2 shown]
	v_mov_b32_e32 v85, v25
	v_mov_b32_e32 v1, v15
	s_mov_b32 s2, exec_lo
	v_cmpx_lt_f32_e32 v2, v15
	s_cbranch_execz .LBB279_119
; %bb.118:
	v_dual_mov_b32 v96, v36 :: v_dual_mov_b32 v95, v35
	v_dual_mov_b32 v86, v26 :: v_dual_mov_b32 v85, v25
	;; [unrolled: 1-line block ×8, first 2 shown]
	v_mov_b32_e32 v105, v81
	v_dual_mov_b32 v43, v89 :: v_dual_mov_b32 v44, v90
	v_dual_mov_b32 v100, v76 :: v_dual_mov_b32 v97, v73
	v_dual_mov_b32 v44, v30 :: v_dual_mov_b32 v107, v83
	v_dual_mov_b32 v106, v82 :: v_dual_mov_b32 v103, v79
	v_dual_mov_b32 v104, v80 :: v_dual_mov_b32 v101, v77
	v_dual_mov_b32 v102, v78 :: v_dual_mov_b32 v99, v75
	v_mov_b32_e32 v98, v74
	v_dual_mov_b32 v98, v75 :: v_dual_mov_b32 v99, v74
	v_dual_mov_b32 v49, v95 :: v_dual_mov_b32 v50, v96
	;; [unrolled: 1-line block ×12, first 2 shown]
	v_mov_b32_e32 v40, v86
	v_dual_mov_b32 v42, v28 :: v_dual_mov_b32 v43, v29
	v_dual_mov_b32 v45, v38 :: v_dual_mov_b32 v46, v32
	;; [unrolled: 1-line block ×9, first 2 shown]
	v_mov_b32_e32 v75, v74
	v_mov_b32_e32 v27, v26
.LBB279_119:
	s_or_b32 exec_lo, exec_lo, s2
	v_mov_b32_e32 v2, v16
	s_mov_b32 s2, exec_lo
	v_cmpx_lt_f32_e32 v1, v16
	s_cbranch_execz .LBB279_121
; %bb.120:
	v_mov_b32_e32 v87, v28
	v_mov_b32_e32 v99, v76
	v_dual_mov_b32 v15, v16 :: v_dual_mov_b32 v16, v1
	v_dual_mov_b32 v39, v85 :: v_dual_mov_b32 v42, v88
	;; [unrolled: 1-line block ×13, first 2 shown]
	v_mov_b32_e32 v56, v78
	v_mov_b32_e32 v40, v86
	v_dual_mov_b32 v42, v27 :: v_dual_mov_b32 v43, v29
	v_dual_mov_b32 v45, v38 :: v_dual_mov_b32 v46, v32
	;; [unrolled: 1-line block ×8, first 2 shown]
	v_mov_b32_e32 v2, v1
	v_mov_b32_e32 v76, v75
	;; [unrolled: 1-line block ×3, first 2 shown]
.LBB279_121:
	s_or_b32 exec_lo, exec_lo, s2
	v_mov_b32_e32 v1, v17
	s_mov_b32 s2, exec_lo
	v_cmpx_lt_f32_e32 v2, v17
	s_cbranch_execz .LBB279_123
; %bb.122:
	v_dual_mov_b32 v106, v82 :: v_dual_mov_b32 v107, v83
	v_dual_mov_b32 v88, v29 :: v_dual_mov_b32 v89, v28
	;; [unrolled: 1-line block ×8, first 2 shown]
	v_mov_b32_e32 v108, v84
	v_dual_mov_b32 v16, v17 :: v_dual_mov_b32 v17, v2
	v_dual_mov_b32 v96, v36 :: v_dual_mov_b32 v51, v97
	;; [unrolled: 1-line block ×14, first 2 shown]
.LBB279_123:
	s_or_b32 exec_lo, exec_lo, s2
	s_delay_alu instid0(VALU_DEP_1)
	v_cmp_lt_f32_e32 vcc_lo, v1, v18
	v_dual_mov_b32 v27, v13 :: v_dual_mov_b32 v34, v20
	v_dual_mov_b32 v29, v15 :: v_dual_mov_b32 v36, v22
	v_dual_cndmask_b32 v63, v56, v55 :: v_dual_cndmask_b32 v32, v18, v1
	v_dual_cndmask_b32 v55, v55, v56 :: v_dual_cndmask_b32 v64, v44, v43
	v_dual_cndmask_b32 v43, v43, v44 :: v_dual_mov_b32 v28, v14
	v_dual_cndmask_b32 v31, v17, v18 :: v_dual_mov_b32 v30, v16
	v_dual_mov_b32 v33, v19 :: v_dual_mov_b32 v38, v24
	v_mov_b32_e32 v35, v21
	v_mov_b32_e32 v37, v23
	s_mov_b32 s2, exec_lo
	v_cmpx_lt_f32_e32 v13, v14
	s_cbranch_execz .LBB279_125
; %bb.124:
	s_delay_alu instid0(VALU_DEP_2)
	v_dual_mov_b32 v11, v37 :: v_dual_mov_b32 v12, v38
	v_dual_mov_b32 v1, v28 :: v_dual_mov_b32 v2, v27
	v_dual_mov_b32 v3, v29 :: v_dual_mov_b32 v4, v30
	v_dual_mov_b32 v5, v31 :: v_dual_mov_b32 v6, v32
	v_dual_mov_b32 v7, v33 :: v_dual_mov_b32 v8, v34
	v_dual_mov_b32 v9, v35 :: v_dual_mov_b32 v10, v36
	v_dual_mov_b32 v15, v51 :: v_dual_mov_b32 v38, v12
	s_delay_alu instid0(VALU_DEP_2)
	v_dual_mov_b32 v16, v39 :: v_dual_mov_b32 v35, v9
	v_swap_b32 v51, v52
	v_swap_b32 v39, v40
	v_dual_mov_b32 v37, v11 :: v_dual_mov_b32 v36, v10
	v_dual_mov_b32 v34, v8 :: v_dual_mov_b32 v33, v7
	;; [unrolled: 1-line block ×5, first 2 shown]
	v_mov_b32_e32 v14, v13
.LBB279_125:
	s_or_b32 exec_lo, exec_lo, s2
	v_mov_b32_e32 v44, v64
	v_mov_b32_e32 v56, v63
	;; [unrolled: 1-line block ×4, first 2 shown]
	v_dual_mov_b32 v15, v51 :: v_dual_mov_b32 v2, v40
	v_dual_mov_b32 v16, v52 :: v_dual_mov_b32 v17, v53
	;; [unrolled: 1-line block ×11, first 2 shown]
	v_mov_b32_e32 v12, v50
	s_mov_b32 s2, exec_lo
	v_cmpx_lt_f32_e32 v14, v29
	s_cbranch_execz .LBB279_127
; %bb.126:
	v_dual_mov_b32 v1, v39 :: v_dual_mov_b32 v2, v40
	v_dual_mov_b32 v11, v49 :: v_dual_mov_b32 v12, v50
	;; [unrolled: 1-line block ×25, first 2 shown]
	v_mov_b32_e32 v41, v40
.LBB279_127:
	s_or_b32 exec_lo, exec_lo, s2
	v_mov_b32_e32 v39, v30
	s_mov_b32 s2, exec_lo
	v_cmpx_lt_f32_e32 v13, v30
	s_cbranch_execz .LBB279_129
; %bb.128:
	v_dual_mov_b32 v29, v30 :: v_dual_mov_b32 v30, v13
	v_dual_mov_b32 v3, v42 :: v_dual_mov_b32 v4, v41
	;; [unrolled: 1-line block ×11, first 2 shown]
	v_mov_b32_e32 v39, v13
.LBB279_129:
	s_or_b32 exec_lo, exec_lo, s2
	s_delay_alu instid0(VALU_DEP_1)
	v_cmp_lt_f32_e32 vcc_lo, v39, v31
	v_dual_mov_b32 v40, v28 :: v_dual_mov_b32 v45, v33
	v_dual_mov_b32 v44, v32 :: v_dual_mov_b32 v47, v35
	v_dual_cndmask_b32 v13, v19, v18 :: v_dual_cndmask_b32 v18, v18, v19
	v_dual_cndmask_b32 v14, v5, v4 :: v_dual_cndmask_b32 v43, v31, v39
	v_dual_cndmask_b32 v4, v4, v5 :: v_dual_mov_b32 v39, v27
	v_dual_cndmask_b32 v42, v30, v31 :: v_dual_mov_b32 v41, v29
	v_dual_mov_b32 v46, v34 :: v_dual_mov_b32 v49, v37
	v_mov_b32_e32 v48, v36
	v_mov_b32_e32 v50, v38
	s_mov_b32 s2, exec_lo
	v_cmpx_lt_f32_e32 v27, v28
	s_cbranch_execz .LBB279_131
; %bb.130:
	v_dual_mov_b32 v28, v40 :: v_dual_mov_b32 v29, v39
	v_dual_mov_b32 v38, v49 :: v_dual_mov_b32 v39, v50
	;; [unrolled: 1-line block ×7, first 2 shown]
	v_mov_b32_e32 v5, v15
	v_swap_b32 v15, v16
	s_delay_alu instid0(VALU_DEP_4)
	v_mov_b32_e32 v48, v37
	v_swap_b32 v1, v2
	v_dual_mov_b32 v49, v38 :: v_dual_mov_b32 v46, v35
	v_dual_mov_b32 v47, v36 :: v_dual_mov_b32 v44, v33
	;; [unrolled: 1-line block ×4, first 2 shown]
	v_mov_b32_e32 v41, v30
	v_dual_mov_b32 v39, v28 :: v_dual_mov_b32 v28, v27
.LBB279_131:
	s_or_b32 exec_lo, exec_lo, s2
	v_mov_b32_e32 v5, v14
	v_mov_b32_e32 v19, v13
	v_mov_b32_e32 v27, v41
	s_mov_b32 s2, exec_lo
	v_cmpx_lt_f32_e32 v28, v41
	s_cbranch_execz .LBB279_133
; %bb.132:
	v_dual_mov_b32 v74, v26 :: v_dual_mov_b32 v73, v25
	v_dual_mov_b32 v62, v12 :: v_dual_mov_b32 v61, v11
	v_dual_mov_b32 v72, v24 :: v_dual_mov_b32 v71, v23
	v_dual_mov_b32 v64, v16 :: v_dual_mov_b32 v63, v15
	v_dual_mov_b32 v60, v10 :: v_dual_mov_b32 v59, v9
	v_dual_mov_b32 v58, v8 :: v_dual_mov_b32 v57, v7
	v_dual_mov_b32 v56, v6 :: v_dual_mov_b32 v55, v5
	v_dual_mov_b32 v54, v4 :: v_dual_mov_b32 v53, v3
	v_dual_mov_b32 v52, v2 :: v_dual_mov_b32 v51, v1
	v_dual_mov_b32 v70, v22 :: v_dual_mov_b32 v69, v21
	v_dual_mov_b32 v68, v20 :: v_dual_mov_b32 v67, v19
	v_dual_mov_b32 v66, v18 :: v_dual_mov_b32 v65, v17
	v_dual_mov_b32 v72, v24 :: v_dual_mov_b32 v73, v25
	v_dual_mov_b32 v52, v3 :: v_dual_mov_b32 v53, v2
	v_dual_mov_b32 v54, v4 :: v_dual_mov_b32 v55, v14
	v_dual_mov_b32 v56, v6 :: v_dual_mov_b32 v57, v7
	v_dual_mov_b32 v58, v8 :: v_dual_mov_b32 v59, v9
	v_dual_mov_b32 v60, v10 :: v_dual_mov_b32 v61, v11
	v_dual_mov_b32 v64, v17 :: v_dual_mov_b32 v65, v16
	v_dual_mov_b32 v66, v18 :: v_dual_mov_b32 v67, v13
	v_dual_mov_b32 v68, v20 :: v_dual_mov_b32 v69, v21
	v_dual_mov_b32 v70, v22 :: v_dual_mov_b32 v71, v23
	v_mov_b32_e32 v74, v26
	v_dual_mov_b32 v40, v41 :: v_dual_mov_b32 v41, v28
	v_dual_mov_b32 v62, v12 :: v_dual_mov_b32 v15, v63
	;; [unrolled: 1-line block ×14, first 2 shown]
.LBB279_133:
	s_or_b32 exec_lo, exec_lo, s2
	s_delay_alu instid0(VALU_DEP_1)
	v_cmp_lt_f32_e32 vcc_lo, v27, v42
	v_dual_mov_b32 v29, v24 :: v_dual_mov_b32 v32, v5
	v_dual_mov_b32 v31, v26 :: v_dual_mov_b32 v34, v7
	v_dual_cndmask_b32 v13, v18, v17 :: v_dual_cndmask_b32 v14, v4, v3
	v_cndmask_b32_e32 v51, v17, v18, vcc_lo
	v_dual_cndmask_b32 v59, v3, v4 :: v_dual_cndmask_b32 v60, v41, v42
	v_dual_cndmask_b32 v3, v42, v27 :: v_dual_mov_b32 v18, v21
	v_cmp_lt_f32_e32 vcc_lo, v39, v40
	v_dual_mov_b32 v4, v19 :: v_dual_mov_b32 v17, v20
	v_dual_mov_b32 v28, v23 :: v_dual_mov_b32 v27, v22
	;; [unrolled: 1-line block ×7, first 2 shown]
	v_mov_b32_e32 v58, v50
	v_dual_mov_b32 v52, v44 :: v_dual_mov_b32 v53, v45
	v_dual_mov_b32 v55, v47 :: v_dual_mov_b32 v56, v48
	v_mov_b32_e32 v57, v49
	s_and_saveexec_b32 s2, vcc_lo
	s_cbranch_execz .LBB279_135
; %bb.134:
	v_dual_mov_b32 v42, v40 :: v_dual_mov_b32 v27, v22
	v_dual_mov_b32 v4, v15 :: v_dual_mov_b32 v17, v20
	;; [unrolled: 1-line block ×3, first 2 shown]
	v_swap_b32 v15, v16
	v_swap_b32 v1, v2
	v_dual_mov_b32 v40, v39 :: v_dual_mov_b32 v29, v24
	v_dual_mov_b32 v4, v19 :: v_dual_mov_b32 v31, v26
	;; [unrolled: 1-line block ×10, first 2 shown]
	v_mov_b32_e32 v52, v44
	v_mov_b32_e32 v54, v46
	v_mov_b32_e32 v56, v48
	v_mov_b32_e32 v58, v50
.LBB279_135:
	s_or_b32 exec_lo, exec_lo, s2
	s_clause 0x1
	s_load_b32 s8, s[0:1], 0x28
	s_load_b128 s[4:7], s[0:1], 0x10
	v_mov_b32_e32 v6, 0
	s_waitcnt lgkmcnt(0)
	s_cmp_lt_i32 s8, 1
	s_cbranch_scc1 .LBB279_141
; %bb.136:
	v_cmp_lt_f32_e32 vcc_lo, v40, v60
	v_mov_b32_e32 v7, 0
	s_mov_b32 s9, 0x76543210
	s_mov_b32 s10, s8
	v_mov_b32_e32 v6, 0
	v_cndmask_b32_e32 v8, v60, v40, vcc_lo
	v_cndmask_b32_e32 v19, v61, v60, vcc_lo
	v_dual_cndmask_b32 v5, v59, v2 :: v_dual_cndmask_b32 v2, v2, v59
	v_dual_cndmask_b32 v9, v51, v16 :: v_dual_cndmask_b32 v20, v16, v51
	s_delay_alu instid0(VALU_DEP_3) | instskip(NEXT) | instid1(VALU_DEP_1)
	v_cmp_lt_f32_e64 s2, v39, v19
	v_cndmask_b32_e64 v10, v2, v1, s2
	v_cndmask_b32_e64 v11, v1, v2, s2
	;; [unrolled: 1-line block ×6, first 2 shown]
	v_dual_mov_b32 v20, v0 :: v_dual_mov_b32 v1, 0
	v_mov_b32_e32 v2, 0
.LBB279_137:                            ; =>This Inner Loop Header: Depth=1
	v_cmp_eq_u32_e32 vcc_lo, 1, v7
	v_cmp_eq_u32_e64 s2, 2, v7
	v_dual_cndmask_b32 v21, v16, v12 :: v_dual_cndmask_b32 v22, v11, v10
	s_delay_alu instid0(VALU_DEP_1) | instskip(NEXT) | instid1(VALU_DEP_2)
	v_cndmask_b32_e64 v21, v21, v8, s2
	v_cndmask_b32_e64 v22, v22, v5, s2
	v_cndmask_b32_e32 v23, v15, v19, vcc_lo
	v_cmp_eq_u32_e32 vcc_lo, 3, v7
	s_delay_alu instid0(VALU_DEP_3) | instskip(NEXT) | instid1(VALU_DEP_3)
	v_cndmask_b32_e32 v22, v22, v14, vcc_lo
	v_cndmask_b32_e64 v23, v23, v9, s2
	v_cmp_eq_u32_e64 s2, 4, v7
	s_delay_alu instid0(VALU_DEP_2) | instskip(NEXT) | instid1(VALU_DEP_2)
	v_cndmask_b32_e32 v23, v23, v13, vcc_lo
	v_cndmask_b32_e64 v22, v22, v32, s2
	v_cndmask_b32_e32 v21, v21, v3, vcc_lo
	v_cmp_eq_u32_e32 vcc_lo, 5, v7
	s_delay_alu instid0(VALU_DEP_4) | instskip(NEXT) | instid1(VALU_DEP_4)
	v_cndmask_b32_e64 v23, v23, v4, s2
	v_cndmask_b32_e32 v22, v22, v33, vcc_lo
	s_delay_alu instid0(VALU_DEP_4) | instskip(SKIP_1) | instid1(VALU_DEP_4)
	v_cndmask_b32_e64 v21, v21, v42, s2
	v_cmp_eq_u32_e64 s2, 6, v7
	v_cndmask_b32_e32 v23, v23, v17, vcc_lo
	s_delay_alu instid0(VALU_DEP_3) | instskip(SKIP_1) | instid1(VALU_DEP_4)
	v_cndmask_b32_e32 v21, v21, v52, vcc_lo
	v_cmp_eq_u32_e32 vcc_lo, 7, v7
	v_cndmask_b32_e64 v22, v22, v34, s2
	s_delay_alu instid0(VALU_DEP_4) | instskip(NEXT) | instid1(VALU_DEP_4)
	v_cndmask_b32_e64 v23, v23, v18, s2
	v_cndmask_b32_e64 v21, v21, v53, s2
	v_cmp_eq_u32_e64 s2, 8, v7
	s_delay_alu instid0(VALU_DEP_4) | instskip(NEXT) | instid1(VALU_DEP_4)
	v_cndmask_b32_e32 v22, v22, v35, vcc_lo
	v_cndmask_b32_e32 v23, v23, v27, vcc_lo
	s_delay_alu instid0(VALU_DEP_4) | instskip(SKIP_1) | instid1(VALU_DEP_4)
	v_cndmask_b32_e32 v21, v21, v54, vcc_lo
	v_cmp_eq_u32_e32 vcc_lo, 9, v7
	v_cndmask_b32_e64 v22, v22, v36, s2
	s_delay_alu instid0(VALU_DEP_4) | instskip(NEXT) | instid1(VALU_DEP_4)
	v_cndmask_b32_e64 v23, v23, v28, s2
	v_cndmask_b32_e64 v21, v21, v55, s2
	v_cmp_eq_u32_e64 s2, 10, v7
	s_delay_alu instid0(VALU_DEP_4) | instskip(NEXT) | instid1(VALU_DEP_4)
	v_cndmask_b32_e32 v22, v22, v37, vcc_lo
	v_cndmask_b32_e32 v23, v23, v29, vcc_lo
	s_delay_alu instid0(VALU_DEP_4) | instskip(SKIP_1) | instid1(VALU_DEP_4)
	v_cndmask_b32_e32 v21, v21, v56, vcc_lo
	v_cmp_eq_u32_e32 vcc_lo, 11, v7
	v_cndmask_b32_e64 v22, v22, v38, s2
	s_delay_alu instid0(VALU_DEP_4) | instskip(NEXT) | instid1(VALU_DEP_4)
	v_cndmask_b32_e64 v23, v23, v30, s2
	v_cndmask_b32_e64 v21, v21, v57, s2
	v_cmp_gt_u32_e64 s2, 12, v7
	s_delay_alu instid0(VALU_DEP_2) | instskip(NEXT) | instid1(VALU_DEP_1)
	v_dual_cndmask_b32 v22, v22, v41 :: v_dual_cndmask_b32 v21, v21, v58
	v_cndmask_b32_e64 v24, 0, v22, s2
	s_delay_alu instid0(VALU_DEP_2)
	v_cndmask_b32_e64 v21, 0xff800000, v21, s2
	;;#ASMSTART
	v_max_f32 v25, v21, v21 quad_perm:[1,0,3,2] row_mask:0xf bank_mask:0xf bound_ctrl:1
	;;#ASMEND
	;;#ASMSTART
	v_max_f32 v26, v25, v25 quad_perm:[2,3,0,1] row_mask:0xf bank_mask:0xf bound_ctrl:1
	;;#ASMEND
	;;#ASMSTART
	v_max_f32 v25, v26, v26 row_half_mirror row_mask:0xf bank_mask:0xf bound_ctrl:1
	;;#ASMEND
	;;#ASMSTART
	v_max_f32 v26, v25, v25 row_mirror row_mask:0xf bank_mask:0xf bound_ctrl:1
	;;#ASMEND
	v_permlanex16_b32 v25, v26, s9, 0xfedcba98 op_sel:[1,1]
	s_delay_alu instid0(VALU_DEP_1) | instskip(NEXT) | instid1(VALU_DEP_1)
	v_dual_max_f32 v26, v26, v26 :: v_dual_max_f32 v25, v25, v25
	v_max_f32_e32 v25, v26, v25
	s_delay_alu instid0(VALU_DEP_1) | instskip(SKIP_1) | instid1(VALU_DEP_2)
	v_cmp_eq_f32_e64 s3, v21, v25
	v_cndmask_b32_e32 v21, v23, v31, vcc_lo
	s_ctz_i32_b32 s11, s3
	s_cmp_lg_u32 s3, 0
	s_cselect_b32 s3, s11, 0
	s_add_i32 s10, s10, -1
	v_readlane_b32 s3, v24, s3
	s_delay_alu instid0(VALU_DEP_1)
	v_cmp_eq_u32_e32 vcc_lo, s3, v22
	s_and_b32 vcc_lo, s2, vcc_lo
	s_and_b32 s2, s3, 31
	v_cndmask_b32_e32 v21, 0, v21, vcc_lo
	v_add_co_ci_u32_e32 v7, vcc_lo, 0, v7, vcc_lo
	s_cmp_eq_u32 s10, 0
	s_delay_alu instid0(VALU_DEP_2) | instskip(SKIP_2) | instid1(VALU_DEP_3)
	v_readlane_b32 s11, v21, s2
	v_cmp_eq_u32_e64 s2, 0, v20
	v_add_nc_u32_e32 v20, -1, v20
	v_add_f32_e32 v6, s11, v6
	s_delay_alu instid0(VALU_DEP_3)
	v_cndmask_b32_e64 v2, v2, s11, s2
	v_cndmask_b32_e64 v1, v1, s3, s2
	s_cbranch_scc0 .LBB279_137
; %bb.138:
	s_mov_b32 s2, exec_lo
	v_cmpx_gt_i32_e64 s8, v0
	s_cbranch_execz .LBB279_140
.LBB279_139:
	s_load_b32 s2, s[0:1], 0x30
	v_max_f32_e32 v3, v6, v6
	s_load_b64 s[0:1], s[0:1], 0x20
	s_ashr_i32 s3, s15, 31
	s_delay_alu instid0(VALU_DEP_1) | instskip(SKIP_1) | instid1(VALU_DEP_1)
	v_dual_max_f32 v3, 0x1e3ce508, v3 :: v_dual_lshlrev_b32 v0, 2, v0
	s_waitcnt lgkmcnt(0)
	v_div_scale_f32 v4, null, v3, v3, s2
	v_div_scale_f32 v7, vcc_lo, s2, v3, s2
	s_mul_i32 s1, s15, s1
	s_delay_alu instid0(VALU_DEP_2)
	v_rcp_f32_e32 v5, v4
	s_mul_hi_u32 s8, s15, s0
	s_mul_i32 s3, s3, s0
	s_add_i32 s1, s8, s1
	s_mul_i32 s0, s15, s0
	s_add_i32 s1, s1, s3
	s_delay_alu instid0(SALU_CYCLE_1) | instskip(SKIP_2) | instid1(VALU_DEP_1)
	s_lshl_b64 s[0:1], s[0:1], 2
	s_waitcnt_depctr 0xfff
	v_fma_f32 v6, -v4, v5, 1.0
	v_fmac_f32_e32 v5, v6, v5
	s_delay_alu instid0(VALU_DEP_1) | instskip(NEXT) | instid1(VALU_DEP_1)
	v_mul_f32_e32 v6, v7, v5
	v_fma_f32 v8, -v4, v6, v7
	s_delay_alu instid0(VALU_DEP_1) | instskip(NEXT) | instid1(VALU_DEP_1)
	v_fmac_f32_e32 v6, v8, v5
	v_fma_f32 v4, -v4, v6, v7
	s_delay_alu instid0(VALU_DEP_1) | instskip(NEXT) | instid1(VALU_DEP_1)
	v_div_fmas_f32 v4, v4, v5, v6
	v_div_fixup_f32 v3, v4, v3, s2
	s_add_u32 s2, s4, s0
	s_addc_u32 s3, s5, s1
	s_add_u32 s0, s6, s0
	s_addc_u32 s1, s7, s1
	v_mul_f32_e32 v2, v2, v3
	s_clause 0x1
	global_store_b32 v0, v2, s[2:3]
	global_store_b32 v0, v1, s[0:1]
.LBB279_140:
	s_endpgm
.LBB279_141:
	v_dual_mov_b32 v1, 0 :: v_dual_mov_b32 v2, 0
	s_mov_b32 s2, exec_lo
	v_cmpx_gt_i32_e64 s8, v0
	s_cbranch_execnz .LBB279_139
	s_branch .LBB279_140
	.section	.rodata,"a",@progbits
	.p2align	6, 0x0
	.amdhsa_kernel _ZN5aiter24topk_softplus_kernel_optI12hip_bfloat16S1_Li384ELb1ELi1EEEvPKT_PKT0_PfPimiif
		.amdhsa_group_segment_fixed_size 0
		.amdhsa_private_segment_fixed_size 196
		.amdhsa_kernarg_size 52
		.amdhsa_user_sgpr_count 15
		.amdhsa_user_sgpr_dispatch_ptr 0
		.amdhsa_user_sgpr_queue_ptr 0
		.amdhsa_user_sgpr_kernarg_segment_ptr 1
		.amdhsa_user_sgpr_dispatch_id 0
		.amdhsa_user_sgpr_private_segment_size 0
		.amdhsa_wavefront_size32 1
		.amdhsa_uses_dynamic_stack 0
		.amdhsa_enable_private_segment 1
		.amdhsa_system_sgpr_workgroup_id_x 1
		.amdhsa_system_sgpr_workgroup_id_y 0
		.amdhsa_system_sgpr_workgroup_id_z 0
		.amdhsa_system_sgpr_workgroup_info 0
		.amdhsa_system_vgpr_workitem_id 0
		.amdhsa_next_free_vgpr 183
		.amdhsa_next_free_sgpr 16
		.amdhsa_reserve_vcc 1
		.amdhsa_float_round_mode_32 0
		.amdhsa_float_round_mode_16_64 0
		.amdhsa_float_denorm_mode_32 3
		.amdhsa_float_denorm_mode_16_64 3
		.amdhsa_dx10_clamp 1
		.amdhsa_ieee_mode 1
		.amdhsa_fp16_overflow 0
		.amdhsa_workgroup_processor_mode 1
		.amdhsa_memory_ordered 1
		.amdhsa_forward_progress 0
		.amdhsa_shared_vgpr_count 0
		.amdhsa_exception_fp_ieee_invalid_op 0
		.amdhsa_exception_fp_denorm_src 0
		.amdhsa_exception_fp_ieee_div_zero 0
		.amdhsa_exception_fp_ieee_overflow 0
		.amdhsa_exception_fp_ieee_underflow 0
		.amdhsa_exception_fp_ieee_inexact 0
		.amdhsa_exception_int_div_zero 0
	.end_amdhsa_kernel
	.section	.text._ZN5aiter24topk_softplus_kernel_optI12hip_bfloat16S1_Li384ELb1ELi1EEEvPKT_PKT0_PfPimiif,"axG",@progbits,_ZN5aiter24topk_softplus_kernel_optI12hip_bfloat16S1_Li384ELb1ELi1EEEvPKT_PKT0_PfPimiif,comdat
.Lfunc_end279:
	.size	_ZN5aiter24topk_softplus_kernel_optI12hip_bfloat16S1_Li384ELb1ELi1EEEvPKT_PKT0_PfPimiif, .Lfunc_end279-_ZN5aiter24topk_softplus_kernel_optI12hip_bfloat16S1_Li384ELb1ELi1EEEvPKT_PKT0_PfPimiif
                                        ; -- End function
	.section	.AMDGPU.csdata,"",@progbits
; Kernel info:
; codeLenInByte = 28096
; NumSgprs: 18
; NumVgprs: 183
; ScratchSize: 196
; MemoryBound: 0
; FloatMode: 240
; IeeeMode: 1
; LDSByteSize: 0 bytes/workgroup (compile time only)
; SGPRBlocks: 2
; VGPRBlocks: 22
; NumSGPRsForWavesPerEU: 18
; NumVGPRsForWavesPerEU: 183
; Occupancy: 8
; WaveLimiterHint : 0
; COMPUTE_PGM_RSRC2:SCRATCH_EN: 1
; COMPUTE_PGM_RSRC2:USER_SGPR: 15
; COMPUTE_PGM_RSRC2:TRAP_HANDLER: 0
; COMPUTE_PGM_RSRC2:TGID_X_EN: 1
; COMPUTE_PGM_RSRC2:TGID_Y_EN: 0
; COMPUTE_PGM_RSRC2:TGID_Z_EN: 0
; COMPUTE_PGM_RSRC2:TIDIG_COMP_CNT: 0
	.section	.text._ZN5aiter24topk_softplus_kernel_optI12hip_bfloat16S1_Li384ELb0ELi1EEEvPKT_PKT0_PfPimiif,"axG",@progbits,_ZN5aiter24topk_softplus_kernel_optI12hip_bfloat16S1_Li384ELb0ELi1EEEvPKT_PKT0_PfPimiif,comdat
	.protected	_ZN5aiter24topk_softplus_kernel_optI12hip_bfloat16S1_Li384ELb0ELi1EEEvPKT_PKT0_PfPimiif ; -- Begin function _ZN5aiter24topk_softplus_kernel_optI12hip_bfloat16S1_Li384ELb0ELi1EEEvPKT_PKT0_PfPimiif
	.globl	_ZN5aiter24topk_softplus_kernel_optI12hip_bfloat16S1_Li384ELb0ELi1EEEvPKT_PKT0_PfPimiif
	.p2align	8
	.type	_ZN5aiter24topk_softplus_kernel_optI12hip_bfloat16S1_Li384ELb0ELi1EEEvPKT_PKT0_PfPimiif,@function
_ZN5aiter24topk_softplus_kernel_optI12hip_bfloat16S1_Li384ELb0ELi1EEEvPKT_PKT0_PfPimiif: ; @_ZN5aiter24topk_softplus_kernel_optI12hip_bfloat16S1_Li384ELb0ELi1EEEvPKT_PKT0_PfPimiif
; %bb.0:
	s_load_b128 s[4:7], s[0:1], 0x0
	s_mul_i32 s2, s15, 0x180
	v_lshlrev_b32_e32 v3, 1, v0
	s_ashr_i32 s3, s2, 31
	s_delay_alu instid0(SALU_CYCLE_1)
	s_lshl_b64 s[2:3], s[2:3], 1
	s_waitcnt lgkmcnt(0)
	s_add_u32 s4, s4, s2
	s_addc_u32 s5, s5, s3
	s_cmp_lg_u64 s[6:7], 0
	global_load_u16 v1, v3, s[4:5]
	s_cselect_b32 s2, -1, 0
	s_waitcnt vmcnt(0)
	v_lshlrev_b32_e32 v1, 16, v1
	s_delay_alu instid0(VALU_DEP_1) | instskip(NEXT) | instid1(VALU_DEP_1)
	v_mul_f32_e32 v2, 0xbfb8aa3b, v1
	v_cmp_gt_f32_e32 vcc_lo, 0xc2fc0000, v2
	v_cndmask_b32_e64 v2, 0, 0x42800000, vcc_lo
	s_delay_alu instid0(VALU_DEP_1) | instskip(NEXT) | instid1(VALU_DEP_1)
	v_fmac_f32_e32 v2, 0xbfb8aa3b, v1
	v_exp_f32_e32 v1, v2
	v_cndmask_b32_e64 v2, 1.0, 0x1f800000, vcc_lo
	s_and_b32 vcc_lo, exec_lo, s2
	s_waitcnt_depctr 0xfff
	v_fma_f32 v1, v1, v2, 1.0
	s_delay_alu instid0(VALU_DEP_1) | instskip(SKIP_1) | instid1(VALU_DEP_1)
	v_rcp_f32_e32 v37, v1
	v_add_co_u32 v1, s3, s4, v3
	v_add_co_ci_u32_e64 v2, null, s5, 0, s3
	s_waitcnt_depctr 0xfff
	v_mov_b32_e32 v48, v37
	s_cbranch_vccz .LBB280_2
; %bb.1:
	global_load_u16 v4, v3, s[6:7]
	s_waitcnt vmcnt(0)
	v_lshlrev_b32_e32 v4, 16, v4
	s_delay_alu instid0(VALU_DEP_1)
	v_add_f32_e32 v48, v37, v4
.LBB280_2:
	global_load_u16 v4, v[1:2], off offset:64
	s_waitcnt vmcnt(0)
	v_lshlrev_b32_e32 v4, 16, v4
	s_delay_alu instid0(VALU_DEP_1) | instskip(NEXT) | instid1(VALU_DEP_1)
	v_mul_f32_e32 v5, 0xbfb8aa3b, v4
	v_cmp_gt_f32_e32 vcc_lo, 0xc2fc0000, v5
	v_cndmask_b32_e64 v5, 0, 0x42800000, vcc_lo
	s_delay_alu instid0(VALU_DEP_1) | instskip(NEXT) | instid1(VALU_DEP_1)
	v_fmac_f32_e32 v5, 0xbfb8aa3b, v4
	v_exp_f32_e32 v4, v5
	v_cndmask_b32_e64 v5, 1.0, 0x1f800000, vcc_lo
	s_and_not1_b32 vcc_lo, exec_lo, s2
	s_waitcnt_depctr 0xfff
	v_fma_f32 v4, v4, v5, 1.0
	s_delay_alu instid0(VALU_DEP_1)
	v_rcp_f32_e32 v14, v4
	v_cndmask_b32_e64 v4, 0, 1, s2
	s_waitcnt_depctr 0xfff
	v_mov_b32_e32 v49, v14
	s_cbranch_vccnz .LBB280_4
; %bb.3:
	global_load_u16 v5, v3, s[6:7] offset:64
	s_waitcnt vmcnt(0)
	v_lshlrev_b32_e32 v5, 16, v5
	s_delay_alu instid0(VALU_DEP_1)
	v_add_f32_e32 v49, v14, v5
.LBB280_4:
	global_load_u16 v5, v[1:2], off offset:128
	s_waitcnt vmcnt(0)
	v_lshlrev_b32_e32 v5, 16, v5
	s_delay_alu instid0(VALU_DEP_1) | instskip(NEXT) | instid1(VALU_DEP_1)
	v_mul_f32_e32 v6, 0xbfb8aa3b, v5
	v_cmp_gt_f32_e32 vcc_lo, 0xc2fc0000, v6
	v_cndmask_b32_e64 v6, 0, 0x42800000, vcc_lo
	s_delay_alu instid0(VALU_DEP_1) | instskip(NEXT) | instid1(VALU_DEP_1)
	v_fmac_f32_e32 v6, 0xbfb8aa3b, v5
	v_exp_f32_e32 v5, v6
	v_cndmask_b32_e64 v6, 1.0, 0x1f800000, vcc_lo
	v_cmp_ne_u32_e32 vcc_lo, 1, v4
	s_waitcnt_depctr 0xfff
	v_fma_f32 v5, v5, v6, 1.0
	s_delay_alu instid0(VALU_DEP_1)
	v_rcp_f32_e32 v15, v5
	s_waitcnt_depctr 0xfff
	v_mov_b32_e32 v50, v15
	s_cbranch_vccnz .LBB280_6
; %bb.5:
	global_load_u16 v5, v3, s[6:7] offset:128
	s_waitcnt vmcnt(0)
	v_lshlrev_b32_e32 v5, 16, v5
	s_delay_alu instid0(VALU_DEP_1)
	v_add_f32_e32 v50, v15, v5
.LBB280_6:
	global_load_u16 v5, v[1:2], off offset:192
	s_waitcnt vmcnt(0)
	v_lshlrev_b32_e32 v5, 16, v5
	s_delay_alu instid0(VALU_DEP_1) | instskip(NEXT) | instid1(VALU_DEP_1)
	v_mul_f32_e32 v6, 0xbfb8aa3b, v5
	v_cmp_gt_f32_e32 vcc_lo, 0xc2fc0000, v6
	v_cndmask_b32_e64 v6, 0, 0x42800000, vcc_lo
	s_delay_alu instid0(VALU_DEP_1) | instskip(NEXT) | instid1(VALU_DEP_1)
	v_fmac_f32_e32 v6, 0xbfb8aa3b, v5
	v_exp_f32_e32 v5, v6
	v_cndmask_b32_e64 v6, 1.0, 0x1f800000, vcc_lo
	v_cmp_ne_u32_e32 vcc_lo, 1, v4
	s_waitcnt_depctr 0xfff
	v_fma_f32 v5, v5, v6, 1.0
	s_delay_alu instid0(VALU_DEP_1)
	v_rcp_f32_e32 v16, v5
	s_waitcnt_depctr 0xfff
	v_mov_b32_e32 v51, v16
	s_cbranch_vccnz .LBB280_8
; %bb.7:
	global_load_u16 v5, v3, s[6:7] offset:192
	s_waitcnt vmcnt(0)
	v_lshlrev_b32_e32 v5, 16, v5
	s_delay_alu instid0(VALU_DEP_1)
	v_add_f32_e32 v51, v16, v5
.LBB280_8:
	global_load_u16 v5, v[1:2], off offset:256
	s_waitcnt vmcnt(0)
	v_lshlrev_b32_e32 v5, 16, v5
	s_delay_alu instid0(VALU_DEP_1) | instskip(NEXT) | instid1(VALU_DEP_1)
	v_mul_f32_e32 v6, 0xbfb8aa3b, v5
	v_cmp_gt_f32_e32 vcc_lo, 0xc2fc0000, v6
	v_cndmask_b32_e64 v6, 0, 0x42800000, vcc_lo
	s_delay_alu instid0(VALU_DEP_1) | instskip(NEXT) | instid1(VALU_DEP_1)
	v_fmac_f32_e32 v6, 0xbfb8aa3b, v5
	v_exp_f32_e32 v5, v6
	v_cndmask_b32_e64 v6, 1.0, 0x1f800000, vcc_lo
	v_cmp_ne_u32_e32 vcc_lo, 1, v4
	s_waitcnt_depctr 0xfff
	v_fma_f32 v5, v5, v6, 1.0
	s_delay_alu instid0(VALU_DEP_1)
	v_rcp_f32_e32 v17, v5
	s_waitcnt_depctr 0xfff
	v_mov_b32_e32 v52, v17
	s_cbranch_vccnz .LBB280_10
; %bb.9:
	global_load_u16 v5, v3, s[6:7] offset:256
	s_waitcnt vmcnt(0)
	v_lshlrev_b32_e32 v5, 16, v5
	s_delay_alu instid0(VALU_DEP_1)
	v_add_f32_e32 v52, v17, v5
.LBB280_10:
	global_load_u16 v5, v[1:2], off offset:320
	s_waitcnt vmcnt(0)
	v_lshlrev_b32_e32 v5, 16, v5
	s_delay_alu instid0(VALU_DEP_1) | instskip(NEXT) | instid1(VALU_DEP_1)
	v_mul_f32_e32 v6, 0xbfb8aa3b, v5
	v_cmp_gt_f32_e32 vcc_lo, 0xc2fc0000, v6
	v_cndmask_b32_e64 v6, 0, 0x42800000, vcc_lo
	s_delay_alu instid0(VALU_DEP_1) | instskip(NEXT) | instid1(VALU_DEP_1)
	v_fmac_f32_e32 v6, 0xbfb8aa3b, v5
	v_exp_f32_e32 v5, v6
	v_cndmask_b32_e64 v6, 1.0, 0x1f800000, vcc_lo
	v_cmp_ne_u32_e32 vcc_lo, 1, v4
	s_waitcnt_depctr 0xfff
	v_fma_f32 v5, v5, v6, 1.0
	s_delay_alu instid0(VALU_DEP_1)
	v_rcp_f32_e32 v18, v5
	s_waitcnt_depctr 0xfff
	v_mov_b32_e32 v53, v18
	s_cbranch_vccnz .LBB280_12
; %bb.11:
	global_load_u16 v5, v3, s[6:7] offset:320
	s_waitcnt vmcnt(0)
	v_lshlrev_b32_e32 v5, 16, v5
	s_delay_alu instid0(VALU_DEP_1)
	v_add_f32_e32 v53, v18, v5
.LBB280_12:
	global_load_u16 v5, v[1:2], off offset:384
	s_waitcnt vmcnt(0)
	v_lshlrev_b32_e32 v5, 16, v5
	s_delay_alu instid0(VALU_DEP_1) | instskip(NEXT) | instid1(VALU_DEP_1)
	v_mul_f32_e32 v6, 0xbfb8aa3b, v5
	v_cmp_gt_f32_e32 vcc_lo, 0xc2fc0000, v6
	v_cndmask_b32_e64 v6, 0, 0x42800000, vcc_lo
	s_delay_alu instid0(VALU_DEP_1) | instskip(NEXT) | instid1(VALU_DEP_1)
	v_fmac_f32_e32 v6, 0xbfb8aa3b, v5
	v_exp_f32_e32 v5, v6
	v_cndmask_b32_e64 v6, 1.0, 0x1f800000, vcc_lo
	v_cmp_ne_u32_e32 vcc_lo, 1, v4
	s_waitcnt_depctr 0xfff
	v_fma_f32 v5, v5, v6, 1.0
	s_delay_alu instid0(VALU_DEP_1)
	v_rcp_f32_e32 v19, v5
	s_waitcnt_depctr 0xfff
	v_mov_b32_e32 v54, v19
	s_cbranch_vccnz .LBB280_14
; %bb.13:
	global_load_u16 v5, v3, s[6:7] offset:384
	s_waitcnt vmcnt(0)
	v_lshlrev_b32_e32 v5, 16, v5
	s_delay_alu instid0(VALU_DEP_1)
	v_add_f32_e32 v54, v19, v5
.LBB280_14:
	global_load_u16 v5, v[1:2], off offset:448
	s_waitcnt vmcnt(0)
	v_lshlrev_b32_e32 v5, 16, v5
	s_delay_alu instid0(VALU_DEP_1) | instskip(NEXT) | instid1(VALU_DEP_1)
	v_mul_f32_e32 v6, 0xbfb8aa3b, v5
	v_cmp_gt_f32_e32 vcc_lo, 0xc2fc0000, v6
	v_cndmask_b32_e64 v6, 0, 0x42800000, vcc_lo
	s_delay_alu instid0(VALU_DEP_1) | instskip(NEXT) | instid1(VALU_DEP_1)
	v_fmac_f32_e32 v6, 0xbfb8aa3b, v5
	v_exp_f32_e32 v5, v6
	v_cndmask_b32_e64 v6, 1.0, 0x1f800000, vcc_lo
	v_cmp_ne_u32_e32 vcc_lo, 1, v4
	s_waitcnt_depctr 0xfff
	v_fma_f32 v5, v5, v6, 1.0
	s_delay_alu instid0(VALU_DEP_1)
	v_rcp_f32_e32 v20, v5
	s_waitcnt_depctr 0xfff
	v_mov_b32_e32 v55, v20
	s_cbranch_vccnz .LBB280_16
; %bb.15:
	global_load_u16 v5, v3, s[6:7] offset:448
	s_waitcnt vmcnt(0)
	v_lshlrev_b32_e32 v5, 16, v5
	s_delay_alu instid0(VALU_DEP_1)
	v_add_f32_e32 v55, v20, v5
.LBB280_16:
	global_load_u16 v5, v[1:2], off offset:512
	s_waitcnt vmcnt(0)
	v_lshlrev_b32_e32 v5, 16, v5
	s_delay_alu instid0(VALU_DEP_1) | instskip(NEXT) | instid1(VALU_DEP_1)
	v_mul_f32_e32 v6, 0xbfb8aa3b, v5
	v_cmp_gt_f32_e32 vcc_lo, 0xc2fc0000, v6
	v_cndmask_b32_e64 v6, 0, 0x42800000, vcc_lo
	s_delay_alu instid0(VALU_DEP_1) | instskip(NEXT) | instid1(VALU_DEP_1)
	v_fmac_f32_e32 v6, 0xbfb8aa3b, v5
	v_exp_f32_e32 v5, v6
	v_cndmask_b32_e64 v6, 1.0, 0x1f800000, vcc_lo
	v_cmp_ne_u32_e32 vcc_lo, 1, v4
	s_waitcnt_depctr 0xfff
	v_fma_f32 v5, v5, v6, 1.0
	s_delay_alu instid0(VALU_DEP_1)
	v_rcp_f32_e32 v21, v5
	s_waitcnt_depctr 0xfff
	v_mov_b32_e32 v56, v21
	s_cbranch_vccnz .LBB280_18
; %bb.17:
	global_load_u16 v5, v3, s[6:7] offset:512
	s_waitcnt vmcnt(0)
	v_lshlrev_b32_e32 v5, 16, v5
	s_delay_alu instid0(VALU_DEP_1)
	v_add_f32_e32 v56, v21, v5
.LBB280_18:
	global_load_u16 v5, v[1:2], off offset:576
	s_waitcnt vmcnt(0)
	v_lshlrev_b32_e32 v5, 16, v5
	s_delay_alu instid0(VALU_DEP_1) | instskip(NEXT) | instid1(VALU_DEP_1)
	v_mul_f32_e32 v6, 0xbfb8aa3b, v5
	v_cmp_gt_f32_e32 vcc_lo, 0xc2fc0000, v6
	v_cndmask_b32_e64 v6, 0, 0x42800000, vcc_lo
	s_delay_alu instid0(VALU_DEP_1) | instskip(NEXT) | instid1(VALU_DEP_1)
	v_fmac_f32_e32 v6, 0xbfb8aa3b, v5
	v_exp_f32_e32 v5, v6
	v_cndmask_b32_e64 v6, 1.0, 0x1f800000, vcc_lo
	v_cmp_ne_u32_e32 vcc_lo, 1, v4
	s_waitcnt_depctr 0xfff
	v_fma_f32 v5, v5, v6, 1.0
	s_delay_alu instid0(VALU_DEP_1)
	v_rcp_f32_e32 v22, v5
	s_waitcnt_depctr 0xfff
	v_mov_b32_e32 v57, v22
	s_cbranch_vccnz .LBB280_20
; %bb.19:
	global_load_u16 v5, v3, s[6:7] offset:576
	s_waitcnt vmcnt(0)
	v_lshlrev_b32_e32 v5, 16, v5
	s_delay_alu instid0(VALU_DEP_1)
	v_add_f32_e32 v57, v22, v5
.LBB280_20:
	global_load_u16 v5, v[1:2], off offset:640
	s_waitcnt vmcnt(0)
	v_lshlrev_b32_e32 v5, 16, v5
	s_delay_alu instid0(VALU_DEP_1) | instskip(NEXT) | instid1(VALU_DEP_1)
	v_mul_f32_e32 v6, 0xbfb8aa3b, v5
	v_cmp_gt_f32_e32 vcc_lo, 0xc2fc0000, v6
	v_cndmask_b32_e64 v6, 0, 0x42800000, vcc_lo
	s_delay_alu instid0(VALU_DEP_1) | instskip(NEXT) | instid1(VALU_DEP_1)
	v_fmac_f32_e32 v6, 0xbfb8aa3b, v5
	v_exp_f32_e32 v5, v6
	v_cndmask_b32_e64 v6, 1.0, 0x1f800000, vcc_lo
	v_cmp_ne_u32_e32 vcc_lo, 1, v4
	s_waitcnt_depctr 0xfff
	v_fma_f32 v5, v5, v6, 1.0
	s_delay_alu instid0(VALU_DEP_1)
	v_rcp_f32_e32 v23, v5
	s_waitcnt_depctr 0xfff
	v_mov_b32_e32 v58, v23
	s_cbranch_vccnz .LBB280_22
; %bb.21:
	global_load_u16 v5, v3, s[6:7] offset:640
	s_waitcnt vmcnt(0)
	v_lshlrev_b32_e32 v5, 16, v5
	s_delay_alu instid0(VALU_DEP_1)
	v_add_f32_e32 v58, v23, v5
.LBB280_22:
	global_load_u16 v1, v[1:2], off offset:704
	s_waitcnt vmcnt(0)
	v_lshlrev_b32_e32 v1, 16, v1
	s_delay_alu instid0(VALU_DEP_1) | instskip(NEXT) | instid1(VALU_DEP_1)
	v_mul_f32_e32 v2, 0xbfb8aa3b, v1
	v_cmp_gt_f32_e32 vcc_lo, 0xc2fc0000, v2
	v_cndmask_b32_e64 v2, 0, 0x42800000, vcc_lo
	s_delay_alu instid0(VALU_DEP_1) | instskip(NEXT) | instid1(VALU_DEP_1)
	v_fmac_f32_e32 v2, 0xbfb8aa3b, v1
	v_exp_f32_e32 v1, v2
	v_cndmask_b32_e64 v2, 1.0, 0x1f800000, vcc_lo
	v_cmp_ne_u32_e32 vcc_lo, 1, v4
	s_waitcnt_depctr 0xfff
	v_fma_f32 v1, v1, v2, 1.0
	s_delay_alu instid0(VALU_DEP_1)
	v_rcp_f32_e32 v24, v1
	s_cbranch_vccnz .LBB280_24
; %bb.23:
	global_load_u16 v1, v3, s[6:7] offset:704
	s_waitcnt vmcnt(0)
	v_lshlrev_b32_e32 v1, 16, v1
	s_delay_alu instid0(VALU_DEP_1)
	v_add_f32_e32 v59, v24, v1
	s_branch .LBB280_25
.LBB280_24:
	s_waitcnt_depctr 0xfff
	v_mov_b32_e32 v59, v24
.LBB280_25:
	v_dual_mov_b32 v1, v48 :: v_dual_add_nc_u32 v26, 32, v0
	v_dual_mov_b32 v2, v49 :: v_dual_add_nc_u32 v27, 64, v0
	;; [unrolled: 1-line block ×11, first 2 shown]
	v_dual_mov_b32 v12, v59 :: v_dual_mov_b32 v13, v37
	v_mov_b32_e32 v25, v0
	s_mov_b32 s2, exec_lo
	v_cmpx_lt_f32_e32 v48, v49
	s_xor_b32 s2, exec_lo, s2
; %bb.26:
	v_dual_mov_b32 v1, v49 :: v_dual_mov_b32 v2, v48
	v_dual_mov_b32 v3, v50 :: v_dual_mov_b32 v4, v51
	;; [unrolled: 1-line block ×6, first 2 shown]
	v_mov_b32_e32 v49, v48
	v_dual_mov_b32 v13, v14 :: v_dual_mov_b32 v14, v37
	v_dual_mov_b32 v25, v26 :: v_dual_mov_b32 v26, v0
; %bb.27:
	s_or_b32 exec_lo, exec_lo, s2
	v_dual_mov_b32 v122, v24 :: v_dual_mov_b32 v119, v21
	v_dual_mov_b32 v86, v24 :: v_dual_mov_b32 v85, v23
	;; [unrolled: 1-line block ×37, first 2 shown]
	s_clause 0x8
	scratch_store_b128 off, v[13:16], off
	scratch_store_b128 off, v[17:20], off offset:16
	scratch_store_b128 off, v[21:24], off offset:32
	;; [unrolled: 1-line block ×8, first 2 shown]
	v_dual_mov_b32 v72, v34 :: v_dual_mov_b32 v69, v31
	v_dual_mov_b32 v70, v32 :: v_dual_mov_b32 v67, v29
	;; [unrolled: 1-line block ×29, first 2 shown]
	v_mov_b32_e32 v160, v26
	s_clause 0x2
	scratch_store_b128 off, v[25:28], off offset:144
	scratch_store_b128 off, v[29:32], off offset:160
	;; [unrolled: 1-line block ×3, first 2 shown]
	s_mov_b32 s2, exec_lo
	v_dual_mov_b32 v182, v36 :: v_dual_mov_b32 v179, v33
	v_dual_mov_b32 v181, v35 :: v_dual_mov_b32 v180, v34
	;; [unrolled: 1-line block ×6, first 2 shown]
	v_cmpx_lt_f32_e32 v49, v3
	s_cbranch_execz .LBB280_29
; %bb.28:
	v_dual_mov_b32 v182, v36 :: v_dual_mov_b32 v179, v33
	v_dual_mov_b32 v174, v28 :: v_dual_mov_b32 v171, v25
	;; [unrolled: 1-line block ×3, first 2 shown]
	v_mov_b32_e32 v172, v26
	v_dual_mov_b32 v62, v49 :: v_dual_mov_b32 v181, v35
	v_dual_mov_b32 v180, v34 :: v_dual_mov_b32 v177, v31
	;; [unrolled: 1-line block ×11, first 2 shown]
	v_mov_b32_e32 v125, v14
	v_dual_mov_b32 v162, v174 :: v_dual_mov_b32 v163, v175
	v_dual_mov_b32 v164, v176 :: v_dual_mov_b32 v165, v177
	;; [unrolled: 1-line block ×5, first 2 shown]
	v_mov_b32_e32 v162, v28
	v_dual_mov_b32 v170, v182 :: v_dual_mov_b32 v37, v159
	s_clause 0x2
	scratch_store_b128 off, v[123:126], off offset:96
	scratch_store_b128 off, v[127:130], off offset:112
	;; [unrolled: 1-line block ×3, first 2 shown]
	v_dual_mov_b32 v42, v164 :: v_dual_mov_b32 v47, v169
	v_dual_mov_b32 v126, v16 :: v_dual_mov_b32 v45, v167
	;; [unrolled: 1-line block ×5, first 2 shown]
	v_mov_b32_e32 v38, v160
	v_mov_b32_e32 v40, v162
	s_clause 0x2
	scratch_store_b128 off, v[37:40], off offset:144
	scratch_store_b128 off, v[41:44], off offset:160
	;; [unrolled: 1-line block ×3, first 2 shown]
	v_dual_mov_b32 v2, v3 :: v_dual_mov_b32 v3, v49
	v_mov_b32_e32 v147, v159
	v_mov_b32_e32 v127, v17
	;; [unrolled: 1-line block ×3, first 2 shown]
	v_dual_mov_b32 v151, v163 :: v_dual_mov_b32 v148, v160
	v_dual_mov_b32 v153, v165 :: v_dual_mov_b32 v152, v164
	;; [unrolled: 1-line block ×3, first 2 shown]
	v_mov_b32_e32 v158, v170
	v_dual_mov_b32 v150, v162 :: v_dual_mov_b32 v155, v167
	v_mov_b32_e32 v156, v168
	v_mov_b32_e32 v152, v30
	;; [unrolled: 1-line block ×3, first 2 shown]
	v_dual_mov_b32 v27, v26 :: v_dual_mov_b32 v42, v128
	v_mov_b32_e32 v37, v123
	v_dual_mov_b32 v43, v129 :: v_dual_mov_b32 v44, v130
	v_mov_b32_e32 v39, v125
	v_dual_mov_b32 v45, v131 :: v_dual_mov_b32 v46, v132
	v_dual_mov_b32 v47, v133 :: v_dual_mov_b32 v48, v134
	v_mov_b32_e32 v38, v124
	v_mov_b32_e32 v40, v126
	s_clause 0x2
	scratch_store_b128 off, v[37:40], off offset:48
	scratch_store_b128 off, v[41:44], off offset:64
	;; [unrolled: 1-line block ×3, first 2 shown]
	v_mov_b32_e32 v37, v123
	v_mov_b32_e32 v39, v125
	v_dual_mov_b32 v41, v127 :: v_dual_mov_b32 v38, v124
	v_mov_b32_e32 v99, v147
	v_mov_b32_e32 v105, v153
	v_dual_mov_b32 v105, v31 :: v_dual_mov_b32 v106, v154
	v_dual_mov_b32 v40, v126 :: v_dual_mov_b32 v101, v149
	;; [unrolled: 1-line block ×3, first 2 shown]
	v_mov_b32_e32 v110, v158
	v_mov_b32_e32 v50, v123
	v_dual_mov_b32 v100, v148 :: v_dual_mov_b32 v107, v155
	v_dual_mov_b32 v102, v150 :: v_dual_mov_b32 v109, v157
	;; [unrolled: 1-line block ×7, first 2 shown]
	v_mov_b32_e32 v58, v131
	v_mov_b32_e32 v56, v19
	s_clause 0x2
	scratch_store_b128 off, v[37:40], off
	scratch_store_b128 off, v[41:44], off offset:16
	scratch_store_b128 off, v[45:48], off offset:32
	v_dual_mov_b32 v60, v133 :: v_dual_mov_b32 v55, v128
	v_mov_b32_e32 v37, v99
	v_mov_b32_e32 v41, v103
	;; [unrolled: 1-line block ×3, first 2 shown]
	v_dual_mov_b32 v43, v105 :: v_dual_mov_b32 v48, v110
	v_dual_mov_b32 v38, v100 :: v_dual_mov_b32 v45, v107
	v_mov_b32_e32 v44, v106
	v_dual_mov_b32 v122, v61 :: v_dual_mov_b32 v113, v52
	v_dual_mov_b32 v40, v102 :: v_dual_mov_b32 v47, v109
	;; [unrolled: 1-line block ×7, first 2 shown]
	v_mov_b32_e32 v114, v53
	v_mov_b32_e32 v116, v55
	;; [unrolled: 1-line block ×4, first 2 shown]
	v_dual_mov_b32 v98, v48 :: v_dual_mov_b32 v95, v45
	v_mov_b32_e32 v95, v33
	v_mov_b32_e32 v93, v43
	;; [unrolled: 1-line block ×4, first 2 shown]
	v_dual_mov_b32 v87, v37 :: v_dual_mov_b32 v146, v122
	v_dual_mov_b32 v137, v113 :: v_dual_mov_b32 v96, v46
	;; [unrolled: 1-line block ×3, first 2 shown]
	v_mov_b32_e32 v135, v111
	v_dual_mov_b32 v97, v47 :: v_dual_mov_b32 v94, v44
	v_dual_mov_b32 v92, v42 :: v_dual_mov_b32 v143, v119
	;; [unrolled: 1-line block ×4, first 2 shown]
	v_mov_b32_e32 v138, v114
	v_dual_mov_b32 v142, v118 :: v_dual_mov_b32 v143, v21
	v_dual_mov_b32 v140, v116 :: v_dual_mov_b32 v63, v87
	;; [unrolled: 1-line block ×8, first 2 shown]
	v_mov_b32_e32 v86, v146
	v_dual_mov_b32 v64, v88 :: v_dual_mov_b32 v69, v93
	v_dual_mov_b32 v66, v90 :: v_dual_mov_b32 v71, v95
	;; [unrolled: 1-line block ×7, first 2 shown]
	v_mov_b32_e32 v82, v142
	v_mov_b32_e32 v84, v22
	;; [unrolled: 1-line block ×3, first 2 shown]
.LBB280_29:
	s_or_b32 exec_lo, exec_lo, s2
	v_mov_b32_e32 v13, v4
	s_mov_b32 s2, exec_lo
	v_cmpx_lt_f32_e32 v62, v4
	s_cbranch_execz .LBB280_31
; %bb.30:
	s_clause 0x2
	scratch_load_b128 v[37:40], off, off offset:96
	scratch_load_b128 v[41:44], off, off offset:112
	;; [unrolled: 1-line block ×3, first 2 shown]
	v_dual_mov_b32 v173, v28 :: v_dual_mov_b32 v28, v27
	v_mov_b32_e32 v3, v4
	s_waitcnt vmcnt(0)
	v_dual_mov_b32 v13, v62 :: v_dual_mov_b32 v134, v48
	v_dual_mov_b32 v133, v47 :: v_dual_mov_b32 v124, v38
	;; [unrolled: 1-line block ×3, first 2 shown]
	v_mov_b32_e32 v125, v16
	v_dual_mov_b32 v159, v171 :: v_dual_mov_b32 v160, v172
	s_delay_alu instid0(VALU_DEP_3) | instskip(NEXT) | instid1(VALU_DEP_3)
	v_dual_mov_b32 v162, v174 :: v_dual_mov_b32 v37, v123
	v_dual_mov_b32 v38, v124 :: v_dual_mov_b32 v39, v125
	;; [unrolled: 1-line block ×5, first 2 shown]
	v_mov_b32_e32 v126, v15
	s_clause 0x2
	scratch_store_b128 off, v[37:40], off offset:96
	scratch_store_b128 off, v[41:44], off offset:112
	;; [unrolled: 1-line block ×3, first 2 shown]
	v_dual_mov_b32 v161, v173 :: v_dual_mov_b32 v164, v176
	v_dual_mov_b32 v167, v179 :: v_dual_mov_b32 v170, v182
	;; [unrolled: 1-line block ×5, first 2 shown]
	s_delay_alu instid0(VALU_DEP_2) | instskip(SKIP_2) | instid1(VALU_DEP_4)
	v_dual_mov_b32 v42, v164 :: v_dual_mov_b32 v43, v165
	v_dual_mov_b32 v48, v170 :: v_dual_mov_b32 v37, v159
	;; [unrolled: 1-line block ×6, first 2 shown]
	s_clause 0x2
	scratch_store_b128 off, v[37:40], off offset:144
	scratch_store_b128 off, v[41:44], off offset:160
	;; [unrolled: 1-line block ×3, first 2 shown]
	v_dual_mov_b32 v42, v128 :: v_dual_mov_b32 v43, v129
	v_dual_mov_b32 v48, v134 :: v_dual_mov_b32 v37, v123
	;; [unrolled: 1-line block ×6, first 2 shown]
	s_clause 0x2
	scratch_store_b128 off, v[37:40], off offset:48
	scratch_store_b128 off, v[41:44], off offset:64
	;; [unrolled: 1-line block ×3, first 2 shown]
	v_dual_mov_b32 v147, v159 :: v_dual_mov_b32 v148, v160
	v_dual_mov_b32 v151, v163 :: v_dual_mov_b32 v152, v164
	;; [unrolled: 1-line block ×10, first 2 shown]
	s_delay_alu instid0(VALU_DEP_4)
	v_dual_mov_b32 v106, v154 :: v_dual_mov_b32 v107, v155
	v_mov_b32_e32 v110, v158
	v_dual_mov_b32 v100, v148 :: v_dual_mov_b32 v101, v149
	v_dual_mov_b32 v104, v152 :: v_dual_mov_b32 v105, v153
	;; [unrolled: 1-line block ×5, first 2 shown]
	v_mov_b32_e32 v61, v134
	s_clause 0x2
	scratch_store_b128 off, v[37:40], off
	scratch_store_b128 off, v[41:44], off offset:16
	scratch_store_b128 off, v[45:48], off offset:32
	v_dual_mov_b32 v54, v127 :: v_dual_mov_b32 v55, v128
	v_dual_mov_b32 v56, v129 :: v_dual_mov_b32 v57, v130
	;; [unrolled: 1-line block ×8, first 2 shown]
	v_mov_b32_e32 v48, v110
	v_mov_b32_e32 v44, v32
	v_dual_mov_b32 v42, v104 :: v_dual_mov_b32 v43, v105
	v_dual_mov_b32 v46, v108 :: v_dual_mov_b32 v47, v109
	;; [unrolled: 1-line block ×9, first 2 shown]
	v_mov_b32_e32 v114, v53
	v_mov_b32_e32 v112, v51
	v_dual_mov_b32 v98, v48 :: v_dual_mov_b32 v91, v41
	v_dual_mov_b32 v94, v44 :: v_dual_mov_b32 v87, v37
	;; [unrolled: 1-line block ×3, first 2 shown]
	v_mov_b32_e32 v89, v39
	v_mov_b32_e32 v95, v45
	v_dual_mov_b32 v93, v43 :: v_dual_mov_b32 v146, v122
	v_dual_mov_b32 v143, v119 :: v_dual_mov_b32 v140, v116
	;; [unrolled: 1-line block ×15, first 2 shown]
	v_mov_b32_e32 v86, v146
	v_dual_mov_b32 v64, v88 :: v_dual_mov_b32 v65, v89
	v_dual_mov_b32 v66, v90 :: v_dual_mov_b32 v67, v91
	;; [unrolled: 1-line block ×8, first 2 shown]
	v_mov_b32_e32 v84, v22
	v_mov_b32_e32 v86, v24
.LBB280_31:
	s_or_b32 exec_lo, exec_lo, s2
	v_mov_b32_e32 v14, v5
	s_mov_b32 s2, exec_lo
	v_cmpx_lt_f32_e32 v13, v5
	s_cbranch_execz .LBB280_33
; %bb.32:
	s_clause 0x2
	scratch_load_b128 v[37:40], off, off offset:96
	scratch_load_b128 v[41:44], off, off offset:112
	;; [unrolled: 1-line block ×3, first 2 shown]
	v_mov_b32_e32 v174, v29
	v_mov_b32_e32 v14, v13
	;; [unrolled: 1-line block ×3, first 2 shown]
	v_dual_mov_b32 v17, v16 :: v_dual_mov_b32 v4, v5
	v_mov_b32_e32 v29, v28
	s_waitcnt vmcnt(0)
	v_dual_mov_b32 v73, v48 :: v_dual_mov_b32 v64, v39
	v_dual_mov_b32 v70, v45 :: v_dual_mov_b32 v69, v44
	;; [unrolled: 1-line block ×18, first 2 shown]
	v_mov_b32_e32 v127, v16
	v_dual_mov_b32 v147, v159 :: v_dual_mov_b32 v148, v160
	v_dual_mov_b32 v149, v161 :: v_dual_mov_b32 v152, v164
	v_dual_mov_b32 v153, v165 :: v_dual_mov_b32 v156, v168
	v_dual_mov_b32 v155, v167 :: v_dual_mov_b32 v158, v170
	v_dual_mov_b32 v157, v169 :: v_dual_mov_b32 v152, v30
	v_dual_mov_b32 v151, v163 :: v_dual_mov_b32 v154, v166
	v_dual_mov_b32 v150, v162 :: v_dual_mov_b32 v43, v129
	v_dual_mov_b32 v44, v130 :: v_dual_mov_b32 v37, v123
	v_dual_mov_b32 v38, v124 :: v_dual_mov_b32 v45, v131
	v_dual_mov_b32 v46, v132 :: v_dual_mov_b32 v47, v133
	v_dual_mov_b32 v48, v134 :: v_dual_mov_b32 v39, v125
	v_dual_mov_b32 v40, v126 :: v_dual_mov_b32 v41, v127
	v_dual_mov_b32 v128, v18 :: v_dual_mov_b32 v99, v147
	v_dual_mov_b32 v100, v148 :: v_dual_mov_b32 v105, v153
	v_dual_mov_b32 v106, v154 :: v_dual_mov_b32 v109, v157
	v_dual_mov_b32 v110, v158 :: v_dual_mov_b32 v103, v151
	v_dual_mov_b32 v104, v152 :: v_dual_mov_b32 v105, v31
	v_dual_mov_b32 v5, v13 :: v_dual_mov_b32 v50, v123
	v_dual_mov_b32 v107, v155 :: v_dual_mov_b32 v108, v156
	v_mov_b32_e32 v61, v134
	s_clause 0x2
	scratch_store_b128 off, v[37:40], off
	scratch_store_b128 off, v[41:44], off offset:16
	scratch_store_b128 off, v[45:48], off offset:32
	v_dual_mov_b32 v53, v126 :: v_dual_mov_b32 v54, v127
	v_dual_mov_b32 v101, v149 :: v_dual_mov_b32 v102, v150
	v_dual_mov_b32 v55, v128 :: v_dual_mov_b32 v56, v129
	v_dual_mov_b32 v57, v130 :: v_dual_mov_b32 v58, v131
	v_dual_mov_b32 v59, v132 :: v_dual_mov_b32 v60, v133
	v_dual_mov_b32 v37, v99 :: v_dual_mov_b32 v38, v100
	v_dual_mov_b32 v51, v124 :: v_dual_mov_b32 v52, v125
	v_dual_mov_b32 v56, v19 :: v_dual_mov_b32 v47, v109
	v_dual_mov_b32 v48, v110 :: v_dual_mov_b32 v41, v103
	v_dual_mov_b32 v42, v104 :: v_dual_mov_b32 v45, v107
	v_mov_b32_e32 v46, v108
	v_dual_mov_b32 v122, v61 :: v_dual_mov_b32 v121, v60
	v_dual_mov_b32 v43, v105 :: v_dual_mov_b32 v44, v106
	;; [unrolled: 1-line block ×8, first 2 shown]
	v_mov_b32_e32 v112, v51
	v_mov_b32_e32 v118, v20
	v_dual_mov_b32 v98, v48 :: v_dual_mov_b32 v93, v43
	v_dual_mov_b32 v92, v42 :: v_dual_mov_b32 v87, v37
	v_mov_b32_e32 v97, v47
	v_dual_mov_b32 v95, v45 :: v_dual_mov_b32 v146, v122
	v_dual_mov_b32 v143, v119 :: v_dual_mov_b32 v138, v114
	;; [unrolled: 1-line block ×7, first 2 shown]
	v_mov_b32_e32 v89, v39
	s_clause 0x5
	scratch_store_b128 off, v[62:65], off offset:48
	scratch_store_b128 off, v[66:69], off offset:64
	scratch_store_b128 off, v[70:73], off offset:80
	scratch_store_b128 off, v[171:174], off offset:144
	scratch_store_b128 off, v[175:178], off offset:160
	scratch_store_b128 off, v[179:182], off offset:176
	v_dual_mov_b32 v142, v118 :: v_dual_mov_b32 v139, v115
	v_dual_mov_b32 v140, v116 :: v_dual_mov_b32 v137, v113
	;; [unrolled: 1-line block ×17, first 2 shown]
	v_mov_b32_e32 v84, v22
	v_mov_b32_e32 v86, v24
.LBB280_33:
	s_or_b32 exec_lo, exec_lo, s2
	v_mov_b32_e32 v13, v6
	s_mov_b32 s2, exec_lo
	v_cmpx_lt_f32_e32 v14, v6
	s_cbranch_execz .LBB280_35
; %bb.34:
	s_clause 0x2
	scratch_load_b128 v[37:40], off, off offset:144
	scratch_load_b128 v[41:44], off, off offset:160
	;; [unrolled: 1-line block ×3, first 2 shown]
	v_mov_b32_e32 v5, v6
	s_waitcnt vmcnt(0)
	v_dual_mov_b32 v13, v14 :: v_dual_mov_b32 v170, v48
	v_dual_mov_b32 v169, v47 :: v_dual_mov_b32 v162, v40
	;; [unrolled: 1-line block ×6, first 2 shown]
	s_clause 0x2
	scratch_load_b128 v[37:40], off, off offset:48
	scratch_load_b128 v[41:44], off, off offset:64
	;; [unrolled: 1-line block ×3, first 2 shown]
	v_dual_mov_b32 v163, v30 :: v_dual_mov_b32 v30, v29
	s_waitcnt vmcnt(0)
	v_dual_mov_b32 v73, v48 :: v_dual_mov_b32 v72, v47
	v_dual_mov_b32 v65, v40 :: v_dual_mov_b32 v62, v37
	v_mov_b32_e32 v63, v38
	v_dual_mov_b32 v67, v42 :: v_dual_mov_b32 v64, v39
	v_dual_mov_b32 v71, v46 :: v_dual_mov_b32 v70, v45
	;; [unrolled: 1-line block ×4, first 2 shown]
	v_mov_b32_e32 v148, v160
	v_dual_mov_b32 v134, v73 :: v_dual_mov_b32 v133, v72
	v_dual_mov_b32 v124, v63 :: v_dual_mov_b32 v123, v62
	;; [unrolled: 1-line block ×11, first 2 shown]
	v_mov_b32_e32 v128, v17
	v_mov_b32_e32 v152, v29
	v_dual_mov_b32 v50, v123 :: v_dual_mov_b32 v51, v124
	v_mov_b32_e32 v99, v147
	s_delay_alu instid0(VALU_DEP_3)
	v_dual_mov_b32 v53, v126 :: v_dual_mov_b32 v104, v152
	v_dual_mov_b32 v105, v153 :: v_dual_mov_b32 v100, v148
	;; [unrolled: 1-line block ×7, first 2 shown]
	v_mov_b32_e32 v57, v130
	v_dual_mov_b32 v102, v150 :: v_dual_mov_b32 v103, v151
	v_dual_mov_b32 v108, v156 :: v_dual_mov_b32 v109, v157
	;; [unrolled: 1-line block ×3, first 2 shown]
	v_mov_b32_e32 v58, v131
	v_mov_b32_e32 v56, v19
	v_dual_mov_b32 v37, v99 :: v_dual_mov_b32 v38, v100
	v_mov_b32_e32 v39, v101
	v_dual_mov_b32 v43, v105 :: v_dual_mov_b32 v48, v110
	s_delay_alu instid0(VALU_DEP_4)
	v_dual_mov_b32 v122, v61 :: v_dual_mov_b32 v117, v56
	v_dual_mov_b32 v42, v104 :: v_dual_mov_b32 v45, v107
	;; [unrolled: 1-line block ×9, first 2 shown]
	v_mov_b32_e32 v118, v20
	v_mov_b32_e32 v44, v32
	;; [unrolled: 1-line block ×3, first 2 shown]
	v_dual_mov_b32 v98, v48 :: v_dual_mov_b32 v95, v45
	v_dual_mov_b32 v146, v122 :: v_dual_mov_b32 v145, v121
	s_delay_alu instid0(VALU_DEP_4)
	v_dual_mov_b32 v94, v44 :: v_dual_mov_b32 v87, v37
	v_dual_mov_b32 v97, v47 :: v_dual_mov_b32 v144, v120
	;; [unrolled: 1-line block ×5, first 2 shown]
	v_mov_b32_e32 v93, v43
	v_dual_mov_b32 v91, v41 :: v_dual_mov_b32 v90, v40
	v_dual_mov_b32 v141, v117 :: v_dual_mov_b32 v88, v38
	;; [unrolled: 1-line block ×6, first 2 shown]
	s_clause 0x2
	scratch_store_b128 off, v[62:65], off
	scratch_store_b128 off, v[66:69], off offset:16
	scratch_store_b128 off, v[70:73], off offset:32
	v_dual_mov_b32 v63, v87 :: v_dual_mov_b32 v74, v98
	v_dual_mov_b32 v75, v135 :: v_dual_mov_b32 v72, v96
	;; [unrolled: 1-line block ×14, first 2 shown]
	v_mov_b32_e32 v84, v22
	v_mov_b32_e32 v86, v24
	;; [unrolled: 1-line block ×3, first 2 shown]
.LBB280_35:
	s_or_b32 exec_lo, exec_lo, s2
	v_mov_b32_e32 v14, v7
	s_mov_b32 s2, exec_lo
	v_cmpx_lt_f32_e32 v13, v7
	s_cbranch_execz .LBB280_37
; %bb.36:
	s_clause 0x2
	scratch_load_b128 v[37:40], off, off
	scratch_load_b128 v[41:44], off, off offset:16
	scratch_load_b128 v[45:48], off, off offset:32
	v_mov_b32_e32 v164, v31
	v_dual_mov_b32 v14, v13 :: v_dual_mov_b32 v31, v30
	s_waitcnt vmcnt(0)
	v_dual_mov_b32 v134, v48 :: v_dual_mov_b32 v133, v47
	v_dual_mov_b32 v130, v44 :: v_dual_mov_b32 v127, v41
	v_dual_mov_b32 v124, v38 :: v_dual_mov_b32 v123, v37
	v_dual_mov_b32 v131, v45 :: v_dual_mov_b32 v132, v46
	v_dual_mov_b32 v129, v43 :: v_dual_mov_b32 v126, v40
	v_mov_b32_e32 v125, v39
	v_dual_mov_b32 v99, v159 :: v_dual_mov_b32 v100, v160
	v_dual_mov_b32 v128, v19 :: v_dual_mov_b32 v101, v161
	v_mov_b32_e32 v110, v170
	v_dual_mov_b32 v50, v123 :: v_dual_mov_b32 v53, v126
	v_dual_mov_b32 v106, v166 :: v_dual_mov_b32 v107, v167
	;; [unrolled: 1-line block ×19, first 2 shown]
	v_mov_b32_e32 v47, v109
	v_dual_mov_b32 v114, v53 :: v_dual_mov_b32 v111, v50
	v_mov_b32_e32 v118, v20
	v_dual_mov_b32 v120, v59 :: v_dual_mov_b32 v117, v56
	v_dual_mov_b32 v116, v55 :: v_dual_mov_b32 v113, v52
	v_mov_b32_e32 v44, v32
	v_mov_b32_e32 v112, v51
	v_dual_mov_b32 v98, v48 :: v_dual_mov_b32 v95, v45
	v_dual_mov_b32 v146, v122 :: v_dual_mov_b32 v145, v121
	;; [unrolled: 1-line block ×8, first 2 shown]
	v_mov_b32_e32 v89, v39
	v_dual_mov_b32 v93, v43 :: v_dual_mov_b32 v88, v38
	v_dual_mov_b32 v141, v117 :: v_dual_mov_b32 v140, v116
	v_mov_b32_e32 v95, v33
	v_dual_mov_b32 v139, v115 :: v_dual_mov_b32 v138, v114
	v_dual_mov_b32 v143, v21 :: v_dual_mov_b32 v136, v112
	;; [unrolled: 1-line block ×24, first 2 shown]
	v_mov_b32_e32 v158, v170
.LBB280_37:
	s_or_b32 exec_lo, exec_lo, s2
	v_mov_b32_e32 v13, v8
	s_mov_b32 s2, exec_lo
	v_cmpx_lt_f32_e32 v14, v8
	s_cbranch_execz .LBB280_39
; %bb.38:
	v_mov_b32_e32 v129, v20
	v_mov_b32_e32 v153, v32
	v_dual_mov_b32 v111, v123 :: v_dual_mov_b32 v114, v126
	v_dual_mov_b32 v37, v147 :: v_dual_mov_b32 v38, v148
	;; [unrolled: 1-line block ×10, first 2 shown]
	v_mov_b32_e32 v120, v132
	v_dual_mov_b32 v116, v128 :: v_dual_mov_b32 v121, v133
	v_mov_b32_e32 v44, v31
	v_dual_mov_b32 v119, v131 :: v_dual_mov_b32 v98, v48
	v_dual_mov_b32 v118, v19 :: v_dual_mov_b32 v95, v45
	v_dual_mov_b32 v88, v38 :: v_dual_mov_b32 v87, v37
	v_dual_mov_b32 v146, v122 :: v_dual_mov_b32 v145, v121
	v_dual_mov_b32 v136, v112 :: v_dual_mov_b32 v135, v111
	v_dual_mov_b32 v97, v47 :: v_dual_mov_b32 v96, v46
	v_dual_mov_b32 v94, v44 :: v_dual_mov_b32 v93, v43
	v_dual_mov_b32 v92, v42 :: v_dual_mov_b32 v91, v41
	v_dual_mov_b32 v144, v120 :: v_dual_mov_b32 v143, v119
	v_dual_mov_b32 v142, v118 :: v_dual_mov_b32 v141, v117
	v_dual_mov_b32 v140, v116 :: v_dual_mov_b32 v139, v115
	v_dual_mov_b32 v90, v40 :: v_dual_mov_b32 v89, v39
	v_dual_mov_b32 v138, v114 :: v_dual_mov_b32 v137, v113
	v_mov_b32_e32 v95, v33
	v_dual_mov_b32 v7, v8 :: v_dual_mov_b32 v8, v14
	v_mov_b32_e32 v143, v21
	v_dual_mov_b32 v63, v87 :: v_dual_mov_b32 v68, v92
	v_dual_mov_b32 v64, v88 :: v_dual_mov_b32 v75, v135
	v_dual_mov_b32 v80, v140 :: v_dual_mov_b32 v67, v91
	v_dual_mov_b32 v72, v96 :: v_dual_mov_b32 v69, v93
	v_dual_mov_b32 v74, v98 :: v_dual_mov_b32 v73, v97
	v_dual_mov_b32 v78, v138 :: v_dual_mov_b32 v79, v139
	v_dual_mov_b32 v84, v144 :: v_dual_mov_b32 v81, v141
	v_dual_mov_b32 v86, v146 :: v_dual_mov_b32 v85, v145
	v_mov_b32_e32 v74, v36
	v_dual_mov_b32 v50, v123 :: v_dual_mov_b32 v51, v124
	v_dual_mov_b32 v99, v147 :: v_dual_mov_b32 v100, v148
	v_dual_mov_b32 v65, v89 :: v_dual_mov_b32 v70, v94
	v_dual_mov_b32 v66, v90 :: v_dual_mov_b32 v71, v95
	v_dual_mov_b32 v76, v136 :: v_dual_mov_b32 v77, v137
	v_dual_mov_b32 v82, v142 :: v_dual_mov_b32 v83, v143
	v_dual_mov_b32 v72, v34 :: v_dual_mov_b32 v73, v35
	;; [unrolled: 9-line block ×3, first 2 shown]
	v_dual_mov_b32 v105, v153 :: v_dual_mov_b32 v106, v154
	v_dual_mov_b32 v107, v155 :: v_dual_mov_b32 v108, v156
	;; [unrolled: 1-line block ×4, first 2 shown]
	v_mov_b32_e32 v32, v31
.LBB280_39:
	s_or_b32 exec_lo, exec_lo, s2
	v_mov_b32_e32 v14, v9
	s_mov_b32 s2, exec_lo
	v_cmpx_lt_f32_e32 v13, v9
	s_cbranch_execz .LBB280_41
; %bb.40:
	v_mov_b32_e32 v57, v21
	v_mov_b32_e32 v106, v33
	v_dual_mov_b32 v146, v61 :: v_dual_mov_b32 v145, v60
	v_dual_mov_b32 v87, v99 :: v_dual_mov_b32 v90, v102
	v_mov_b32_e32 v88, v100
	v_dual_mov_b32 v136, v51 :: v_dual_mov_b32 v135, v50
	v_dual_mov_b32 v91, v103 :: v_dual_mov_b32 v94, v106
	;; [unrolled: 1-line block ×7, first 2 shown]
	v_mov_b32_e32 v139, v54
	v_dual_mov_b32 v89, v101 :: v_dual_mov_b32 v92, v104
	v_dual_mov_b32 v138, v53 :: v_dual_mov_b32 v137, v52
	;; [unrolled: 1-line block ×3, first 2 shown]
	v_mov_b32_e32 v143, v20
	s_delay_alu instid0(VALU_DEP_4)
	v_dual_mov_b32 v63, v87 :: v_dual_mov_b32 v68, v92
	v_dual_mov_b32 v66, v90 :: v_dual_mov_b32 v75, v135
	;; [unrolled: 1-line block ×8, first 2 shown]
	v_mov_b32_e32 v74, v36
	v_dual_mov_b32 v122, v61 :: v_dual_mov_b32 v121, v60
	v_dual_mov_b32 v37, v99 :: v_dual_mov_b32 v38, v100
	;; [unrolled: 1-line block ×20, first 2 shown]
	v_mov_b32_e32 v33, v32
.LBB280_41:
	s_or_b32 exec_lo, exec_lo, s2
	v_mov_b32_e32 v15, v10
	s_mov_b32 s2, exec_lo
	v_cmpx_lt_f32_e32 v14, v10
	s_cbranch_execz .LBB280_43
; %bb.42:
	v_mov_b32_e32 v45, v34
	v_dual_mov_b32 v9, v10 :: v_dual_mov_b32 v74, v48
	v_mov_b32_e32 v72, v46
	v_mov_b32_e32 v72, v33
	s_delay_alu instid0(VALU_DEP_4) | instskip(SKIP_4) | instid1(VALU_DEP_4)
	v_mov_b32_e32 v71, v45
	v_dual_mov_b32 v119, v22 :: v_dual_mov_b32 v70, v44
	v_dual_mov_b32 v75, v111 :: v_dual_mov_b32 v78, v114
	v_dual_mov_b32 v10, v14 :: v_dual_mov_b32 v73, v47
	v_dual_mov_b32 v81, v117 :: v_dual_mov_b32 v84, v120
	v_dual_mov_b32 v83, v119 :: v_dual_mov_b32 v86, v122
	v_dual_mov_b32 v85, v121 :: v_dual_mov_b32 v86, v24
	v_dual_mov_b32 v146, v122 :: v_dual_mov_b32 v145, v121
	v_dual_mov_b32 v98, v48 :: v_dual_mov_b32 v97, v47
	v_dual_mov_b32 v69, v43 :: v_dual_mov_b32 v68, v42
	v_dual_mov_b32 v67, v41 :: v_dual_mov_b32 v66, v40
	v_dual_mov_b32 v65, v39 :: v_dual_mov_b32 v64, v38
	v_dual_mov_b32 v63, v37 :: v_dual_mov_b32 v74, v36
	v_dual_mov_b32 v73, v35 :: v_dual_mov_b32 v76, v112
	v_dual_mov_b32 v77, v113 :: v_dual_mov_b32 v80, v116
	v_dual_mov_b32 v79, v115 :: v_dual_mov_b32 v82, v118
	v_dual_mov_b32 v84, v21 :: v_dual_mov_b32 v85, v23
	v_dual_mov_b32 v144, v120 :: v_dual_mov_b32 v143, v119
	v_dual_mov_b32 v142, v118 :: v_dual_mov_b32 v141, v117
	v_dual_mov_b32 v140, v116 :: v_dual_mov_b32 v139, v115
	v_dual_mov_b32 v138, v114 :: v_dual_mov_b32 v137, v113
	v_dual_mov_b32 v136, v112 :: v_dual_mov_b32 v135, v111
	v_dual_mov_b32 v96, v46 :: v_dual_mov_b32 v95, v45
	v_dual_mov_b32 v94, v44 :: v_dual_mov_b32 v93, v43
	v_dual_mov_b32 v92, v42 :: v_dual_mov_b32 v91, v41
	v_dual_mov_b32 v90, v40 :: v_dual_mov_b32 v89, v39
	v_dual_mov_b32 v88, v38 :: v_dual_mov_b32 v87, v37
	v_dual_mov_b32 v15, v14 :: v_dual_mov_b32 v22, v21
	v_mov_b32_e32 v34, v33
.LBB280_43:
	s_or_b32 exec_lo, exec_lo, s2
	v_mov_b32_e32 v13, v11
	s_mov_b32 s2, exec_lo
	v_cmpx_lt_f32_e32 v15, v11
	s_cbranch_execz .LBB280_45
; %bb.44:
	v_dual_mov_b32 v144, v23 :: v_dual_mov_b32 v145, v22
	v_dual_mov_b32 v96, v35 :: v_dual_mov_b32 v97, v34
	v_mov_b32_e32 v146, v24
	v_mov_b32_e32 v10, v11
	v_dual_mov_b32 v11, v15 :: v_dual_mov_b32 v98, v36
	v_dual_mov_b32 v75, v135 :: v_dual_mov_b32 v84, v144
	;; [unrolled: 1-line block ×3, first 2 shown]
	v_mov_b32_e32 v79, v139
	v_dual_mov_b32 v77, v137 :: v_dual_mov_b32 v78, v138
	v_dual_mov_b32 v81, v141 :: v_dual_mov_b32 v80, v140
	;; [unrolled: 1-line block ×10, first 2 shown]
.LBB280_45:
	s_or_b32 exec_lo, exec_lo, s2
	s_delay_alu instid0(VALU_DEP_1)
	v_cmp_lt_f32_e32 vcc_lo, v13, v12
	v_cmp_lt_f32_e64 s2, v1, v2
	v_dual_mov_b32 v40, v76 :: v_dual_mov_b32 v41, v77
	v_dual_mov_b32 v43, v79 :: v_dual_mov_b32 v44, v80
	v_dual_cndmask_b32 v23, v12, v13 :: v_dual_mov_b32 v42, v78
	v_dual_cndmask_b32 v11, v11, v12 :: v_dual_cndmask_b32 v62, v74, v73
	s_delay_alu instid0(VALU_DEP_2) | instskip(SKIP_3) | instid1(VALU_DEP_4)
	v_dual_cndmask_b32 v49, v85, v86 :: v_dual_mov_b32 v12, v23
	v_dual_cndmask_b32 v61, v73, v74 :: v_dual_cndmask_b32 v50, v86, v85
	v_mov_b32_e32 v39, v75
	v_dual_mov_b32 v45, v81 :: v_dual_mov_b32 v48, v84
	v_dual_mov_b32 v38, v12 :: v_dual_mov_b32 v37, v11
	;; [unrolled: 1-line block ×13, first 2 shown]
	s_and_saveexec_b32 s3, s2
	s_delay_alu instid0(SALU_CYCLE_1)
	s_xor_b32 s2, exec_lo, s3
	s_cbranch_execz .LBB280_47
; %bb.46:
	v_dual_mov_b32 v12, v2 :: v_dual_mov_b32 v13, v1
	v_dual_mov_b32 v14, v3 :: v_dual_mov_b32 v15, v4
	;; [unrolled: 1-line block ×6, first 2 shown]
	s_delay_alu instid0(VALU_DEP_2) | instskip(NEXT) | instid1(VALU_DEP_2)
	v_dual_mov_b32 v38, v23 :: v_dual_mov_b32 v35, v20
	v_dual_mov_b32 v36, v21 :: v_dual_mov_b32 v37, v22
	;; [unrolled: 1-line block ×15, first 2 shown]
	v_mov_b32_e32 v58, v70
	v_mov_b32_e32 v60, v72
.LBB280_47:
	s_or_b32 exec_lo, exec_lo, s2
	v_dual_mov_b32 v1, v29 :: v_dual_mov_b32 v122, v50
	v_dual_mov_b32 v15, v39 :: v_dual_mov_b32 v16, v40
	;; [unrolled: 1-line block ×30, first 2 shown]
	v_mov_b32_e32 v135, v39
	s_clause 0x2
	scratch_store_b128 off, v[39:42], off offset:48
	scratch_store_b128 off, v[43:46], off offset:64
	;; [unrolled: 1-line block ×3, first 2 shown]
	v_dual_mov_b32 v3, v51 :: v_dual_mov_b32 v6, v54
	v_dual_mov_b32 v13, v61 :: v_dual_mov_b32 v74, v62
	;; [unrolled: 1-line block ×34, first 2 shown]
	v_mov_b32_e32 v159, v51
	s_mov_b32 s2, exec_lo
	v_dual_mov_b32 v73, v61 :: v_dual_mov_b32 v72, v60
	v_mov_b32_e32 v4, v52
	s_clause 0x2
	scratch_store_b128 off, v[51:54], off
	scratch_store_b128 off, v[55:58], off offset:16
	scratch_store_b128 off, v[59:62], off offset:32
	v_dual_mov_b32 v182, v50 :: v_dual_mov_b32 v181, v49
	v_dual_mov_b32 v180, v48 :: v_dual_mov_b32 v179, v47
	;; [unrolled: 1-line block ×6, first 2 shown]
	v_cmpx_lt_f32_e32 v2, v29
	s_cbranch_execz .LBB280_49
; %bb.48:
	v_dual_mov_b32 v170, v62 :: v_dual_mov_b32 v169, v61
	v_dual_mov_b32 v162, v54 :: v_dual_mov_b32 v161, v53
	;; [unrolled: 1-line block ×7, first 2 shown]
	s_clause 0x2
	scratch_store_b128 off, v[159:162], off
	scratch_store_b128 off, v[163:166], off offset:16
	scratch_store_b128 off, v[167:170], off offset:32
	v_dual_mov_b32 v182, v50 :: v_dual_mov_b32 v181, v49
	v_dual_mov_b32 v172, v40 :: v_dual_mov_b32 v171, v39
	;; [unrolled: 1-line block ×8, first 2 shown]
	s_delay_alu instid0(VALU_DEP_3)
	v_dual_mov_b32 v140, v176 :: v_dual_mov_b32 v141, v177
	v_dual_mov_b32 v138, v174 :: v_dual_mov_b32 v139, v175
	;; [unrolled: 1-line block ×3, first 2 shown]
	v_mov_b32_e32 v146, v182
	v_dual_mov_b32 v136, v172 :: v_dual_mov_b32 v137, v173
	v_mov_b32_e32 v138, v42
	v_dual_mov_b32 v142, v178 :: v_dual_mov_b32 v143, v179
	v_mov_b32_e32 v53, v52
	v_mov_b32_e32 v139, v43
	;; [unrolled: 1-line block ×3, first 2 shown]
	v_dual_mov_b32 v147, v159 :: v_dual_mov_b32 v148, v160
	v_mov_b32_e32 v151, v163
	v_dual_mov_b32 v149, v161 :: v_dual_mov_b32 v150, v162
	v_dual_mov_b32 v153, v165 :: v_dual_mov_b32 v152, v164
	;; [unrolled: 1-line block ×16, first 2 shown]
	v_mov_b32_e32 v122, v146
	v_dual_mov_b32 v114, v138 :: v_dual_mov_b32 v117, v141
	v_dual_mov_b32 v116, v140 :: v_dual_mov_b32 v119, v143
	;; [unrolled: 1-line block ×14, first 2 shown]
	v_mov_b32_e32 v82, v118
	v_dual_mov_b32 v76, v112 :: v_dual_mov_b32 v81, v117
	v_dual_mov_b32 v80, v116 :: v_dual_mov_b32 v85, v121
	;; [unrolled: 1-line block ×6, first 2 shown]
	v_mov_b32_e32 v81, v45
	v_dual_mov_b32 v65, v89 :: v_dual_mov_b32 v72, v96
	v_mov_b32_e32 v29, v2
	s_delay_alu instid0(VALU_DEP_3)
	v_dual_mov_b32 v110, v86 :: v_dual_mov_b32 v105, v81
	v_dual_mov_b32 v70, v94 :: v_dual_mov_b32 v73, v97
	;; [unrolled: 1-line block ×11, first 2 shown]
	v_mov_b32_e32 v106, v46
	s_clause 0x2
	scratch_store_b128 off, v[3:6], off offset:48
	scratch_store_b128 off, v[7:10], off offset:64
	scratch_store_b128 off, v[11:14], off offset:80
	v_dual_mov_b32 v100, v76 :: v_dual_mov_b32 v3, v63
	v_dual_mov_b32 v12, v72 :: v_dual_mov_b32 v5, v65
	;; [unrolled: 1-line block ×16, first 2 shown]
	v_mov_b32_e32 v26, v50
.LBB280_49:
	s_or_b32 exec_lo, exec_lo, s2
	v_mov_b32_e32 v2, v30
	s_mov_b32 s2, exec_lo
	v_cmpx_lt_f32_e32 v1, v30
	s_cbranch_execz .LBB280_51
; %bb.50:
	s_clause 0x2
	scratch_load_b128 v[2:5], off, off
	scratch_load_b128 v[6:9], off, off offset:16
	scratch_load_b128 v[10:13], off, off offset:32
	v_dual_mov_b32 v29, v30 :: v_dual_mov_b32 v30, v1
	v_dual_mov_b32 v161, v54 :: v_dual_mov_b32 v54, v53
	s_waitcnt vmcnt(0)
	v_dual_mov_b32 v170, v13 :: v_dual_mov_b32 v169, v12
	v_mov_b32_e32 v160, v3
	v_dual_mov_b32 v162, v5 :: v_dual_mov_b32 v159, v2
	v_dual_mov_b32 v173, v42 :: v_dual_mov_b32 v168, v11
	;; [unrolled: 1-line block ×3, first 2 shown]
	s_delay_alu instid0(VALU_DEP_3)
	v_dual_mov_b32 v165, v8 :: v_dual_mov_b32 v2, v159
	v_dual_mov_b32 v3, v160 :: v_dual_mov_b32 v4, v161
	;; [unrolled: 1-line block ×3, first 2 shown]
	s_clause 0x2
	scratch_store_b128 off, v[2:5], off
	scratch_store_b128 off, v[6:9], off offset:16
	scratch_store_b128 off, v[10:13], off offset:32
	v_dual_mov_b32 v162, v53 :: v_dual_mov_b32 v135, v171
	v_dual_mov_b32 v140, v176 :: v_dual_mov_b32 v141, v177
	;; [unrolled: 1-line block ×14, first 2 shown]
	v_mov_b32_e32 v137, v173
	v_dual_mov_b32 v123, v147 :: v_dual_mov_b32 v126, v150
	v_dual_mov_b32 v124, v148 :: v_dual_mov_b32 v111, v135
	s_delay_alu instid0(VALU_DEP_4)
	v_dual_mov_b32 v112, v136 :: v_dual_mov_b32 v125, v149
	v_dual_mov_b32 v128, v152 :: v_dual_mov_b32 v115, v139
	;; [unrolled: 1-line block ×7, first 2 shown]
	v_mov_b32_e32 v128, v56
	v_dual_mov_b32 v116, v44 :: v_dual_mov_b32 v87, v123
	v_dual_mov_b32 v113, v137 :: v_dual_mov_b32 v114, v138
	;; [unrolled: 1-line block ×21, first 2 shown]
	v_mov_b32_e32 v81, v45
	v_dual_mov_b32 v63, v87 :: v_dual_mov_b32 v66, v90
	v_mov_b32_e32 v64, v88
	v_dual_mov_b32 v110, v86 :: v_dual_mov_b32 v109, v85
	v_dual_mov_b32 v65, v89 :: v_dual_mov_b32 v68, v92
	v_dual_mov_b32 v67, v91 :: v_dual_mov_b32 v70, v94
	v_dual_mov_b32 v71, v95 :: v_dual_mov_b32 v74, v98
	v_dual_mov_b32 v104, v80 :: v_dual_mov_b32 v99, v75
	v_dual_mov_b32 v69, v93 :: v_dual_mov_b32 v72, v96
	v_dual_mov_b32 v73, v97 :: v_dual_mov_b32 v70, v58
	v_dual_mov_b32 v108, v84 :: v_dual_mov_b32 v105, v81
	v_dual_mov_b32 v106, v82 :: v_dual_mov_b32 v101, v77
	v_mov_b32_e32 v102, v78
	v_dual_mov_b32 v42, v41 :: v_dual_mov_b32 v103, v79
	v_mov_b32_e32 v100, v76
	v_mov_b32_e32 v106, v46
	s_clause 0x2
	scratch_store_b128 off, v[2:5], off offset:48
	scratch_store_b128 off, v[6:9], off offset:64
	scratch_store_b128 off, v[10:13], off offset:80
	v_dual_mov_b32 v2, v1 :: v_dual_mov_b32 v107, v83
	v_mov_b32_e32 v3, v63
	v_mov_b32_e32 v5, v65
	v_dual_mov_b32 v7, v67 :: v_dual_mov_b32 v14, v74
	v_dual_mov_b32 v15, v99 :: v_dual_mov_b32 v6, v66
	;; [unrolled: 1-line block ×14, first 2 shown]
	v_mov_b32_e32 v24, v48
	v_mov_b32_e32 v26, v50
.LBB280_51:
	s_or_b32 exec_lo, exec_lo, s2
	v_mov_b32_e32 v1, v31
	s_mov_b32 s2, exec_lo
	v_cmpx_lt_f32_e32 v2, v31
	s_cbranch_execz .LBB280_53
; %bb.52:
	s_clause 0x2
	scratch_load_b128 v[3:6], off, off
	scratch_load_b128 v[7:10], off, off offset:16
	scratch_load_b128 v[11:14], off, off offset:32
	v_dual_mov_b32 v30, v31 :: v_dual_mov_b32 v31, v2
	v_mov_b32_e32 v1, v2
	s_waitcnt vmcnt(0)
	v_dual_mov_b32 v170, v14 :: v_dual_mov_b32 v169, v13
	v_dual_mov_b32 v161, v5 :: v_dual_mov_b32 v160, v4
	;; [unrolled: 1-line block ×5, first 2 shown]
	v_mov_b32_e32 v174, v43
	v_mov_b32_e32 v159, v3
	;; [unrolled: 1-line block ×3, first 2 shown]
	v_dual_mov_b32 v135, v171 :: v_dual_mov_b32 v136, v172
	v_mov_b32_e32 v137, v173
	s_delay_alu instid0(VALU_DEP_4) | instskip(NEXT) | instid1(VALU_DEP_4)
	v_dual_mov_b32 v147, v159 :: v_dual_mov_b32 v148, v160
	v_dual_mov_b32 v149, v161 :: v_dual_mov_b32 v150, v162
	;; [unrolled: 1-line block ×10, first 2 shown]
	v_mov_b32_e32 v139, v42
	v_mov_b32_e32 v151, v54
	v_dual_mov_b32 v146, v182 :: v_dual_mov_b32 v123, v147
	v_dual_mov_b32 v111, v135 :: v_dual_mov_b32 v112, v136
	v_dual_mov_b32 v133, v157 :: v_dual_mov_b32 v134, v158
	s_delay_alu instid0(VALU_DEP_4)
	v_dual_mov_b32 v124, v148 :: v_dual_mov_b32 v127, v151
	v_dual_mov_b32 v128, v152 :: v_dual_mov_b32 v131, v155
	;; [unrolled: 1-line block ×9, first 2 shown]
	v_mov_b32_e32 v120, v144
	v_dual_mov_b32 v116, v44 :: v_dual_mov_b32 v87, v123
	v_mov_b32_e32 v114, v138
	v_dual_mov_b32 v98, v134 :: v_dual_mov_b32 v75, v111
	v_dual_mov_b32 v88, v124 :: v_dual_mov_b32 v89, v125
	;; [unrolled: 1-line block ×3, first 2 shown]
	v_mov_b32_e32 v86, v122
	v_dual_mov_b32 v90, v126 :: v_dual_mov_b32 v91, v127
	v_dual_mov_b32 v92, v128 :: v_dual_mov_b32 v93, v129
	;; [unrolled: 1-line block ×8, first 2 shown]
	v_mov_b32_e32 v79, v115
	v_mov_b32_e32 v81, v45
	v_dual_mov_b32 v63, v87 :: v_dual_mov_b32 v66, v90
	v_dual_mov_b32 v64, v88 :: v_dual_mov_b32 v73, v97
	v_dual_mov_b32 v110, v86 :: v_dual_mov_b32 v67, v91
	v_dual_mov_b32 v70, v94 :: v_dual_mov_b32 v71, v95
	v_dual_mov_b32 v74, v98 :: v_dual_mov_b32 v107, v83
	v_dual_mov_b32 v106, v82 :: v_dual_mov_b32 v99, v75
	v_dual_mov_b32 v70, v58 :: v_dual_mov_b32 v65, v89
	v_dual_mov_b32 v68, v92 :: v_dual_mov_b32 v69, v93
	v_dual_mov_b32 v72, v96 :: v_dual_mov_b32 v109, v85
	v_mov_b32_e32 v108, v84
	v_dual_mov_b32 v106, v46 :: v_dual_mov_b32 v3, v63
	v_dual_mov_b32 v105, v81 :: v_dual_mov_b32 v104, v80
	;; [unrolled: 1-line block ×19, first 2 shown]
	v_mov_b32_e32 v26, v50
	v_mov_b32_e32 v43, v42
	;; [unrolled: 1-line block ×3, first 2 shown]
	s_clause 0x2
	scratch_store_b128 off, v[171:174], off offset:48
	scratch_store_b128 off, v[175:178], off offset:64
	;; [unrolled: 1-line block ×3, first 2 shown]
.LBB280_53:
	s_or_b32 exec_lo, exec_lo, s2
	v_mov_b32_e32 v2, v32
	s_mov_b32 s2, exec_lo
	v_cmpx_lt_f32_e32 v1, v32
	s_cbranch_execz .LBB280_55
; %bb.54:
	s_clause 0x2
	scratch_load_b128 v[2:5], off, off offset:48
	scratch_load_b128 v[6:9], off, off offset:64
	;; [unrolled: 1-line block ×3, first 2 shown]
	v_dual_mov_b32 v163, v56 :: v_dual_mov_b32 v56, v55
	s_waitcnt vmcnt(0)
	v_dual_mov_b32 v31, v32 :: v_dual_mov_b32 v146, v13
	v_dual_mov_b32 v138, v5 :: v_dual_mov_b32 v137, v4
	;; [unrolled: 1-line block ×6, first 2 shown]
	v_mov_b32_e32 v139, v44
	v_dual_mov_b32 v123, v159 :: v_dual_mov_b32 v124, v160
	v_dual_mov_b32 v125, v161 :: v_dual_mov_b32 v128, v164
	;; [unrolled: 1-line block ×12, first 2 shown]
	v_mov_b32_e32 v120, v144
	v_mov_b32_e32 v116, v43
	v_dual_mov_b32 v87, v123 :: v_dual_mov_b32 v88, v124
	v_dual_mov_b32 v89, v125 :: v_dual_mov_b32 v98, v134
	;; [unrolled: 1-line block ×12, first 2 shown]
	v_mov_b32_e32 v79, v115
	v_mov_b32_e32 v81, v45
	v_dual_mov_b32 v63, v87 :: v_dual_mov_b32 v66, v90
	v_dual_mov_b32 v64, v88 :: v_dual_mov_b32 v73, v97
	;; [unrolled: 1-line block ×8, first 2 shown]
	v_mov_b32_e32 v70, v58
	v_dual_mov_b32 v106, v46 :: v_dual_mov_b32 v65, v89
	v_dual_mov_b32 v68, v92 :: v_dual_mov_b32 v105, v81
	;; [unrolled: 1-line block ×4, first 2 shown]
	v_mov_b32_e32 v100, v76
	v_dual_mov_b32 v32, v1 :: v_dual_mov_b32 v3, v63
	v_dual_mov_b32 v14, v74 :: v_dual_mov_b32 v15, v99
	v_mov_b32_e32 v26, v110
	v_dual_mov_b32 v10, v70 :: v_dual_mov_b32 v11, v71
	v_dual_mov_b32 v12, v72 :: v_dual_mov_b32 v13, v73
	;; [unrolled: 1-line block ×20, first 2 shown]
	v_mov_b32_e32 v2, v1
	v_mov_b32_e32 v44, v43
.LBB280_55:
	s_or_b32 exec_lo, exec_lo, s2
	v_mov_b32_e32 v1, v33
	s_mov_b32 s2, exec_lo
	v_cmpx_lt_f32_e32 v2, v33
	s_cbranch_execz .LBB280_57
; %bb.56:
	v_mov_b32_e32 v140, v45
	v_dual_mov_b32 v152, v57 :: v_dual_mov_b32 v75, v135
	v_dual_mov_b32 v87, v147 :: v_dual_mov_b32 v90, v150
	;; [unrolled: 1-line block ×3, first 2 shown]
	s_delay_alu instid0(VALU_DEP_3)
	v_dual_mov_b32 v92, v152 :: v_dual_mov_b32 v93, v153
	v_dual_mov_b32 v76, v136 :: v_dual_mov_b32 v79, v139
	;; [unrolled: 1-line block ×6, first 2 shown]
	v_mov_b32_e32 v93, v56
	v_dual_mov_b32 v84, v144 :: v_dual_mov_b32 v63, v87
	v_dual_mov_b32 v78, v138 :: v_dual_mov_b32 v81, v141
	;; [unrolled: 1-line block ×5, first 2 shown]
	s_delay_alu instid0(VALU_DEP_3) | instskip(SKIP_1) | instid1(VALU_DEP_4)
	v_dual_mov_b32 v110, v86 :: v_dual_mov_b32 v109, v85
	v_dual_mov_b32 v100, v76 :: v_dual_mov_b32 v99, v75
	;; [unrolled: 1-line block ×11, first 2 shown]
	v_mov_b32_e32 v106, v46
	v_dual_mov_b32 v70, v58 :: v_dual_mov_b32 v15, v99
	v_dual_mov_b32 v3, v63 :: v_dual_mov_b32 v24, v108
	;; [unrolled: 1-line block ×3, first 2 shown]
	s_delay_alu instid0(VALU_DEP_3)
	v_dual_mov_b32 v10, v70 :: v_dual_mov_b32 v11, v71
	v_dual_mov_b32 v12, v72 :: v_dual_mov_b32 v13, v73
	v_dual_mov_b32 v14, v74 :: v_dual_mov_b32 v17, v101
	v_dual_mov_b32 v20, v104 :: v_dual_mov_b32 v23, v107
	v_dual_mov_b32 v22, v106 :: v_dual_mov_b32 v25, v109
	v_dual_mov_b32 v26, v110 :: v_dual_mov_b32 v13, v61
	v_dual_mov_b32 v120, v144 :: v_dual_mov_b32 v123, v147
	v_dual_mov_b32 v32, v33 :: v_dual_mov_b32 v33, v2
	v_dual_mov_b32 v4, v64 :: v_dual_mov_b32 v5, v65
	v_dual_mov_b32 v6, v66 :: v_dual_mov_b32 v7, v67
	v_dual_mov_b32 v8, v68 :: v_dual_mov_b32 v9, v69
	v_dual_mov_b32 v16, v100 :: v_dual_mov_b32 v19, v103
	v_dual_mov_b32 v18, v102 :: v_dual_mov_b32 v21, v105
	v_dual_mov_b32 v11, v59 :: v_dual_mov_b32 v12, v60
	v_dual_mov_b32 v23, v47 :: v_dual_mov_b32 v14, v62
	v_dual_mov_b32 v25, v49 :: v_dual_mov_b32 v26, v50
	v_dual_mov_b32 v113, v137 :: v_dual_mov_b32 v112, v136
	v_dual_mov_b32 v115, v139 :: v_dual_mov_b32 v114, v138
	v_dual_mov_b32 v117, v141 :: v_dual_mov_b32 v116, v140
	v_dual_mov_b32 v119, v143 :: v_dual_mov_b32 v118, v142
	v_dual_mov_b32 v121, v145 :: v_dual_mov_b32 v122, v146
	v_dual_mov_b32 v125, v149 :: v_dual_mov_b32 v124, v148
	v_dual_mov_b32 v127, v151 :: v_dual_mov_b32 v126, v150
	v_dual_mov_b32 v129, v153 :: v_dual_mov_b32 v128, v152
	v_dual_mov_b32 v131, v155 :: v_dual_mov_b32 v130, v154
	v_dual_mov_b32 v133, v157 :: v_dual_mov_b32 v132, v156
	v_mov_b32_e32 v1, v2
	v_dual_mov_b32 v134, v158 :: v_dual_mov_b32 v45, v44
	v_mov_b32_e32 v57, v56
.LBB280_57:
	s_or_b32 exec_lo, exec_lo, s2
	v_mov_b32_e32 v2, v34
	s_mov_b32 s2, exec_lo
	v_cmpx_lt_f32_e32 v1, v34
	s_cbranch_execz .LBB280_59
; %bb.58:
	v_mov_b32_e32 v129, v58
	v_dual_mov_b32 v63, v123 :: v_dual_mov_b32 v70, v130
	v_dual_mov_b32 v70, v57 :: v_dual_mov_b32 v71, v131
	v_dual_mov_b32 v117, v46 :: v_dual_mov_b32 v64, v124
	v_dual_mov_b32 v99, v111 :: v_dual_mov_b32 v102, v114
	v_dual_mov_b32 v65, v125 :: v_dual_mov_b32 v68, v128
	v_dual_mov_b32 v66, v126 :: v_dual_mov_b32 v67, v127
	v_dual_mov_b32 v72, v132 :: v_dual_mov_b32 v69, v129
	v_dual_mov_b32 v74, v134 :: v_dual_mov_b32 v73, v133
	v_dual_mov_b32 v100, v112 :: v_dual_mov_b32 v103, v115
	v_dual_mov_b32 v106, v118 :: v_dual_mov_b32 v105, v117
	v_dual_mov_b32 v108, v120 :: v_dual_mov_b32 v107, v119
	v_dual_mov_b32 v110, v122 :: v_dual_mov_b32 v109, v121
	v_dual_mov_b32 v101, v113 :: v_dual_mov_b32 v104, v116
	v_dual_mov_b32 v106, v45 :: v_dual_mov_b32 v3, v63
	v_dual_mov_b32 v4, v64 :: v_dual_mov_b32 v15, v99
	v_dual_mov_b32 v16, v100 :: v_dual_mov_b32 v11, v71
	v_dual_mov_b32 v12, v72 :: v_dual_mov_b32 v13, v73
	v_dual_mov_b32 v14, v74 :: v_dual_mov_b32 v23, v107
	v_dual_mov_b32 v24, v108 :: v_dual_mov_b32 v25, v109
	v_dual_mov_b32 v26, v110 :: v_dual_mov_b32 v75, v111
	v_dual_mov_b32 v76, v112 :: v_dual_mov_b32 v87, v123
	v_dual_mov_b32 v88, v124 :: v_dual_mov_b32 v33, v34
	v_mov_b32_e32 v34, v1
	v_dual_mov_b32 v5, v65 :: v_dual_mov_b32 v6, v66
	v_dual_mov_b32 v7, v67 :: v_dual_mov_b32 v8, v68
	;; [unrolled: 1-line block ×20, first 2 shown]
	v_mov_b32_e32 v2, v1
	v_mov_b32_e32 v46, v45
	;; [unrolled: 1-line block ×3, first 2 shown]
.LBB280_59:
	s_or_b32 exec_lo, exec_lo, s2
	v_mov_b32_e32 v1, v35
	s_mov_b32 s2, exec_lo
	v_cmpx_lt_f32_e32 v2, v35
	s_cbranch_execz .LBB280_61
; %bb.60:
	v_mov_b32_e32 v94, v59
	v_dual_mov_b32 v34, v35 :: v_dual_mov_b32 v35, v2
	v_mov_b32_e32 v82, v47
	v_dual_mov_b32 v3, v87 :: v_dual_mov_b32 v4, v88
	v_dual_mov_b32 v12, v96 :: v_dual_mov_b32 v9, v93
	;; [unrolled: 1-line block ×13, first 2 shown]
	v_mov_b32_e32 v7, v91
	v_mov_b32_e32 v11, v58
	v_dual_mov_b32 v14, v62 :: v_dual_mov_b32 v17, v77
	v_dual_mov_b32 v16, v76 :: v_dual_mov_b32 v19, v79
	;; [unrolled: 1-line block ×14, first 2 shown]
	v_mov_b32_e32 v47, v46
	v_mov_b32_e32 v59, v58
	;; [unrolled: 1-line block ×3, first 2 shown]
.LBB280_61:
	s_or_b32 exec_lo, exec_lo, s2
	v_mov_b32_e32 v39, v36
	s_mov_b32 s2, exec_lo
	v_cmpx_lt_f32_e32 v1, v36
	s_cbranch_execz .LBB280_63
; %bb.62:
	v_dual_mov_b32 v71, v60 :: v_dual_mov_b32 v72, v59
	v_dual_mov_b32 v73, v61 :: v_dual_mov_b32 v108, v47
	;; [unrolled: 1-line block ×17, first 2 shown]
	v_mov_b32_e32 v39, v1
.LBB280_63:
	s_or_b32 exec_lo, exec_lo, s2
	s_delay_alu instid0(VALU_DEP_1)
	v_cmp_lt_f32_e32 vcc_lo, v39, v37
	v_dual_mov_b32 v40, v28 :: v_dual_mov_b32 v43, v31
	v_dual_mov_b32 v42, v30 :: v_dual_mov_b32 v45, v33
	v_dual_cndmask_b32 v1, v25, v24 :: v_dual_cndmask_b32 v24, v24, v25
	v_cndmask_b32_e32 v2, v13, v12, vcc_lo
	v_dual_cndmask_b32 v12, v12, v13 :: v_dual_cndmask_b32 v49, v37, v39
	v_dual_cndmask_b32 v48, v36, v37 :: v_dual_mov_b32 v41, v29
	v_dual_mov_b32 v39, v27 :: v_dual_mov_b32 v44, v32
	v_dual_mov_b32 v47, v35 :: v_dual_mov_b32 v46, v34
	v_mov_b32_e32 v50, v38
	s_mov_b32 s2, exec_lo
	v_cmpx_lt_f32_e32 v27, v28
	s_cbranch_execz .LBB280_65
; %bb.64:
	v_dual_mov_b32 v28, v40 :: v_dual_mov_b32 v29, v39
	v_dual_mov_b32 v38, v49 :: v_dual_mov_b32 v39, v50
	v_dual_mov_b32 v30, v41 :: v_dual_mov_b32 v31, v42
	v_dual_mov_b32 v32, v43 :: v_dual_mov_b32 v33, v44
	v_dual_mov_b32 v34, v45 :: v_dual_mov_b32 v35, v46
	v_dual_mov_b32 v36, v47 :: v_dual_mov_b32 v37, v48
	v_mov_b32_e32 v50, v39
	v_mov_b32_e32 v13, v15
	v_dual_mov_b32 v25, v3 :: v_dual_mov_b32 v44, v33
	v_swap_b32 v15, v16
	v_swap_b32 v3, v4
	v_dual_mov_b32 v49, v38 :: v_dual_mov_b32 v46, v35
	v_dual_mov_b32 v48, v37 :: v_dual_mov_b32 v47, v36
	;; [unrolled: 1-line block ×4, first 2 shown]
	v_mov_b32_e32 v41, v30
	v_dual_mov_b32 v39, v28 :: v_dual_mov_b32 v28, v27
.LBB280_65:
	s_or_b32 exec_lo, exec_lo, s2
	v_mov_b32_e32 v13, v2
	v_dual_mov_b32 v25, v1 :: v_dual_mov_b32 v62, v14
	v_dual_mov_b32 v74, v26 :: v_dual_mov_b32 v63, v15
	v_mov_b32_e32 v86, v26
	v_dual_mov_b32 v72, v24 :: v_dual_mov_b32 v75, v15
	v_dual_mov_b32 v110, v26 :: v_dual_mov_b32 v53, v5
	v_dual_mov_b32 v98, v14 :: v_dual_mov_b32 v99, v15
	v_dual_mov_b32 v134, v26 :: v_dual_mov_b32 v89, v5
	v_dual_mov_b32 v122, v14 :: v_dual_mov_b32 v123, v15
	v_dual_mov_b32 v170, v26 :: v_dual_mov_b32 v113, v5
	v_dual_mov_b32 v146, v14 :: v_dual_mov_b32 v159, v15
	v_dual_mov_b32 v182, v26 :: v_dual_mov_b32 v137, v5
	v_dual_mov_b32 v158, v14 :: v_dual_mov_b32 v73, v25
	v_dual_mov_b32 v71, v23 :: v_dual_mov_b32 v70, v22
	v_dual_mov_b32 v69, v21 :: v_dual_mov_b32 v68, v20
	v_dual_mov_b32 v67, v19 :: v_dual_mov_b32 v66, v18
	v_dual_mov_b32 v65, v17 :: v_dual_mov_b32 v64, v16
	v_dual_mov_b32 v81, v21 :: v_dual_mov_b32 v80, v20
	v_dual_mov_b32 v79, v19 :: v_dual_mov_b32 v78, v18
	v_dual_mov_b32 v77, v17 :: v_dual_mov_b32 v76, v16
	v_dual_mov_b32 v109, v25 :: v_dual_mov_b32 v108, v24
	v_dual_mov_b32 v107, v23 :: v_dual_mov_b32 v106, v22
	v_dual_mov_b32 v105, v21 :: v_dual_mov_b32 v104, v20
	v_dual_mov_b32 v103, v19 :: v_dual_mov_b32 v102, v18
	v_dual_mov_b32 v101, v17 :: v_dual_mov_b32 v100, v16
	v_dual_mov_b32 v133, v25 :: v_dual_mov_b32 v132, v24
	v_dual_mov_b32 v131, v23 :: v_dual_mov_b32 v130, v22
	v_dual_mov_b32 v129, v21 :: v_dual_mov_b32 v128, v20
	v_dual_mov_b32 v127, v19 :: v_dual_mov_b32 v126, v18
	v_dual_mov_b32 v125, v17 :: v_dual_mov_b32 v124, v16
	v_dual_mov_b32 v169, v25 :: v_dual_mov_b32 v168, v24
	v_dual_mov_b32 v167, v23 :: v_dual_mov_b32 v166, v22
	v_dual_mov_b32 v165, v21 :: v_dual_mov_b32 v164, v20
	v_dual_mov_b32 v163, v19 :: v_dual_mov_b32 v162, v18
	v_dual_mov_b32 v161, v17 :: v_dual_mov_b32 v160, v16
	v_dual_mov_b32 v181, v25 :: v_dual_mov_b32 v180, v24
	v_dual_mov_b32 v179, v23 :: v_dual_mov_b32 v178, v22
	v_dual_mov_b32 v177, v21 :: v_dual_mov_b32 v176, v20
	v_dual_mov_b32 v175, v19 :: v_dual_mov_b32 v174, v18
	v_dual_mov_b32 v173, v17 :: v_dual_mov_b32 v172, v16
	v_dual_mov_b32 v171, v15 :: v_dual_mov_b32 v60, v12
	v_dual_mov_b32 v61, v13 :: v_dual_mov_b32 v58, v10
	v_dual_mov_b32 v59, v11 :: v_dual_mov_b32 v56, v8
	v_dual_mov_b32 v57, v9 :: v_dual_mov_b32 v54, v6
	v_dual_mov_b32 v55, v7 :: v_dual_mov_b32 v52, v4
	v_dual_mov_b32 v51, v3 :: v_dual_mov_b32 v96, v12
	v_dual_mov_b32 v97, v13 :: v_dual_mov_b32 v94, v10
	v_dual_mov_b32 v95, v11 :: v_dual_mov_b32 v92, v8
	v_dual_mov_b32 v93, v9 :: v_dual_mov_b32 v90, v6
	v_dual_mov_b32 v91, v7 :: v_dual_mov_b32 v88, v4
	v_dual_mov_b32 v87, v3 :: v_dual_mov_b32 v120, v12
	v_dual_mov_b32 v121, v13 :: v_dual_mov_b32 v118, v10
	v_dual_mov_b32 v119, v11 :: v_dual_mov_b32 v116, v8
	v_dual_mov_b32 v117, v9 :: v_dual_mov_b32 v114, v6
	v_dual_mov_b32 v115, v7 :: v_dual_mov_b32 v112, v4
	v_dual_mov_b32 v111, v3 :: v_dual_mov_b32 v144, v12
	v_dual_mov_b32 v145, v13 :: v_dual_mov_b32 v142, v10
	v_dual_mov_b32 v143, v11 :: v_dual_mov_b32 v140, v8
	v_dual_mov_b32 v141, v9 :: v_dual_mov_b32 v138, v6
	v_dual_mov_b32 v139, v7 :: v_dual_mov_b32 v136, v4
	v_dual_mov_b32 v135, v3 :: v_dual_mov_b32 v156, v12
	v_dual_mov_b32 v157, v13 :: v_dual_mov_b32 v154, v10
	v_dual_mov_b32 v155, v11 :: v_dual_mov_b32 v152, v8
	v_dual_mov_b32 v153, v9 :: v_dual_mov_b32 v150, v6
	v_dual_mov_b32 v151, v7 :: v_dual_mov_b32 v148, v4
	v_mov_b32_e32 v149, v5
	v_mov_b32_e32 v147, v3
	;; [unrolled: 1-line block ×3, first 2 shown]
	s_mov_b32 s2, exec_lo
	v_dual_mov_b32 v85, v25 :: v_dual_mov_b32 v84, v24
	v_dual_mov_b32 v83, v23 :: v_dual_mov_b32 v82, v22
	s_clause 0x2
	scratch_store_b128 off, v[3:6], off
	scratch_store_b128 off, v[7:10], off offset:16
	scratch_store_b128 off, v[11:14], off offset:32
	v_cmpx_lt_f32_e32 v28, v41
	s_cbranch_execz .LBB280_67
; %bb.66:
	v_dual_mov_b32 v158, v14 :: v_dual_mov_b32 v157, v13
	v_dual_mov_b32 v150, v6 :: v_dual_mov_b32 v149, v5
	;; [unrolled: 1-line block ×7, first 2 shown]
	s_clause 0x2
	scratch_store_b128 off, v[147:150], off
	scratch_store_b128 off, v[151:154], off offset:16
	scratch_store_b128 off, v[155:158], off offset:32
	v_dual_mov_b32 v182, v26 :: v_dual_mov_b32 v181, v25
	v_dual_mov_b32 v172, v16 :: v_dual_mov_b32 v171, v15
	;; [unrolled: 1-line block ×8, first 2 shown]
	s_delay_alu instid0(VALU_DEP_4) | instskip(SKIP_1) | instid1(VALU_DEP_4)
	v_dual_mov_b32 v160, v172 :: v_dual_mov_b32 v161, v173
	v_dual_mov_b32 v162, v174 :: v_dual_mov_b32 v163, v175
	;; [unrolled: 1-line block ×4, first 2 shown]
	v_mov_b32_e32 v170, v182
	v_dual_mov_b32 v166, v178 :: v_dual_mov_b32 v167, v179
	v_mov_b32_e32 v162, v18
	v_dual_mov_b32 v40, v41 :: v_dual_mov_b32 v41, v28
	v_mov_b32_e32 v5, v4
	v_mov_b32_e32 v17, v16
	;; [unrolled: 1-line block ×3, first 2 shown]
	v_dual_mov_b32 v137, v149 :: v_dual_mov_b32 v144, v156
	v_dual_mov_b32 v123, v159 :: v_dual_mov_b32 v136, v148
	;; [unrolled: 1-line block ×12, first 2 shown]
	v_mov_b32_e32 v133, v169
	v_dual_mov_b32 v111, v135 :: v_dual_mov_b32 v112, v136
	v_dual_mov_b32 v99, v123 :: v_dual_mov_b32 v100, v124
	v_dual_mov_b32 v115, v139 :: v_dual_mov_b32 v116, v140
	v_dual_mov_b32 v103, v127 :: v_dual_mov_b32 v104, v128
	v_dual_mov_b32 v113, v137 :: v_dual_mov_b32 v114, v138
	v_dual_mov_b32 v117, v141 :: v_dual_mov_b32 v118, v142
	v_dual_mov_b32 v119, v143 :: v_dual_mov_b32 v120, v144
	v_dual_mov_b32 v121, v145 :: v_dual_mov_b32 v122, v146
	v_dual_mov_b32 v101, v125 :: v_dual_mov_b32 v102, v126
	v_dual_mov_b32 v105, v129 :: v_dual_mov_b32 v106, v130
	v_dual_mov_b32 v107, v131 :: v_dual_mov_b32 v108, v132
	v_dual_mov_b32 v109, v133 :: v_dual_mov_b32 v110, v134
	v_mov_b32_e32 v104, v20
	v_dual_mov_b32 v116, v8 :: v_dual_mov_b32 v75, v99
	v_mov_b32_e32 v87, v111
	v_dual_mov_b32 v93, v117 :: v_dual_mov_b32 v78, v102
	s_delay_alu instid0(VALU_DEP_3)
	v_dual_mov_b32 v81, v105 :: v_dual_mov_b32 v92, v116
	v_dual_mov_b32 v90, v114 :: v_dual_mov_b32 v91, v115
	;; [unrolled: 1-line block ×11, first 2 shown]
	v_mov_b32_e32 v51, v87
	v_dual_mov_b32 v63, v75 :: v_dual_mov_b32 v66, v78
	v_dual_mov_b32 v55, v91 :: v_dual_mov_b32 v58, v94
	;; [unrolled: 1-line block ×14, first 2 shown]
	v_mov_b32_e32 v72, v24
	v_dual_mov_b32 v62, v14 :: v_dual_mov_b32 v71, v23
	v_dual_mov_b32 v70, v22 :: v_dual_mov_b32 v73, v1
	v_mov_b32_e32 v74, v26
.LBB280_67:
	s_or_b32 exec_lo, exec_lo, s2
	v_mov_b32_e32 v3, v42
	v_cmp_lt_f32_e32 vcc_lo, v13, v42
	s_mov_b32 s2, exec_lo
	s_clause 0x2
	scratch_load_b128 v[27:30], off, off
	scratch_load_b128 v[31:34], off, off offset:16
	scratch_load_b128 v[35:38], off, off offset:32
	s_and_b32 s3, s2, vcc_lo
	s_delay_alu instid0(SALU_CYCLE_1)
	s_mov_b32 exec_lo, s3
	s_cbranch_execz .LBB280_69
; %bb.68:
	v_mov_b32_e32 v173, v18
	s_waitcnt vmcnt(2)
	v_mov_b32_e32 v29, v6
	v_dual_mov_b32 v159, v171 :: v_dual_mov_b32 v160, v172
	s_waitcnt vmcnt(0)
	v_dual_mov_b32 v158, v38 :: v_dual_mov_b32 v157, v37
	v_dual_mov_b32 v156, v36 :: v_dual_mov_b32 v147, v27
	;; [unrolled: 1-line block ×6, first 2 shown]
	v_mov_b32_e32 v168, v180
	v_dual_mov_b32 v164, v176 :: v_dual_mov_b32 v165, v177
	v_dual_mov_b32 v170, v182 :: v_dual_mov_b32 v155, v35
	v_dual_mov_b32 v154, v34 :: v_dual_mov_b32 v161, v173
	v_dual_mov_b32 v166, v178 :: v_dual_mov_b32 v167, v179
	v_mov_b32_e32 v150, v5
	v_mov_b32_e32 v169, v181
	v_dual_mov_b32 v162, v17 :: v_dual_mov_b32 v135, v147
	v_dual_mov_b32 v136, v148 :: v_dual_mov_b32 v123, v159
	;; [unrolled: 1-line block ×13, first 2 shown]
	v_mov_b32_e32 v139, v7
	v_dual_mov_b32 v99, v123 :: v_dual_mov_b32 v100, v124
	v_dual_mov_b32 v111, v135 :: v_dual_mov_b32 v114, v138
	;; [unrolled: 1-line block ×4, first 2 shown]
	v_mov_b32_e32 v120, v144
	v_dual_mov_b32 v104, v128 :: v_dual_mov_b32 v105, v129
	v_dual_mov_b32 v110, v134 :: v_dual_mov_b32 v115, v139
	;; [unrolled: 1-line block ×21, first 2 shown]
	v_mov_b32_e32 v93, v9
	v_dual_mov_b32 v63, v75 :: v_dual_mov_b32 v64, v76
	v_dual_mov_b32 v51, v87 :: v_dual_mov_b32 v54, v90
	;; [unrolled: 1-line block ×3, first 2 shown]
	s_delay_alu instid0(VALU_DEP_4)
	v_dual_mov_b32 v58, v94 :: v_dual_mov_b32 v57, v93
	v_dual_mov_b32 v60, v96 :: v_dual_mov_b32 v59, v95
	;; [unrolled: 1-line block ×9, first 2 shown]
	v_mov_b32_e32 v42, v13
	v_dual_mov_b32 v53, v89 :: v_dual_mov_b32 v56, v92
	v_dual_mov_b32 v68, v80 :: v_dual_mov_b32 v59, v11
	v_mov_b32_e32 v62, v14
	v_dual_mov_b32 v61, v2 :: v_dual_mov_b32 v72, v24
	v_dual_mov_b32 v70, v22 :: v_dual_mov_b32 v71, v23
	v_dual_mov_b32 v73, v1 :: v_dual_mov_b32 v74, v26
	v_mov_b32_e32 v3, v13
	v_mov_b32_e32 v18, v17
	v_mov_b32_e32 v6, v5
.LBB280_69:
	s_or_b32 exec_lo, exec_lo, s2
	v_mov_b32_e32 v4, v43
	s_mov_b32 s2, exec_lo
	v_cmpx_lt_f32_e32 v3, v43
	s_cbranch_execz .LBB280_71
; %bb.70:
	v_mov_b32_e32 v174, v19
	s_waitcnt vmcnt(2)
	v_mov_b32_e32 v30, v7
	v_mov_b32_e32 v123, v171
	s_waitcnt vmcnt(0)
	v_dual_mov_b32 v125, v173 :: v_dual_mov_b32 v146, v38
	s_delay_alu instid0(VALU_DEP_3)
	v_dual_mov_b32 v143, v35 :: v_dual_mov_b32 v138, v30
	v_mov_b32_e32 v135, v27
	v_dual_mov_b32 v145, v37 :: v_dual_mov_b32 v142, v34
	v_dual_mov_b32 v139, v31 :: v_dual_mov_b32 v136, v28
	;; [unrolled: 1-line block ×6, first 2 shown]
	v_mov_b32_e32 v139, v6
	v_dual_mov_b32 v127, v18 :: v_dual_mov_b32 v124, v172
	v_dual_mov_b32 v126, v174 :: v_dual_mov_b32 v129, v177
	;; [unrolled: 1-line block ×15, first 2 shown]
	v_mov_b32_e32 v110, v134
	v_mov_b32_e32 v104, v20
	v_dual_mov_b32 v116, v8 :: v_dual_mov_b32 v75, v99
	v_mov_b32_e32 v87, v111
	v_dual_mov_b32 v93, v117 :: v_dual_mov_b32 v78, v102
	s_delay_alu instid0(VALU_DEP_3)
	v_dual_mov_b32 v81, v105 :: v_dual_mov_b32 v92, v116
	v_dual_mov_b32 v80, v104 :: v_dual_mov_b32 v83, v107
	;; [unrolled: 1-line block ×11, first 2 shown]
	v_mov_b32_e32 v63, v75
	s_delay_alu instid0(VALU_DEP_3)
	v_dual_mov_b32 v51, v87 :: v_dual_mov_b32 v54, v90
	v_dual_mov_b32 v71, v83 :: v_dual_mov_b32 v72, v84
	v_dual_mov_b32 v57, v93 :: v_dual_mov_b32 v58, v94
	v_dual_mov_b32 v59, v95 :: v_dual_mov_b32 v60, v96
	v_dual_mov_b32 v61, v97 :: v_dual_mov_b32 v62, v98
	v_dual_mov_b32 v69, v81 :: v_dual_mov_b32 v70, v82
	v_dual_mov_b32 v73, v85 :: v_dual_mov_b32 v74, v86
	v_dual_mov_b32 v72, v24 :: v_dual_mov_b32 v159, v171
	v_dual_mov_b32 v158, v38 :: v_dual_mov_b32 v153, v33
	v_dual_mov_b32 v42, v43 :: v_dual_mov_b32 v53, v89
	v_dual_mov_b32 v43, v3 :: v_dual_mov_b32 v52, v88
	v_dual_mov_b32 v55, v91 :: v_dual_mov_b32 v56, v92
	v_dual_mov_b32 v64, v76 :: v_dual_mov_b32 v65, v77
	v_dual_mov_b32 v66, v78 :: v_dual_mov_b32 v67, v79
	v_mov_b32_e32 v68, v80
	v_dual_mov_b32 v58, v10 :: v_dual_mov_b32 v59, v11
	v_dual_mov_b32 v60, v12 :: v_dual_mov_b32 v61, v2
	;; [unrolled: 1-line block ×14, first 2 shown]
	v_mov_b32_e32 v150, v30
	v_dual_mov_b32 v148, v28 :: v_dual_mov_b32 v19, v18
	v_dual_mov_b32 v4, v3 :: v_dual_mov_b32 v7, v6
.LBB280_71:
	s_or_b32 exec_lo, exec_lo, s2
	v_mov_b32_e32 v3, v44
	s_mov_b32 s2, exec_lo
	s_delay_alu instid0(VALU_DEP_2)
	v_cmpx_lt_f32_e32 v4, v44
	s_cbranch_execz .LBB280_73
; %bb.72:
	v_mov_b32_e32 v163, v20
	v_mov_b32_e32 v151, v8
	v_dual_mov_b32 v99, v159 :: v_dual_mov_b32 v102, v162
	v_dual_mov_b32 v111, v147 :: v_dual_mov_b32 v112, v148
	v_dual_mov_b32 v113, v149 :: v_dual_mov_b32 v116, v152
	v_dual_mov_b32 v114, v150 :: v_dual_mov_b32 v117, v153
	v_dual_mov_b32 v120, v156 :: v_dual_mov_b32 v105, v165
	v_dual_mov_b32 v110, v170 :: v_dual_mov_b32 v115, v151
	v_dual_mov_b32 v118, v154 :: v_dual_mov_b32 v119, v155
	v_dual_mov_b32 v122, v158 :: v_dual_mov_b32 v121, v157
	v_dual_mov_b32 v100, v160 :: v_dual_mov_b32 v101, v161
	v_dual_mov_b32 v106, v166 :: v_dual_mov_b32 v103, v163
	v_mov_b32_e32 v108, v168
	v_dual_mov_b32 v104, v164 :: v_dual_mov_b32 v109, v169
	v_mov_b32_e32 v116, v7
	v_mov_b32_e32 v107, v167
	;; [unrolled: 1-line block ×3, first 2 shown]
	v_dual_mov_b32 v87, v111 :: v_dual_mov_b32 v90, v114
	v_dual_mov_b32 v88, v112 :: v_dual_mov_b32 v89, v113
	;; [unrolled: 1-line block ×12, first 2 shown]
	v_mov_b32_e32 v93, v9
	v_mov_b32_e32 v43, v44
	v_dual_mov_b32 v44, v4 :: v_dual_mov_b32 v81, v21
	v_dual_mov_b32 v51, v87 :: v_dual_mov_b32 v56, v92
	;; [unrolled: 1-line block ×15, first 2 shown]
	v_mov_b32_e32 v136, v148
	v_dual_mov_b32 v54, v90 :: v_dual_mov_b32 v59, v11
	v_mov_b32_e32 v62, v14
	v_dual_mov_b32 v61, v2 :: v_dual_mov_b32 v72, v24
	v_dual_mov_b32 v70, v22 :: v_dual_mov_b32 v71, v23
	;; [unrolled: 1-line block ×14, first 2 shown]
	v_mov_b32_e32 v8, v7
.LBB280_73:
	s_or_b32 exec_lo, exec_lo, s2
	v_mov_b32_e32 v4, v45
	s_mov_b32 s2, exec_lo
	v_cmpx_lt_f32_e32 v3, v45
	s_cbranch_execz .LBB280_75
; %bb.74:
	v_mov_b32_e32 v140, v9
	v_dual_mov_b32 v128, v21 :: v_dual_mov_b32 v87, v135
	v_mov_b32_e32 v93, v141
	v_dual_mov_b32 v93, v8 :: v_dual_mov_b32 v94, v142
	v_dual_mov_b32 v96, v144 :: v_dual_mov_b32 v97, v145
	v_mov_b32_e32 v98, v146
	v_dual_mov_b32 v44, v45 :: v_dual_mov_b32 v75, v123
	v_dual_mov_b32 v84, v132 :: v_dual_mov_b32 v85, v133
	v_dual_mov_b32 v88, v136 :: v_dual_mov_b32 v89, v137
	v_dual_mov_b32 v90, v138 :: v_dual_mov_b32 v91, v139
	v_dual_mov_b32 v92, v140 :: v_dual_mov_b32 v95, v143
	v_dual_mov_b32 v45, v3 :: v_dual_mov_b32 v80, v128
	v_dual_mov_b32 v81, v129 :: v_dual_mov_b32 v82, v130
	v_dual_mov_b32 v83, v131 :: v_dual_mov_b32 v86, v134
	v_mov_b32_e32 v81, v20
	v_dual_mov_b32 v51, v87 :: v_dual_mov_b32 v52, v88
	v_dual_mov_b32 v76, v124 :: v_dual_mov_b32 v77, v125
	;; [unrolled: 1-line block ×30, first 2 shown]
	v_mov_b32_e32 v120, v144
	v_dual_mov_b32 v122, v146 :: v_dual_mov_b32 v21, v20
	v_dual_mov_b32 v4, v3 :: v_dual_mov_b32 v9, v8
.LBB280_75:
	s_or_b32 exec_lo, exec_lo, s2
	v_mov_b32_e32 v3, v46
	s_mov_b32 s2, exec_lo
	s_delay_alu instid0(VALU_DEP_2)
	v_cmpx_lt_f32_e32 v4, v46
	s_cbranch_execz .LBB280_77
; %bb.76:
	v_mov_b32_e32 v117, v10
	v_dual_mov_b32 v45, v46 :: v_dual_mov_b32 v46, v4
	v_mov_b32_e32 v105, v22
	v_dual_mov_b32 v51, v111 :: v_dual_mov_b32 v54, v114
	v_dual_mov_b32 v56, v116 :: v_dual_mov_b32 v63, v99
	;; [unrolled: 1-line block ×6, first 2 shown]
	v_mov_b32_e32 v58, v9
	v_dual_mov_b32 v61, v121 :: v_dual_mov_b32 v60, v12
	v_dual_mov_b32 v67, v103 :: v_dual_mov_b32 v70, v106
	;; [unrolled: 1-line block ×8, first 2 shown]
	v_mov_b32_e32 v62, v14
	v_dual_mov_b32 v61, v2 :: v_dual_mov_b32 v64, v100
	v_dual_mov_b32 v65, v101 :: v_dual_mov_b32 v68, v104
	v_dual_mov_b32 v70, v21 :: v_dual_mov_b32 v71, v23
	v_dual_mov_b32 v73, v1 :: v_dual_mov_b32 v74, v26
	v_dual_mov_b32 v77, v101 :: v_dual_mov_b32 v78, v102
	v_dual_mov_b32 v79, v103 :: v_dual_mov_b32 v80, v104
	v_dual_mov_b32 v81, v105 :: v_dual_mov_b32 v82, v106
	v_dual_mov_b32 v89, v113 :: v_dual_mov_b32 v90, v114
	v_dual_mov_b32 v91, v115 :: v_dual_mov_b32 v92, v116
	v_dual_mov_b32 v93, v117 :: v_dual_mov_b32 v94, v118
	v_dual_mov_b32 v3, v4 :: v_dual_mov_b32 v22, v21
	v_dual_mov_b32 v10, v9 :: v_dual_mov_b32 v83, v107
	v_dual_mov_b32 v84, v108 :: v_dual_mov_b32 v85, v109
	v_dual_mov_b32 v86, v110 :: v_dual_mov_b32 v95, v119
	v_dual_mov_b32 v96, v120 :: v_dual_mov_b32 v97, v121
	v_mov_b32_e32 v98, v122
.LBB280_77:
	s_or_b32 exec_lo, exec_lo, s2
	v_mov_b32_e32 v4, v47
	s_mov_b32 s2, exec_lo
	v_cmpx_lt_f32_e32 v3, v47
	s_cbranch_execz .LBB280_79
; %bb.78:
	v_dual_mov_b32 v84, v24 :: v_dual_mov_b32 v85, v1
	v_dual_mov_b32 v94, v11 :: v_dual_mov_b32 v95, v10
	v_dual_mov_b32 v96, v12 :: v_dual_mov_b32 v97, v2
	v_dual_mov_b32 v82, v23 :: v_dual_mov_b32 v83, v22
	v_mov_b32_e32 v86, v26
	v_mov_b32_e32 v46, v47
	v_dual_mov_b32 v47, v3 :: v_dual_mov_b32 v98, v14
	v_dual_mov_b32 v63, v75 :: v_dual_mov_b32 v72, v84
	;; [unrolled: 1-line block ×3, first 2 shown]
	v_mov_b32_e32 v67, v79
	v_dual_mov_b32 v65, v77 :: v_dual_mov_b32 v66, v78
	v_dual_mov_b32 v69, v81 :: v_dual_mov_b32 v68, v80
	v_dual_mov_b32 v71, v83 :: v_dual_mov_b32 v70, v82
	v_dual_mov_b32 v73, v85 :: v_dual_mov_b32 v74, v86
	v_dual_mov_b32 v53, v89 :: v_dual_mov_b32 v52, v88
	v_dual_mov_b32 v55, v91 :: v_dual_mov_b32 v54, v90
	v_dual_mov_b32 v57, v93 :: v_dual_mov_b32 v56, v92
	v_dual_mov_b32 v59, v95 :: v_dual_mov_b32 v58, v94
	v_dual_mov_b32 v61, v97 :: v_dual_mov_b32 v60, v96
	v_mov_b32_e32 v62, v98
	v_mov_b32_e32 v4, v3
.LBB280_79:
	s_or_b32 exec_lo, exec_lo, s2
	s_delay_alu instid0(VALU_DEP_1)
	v_cmp_lt_f32_e32 vcc_lo, v4, v48
	v_dual_mov_b32 v3, v41 :: v_dual_mov_b32 v8, v46
	v_dual_mov_b32 v5, v43 :: v_dual_mov_b32 v12, v50
	s_waitcnt vmcnt(0)
	v_cndmask_b32_e32 v37, v72, v71, vcc_lo
	v_dual_cndmask_b32 v71, v71, v72 :: v_dual_cndmask_b32 v38, v60, v59
	v_dual_cndmask_b32 v59, v59, v60 :: v_dual_mov_b32 v2, v40
	v_dual_cndmask_b32 v10, v48, v4 :: v_dual_mov_b32 v1, v39
	;; [unrolled: 1-line block ×3, first 2 shown]
	v_dual_mov_b32 v4, v42 :: v_dual_mov_b32 v7, v45
	v_mov_b32_e32 v11, v49
	s_mov_b32 s2, exec_lo
	v_cmpx_lt_f32_e32 v39, v40
	s_cbranch_execz .LBB280_81
; %bb.80:
	v_dual_mov_b32 v13, v2 :: v_dual_mov_b32 v14, v1
	v_dual_mov_b32 v15, v3 :: v_dual_mov_b32 v16, v4
	;; [unrolled: 1-line block ×6, first 2 shown]
	v_mov_b32_e32 v25, v63
	v_dual_mov_b32 v26, v51 :: v_dual_mov_b32 v1, v13
	v_swap_b32 v63, v64
	v_swap_b32 v51, v52
	v_dual_mov_b32 v2, v14 :: v_dual_mov_b32 v3, v15
	v_dual_mov_b32 v4, v16 :: v_dual_mov_b32 v5, v17
	;; [unrolled: 1-line block ×5, first 2 shown]
	v_mov_b32_e32 v12, v24
	v_mov_b32_e32 v40, v39
.LBB280_81:
	s_or_b32 exec_lo, exec_lo, s2
	v_mov_b32_e32 v60, v38
	v_dual_mov_b32 v72, v37 :: v_dual_mov_b32 v13, v51
	v_dual_mov_b32 v25, v63 :: v_dual_mov_b32 v98, v74
	;; [unrolled: 1-line block ×60, first 2 shown]
	s_mov_b32 s2, exec_lo
	v_dual_mov_b32 v96, v72 :: v_dual_mov_b32 v93, v69
	v_cmpx_lt_f32_e32 v40, v3
	s_cbranch_execz .LBB280_83
; %bb.82:
	v_dual_mov_b32 v134, v62 :: v_dual_mov_b32 v133, v61
	v_dual_mov_b32 v124, v52 :: v_dual_mov_b32 v123, v51
	v_mov_b32_e32 v124, v53
	v_dual_mov_b32 v128, v56 :: v_dual_mov_b32 v127, v55
	v_dual_mov_b32 v132, v60 :: v_dual_mov_b32 v131, v59
	v_dual_mov_b32 v126, v54 :: v_dual_mov_b32 v125, v53
	v_dual_mov_b32 v146, v74 :: v_dual_mov_b32 v145, v73
	v_dual_mov_b32 v125, v52 :: v_dual_mov_b32 v138, v66
	v_dual_mov_b32 v137, v65 :: v_dual_mov_b32 v136, v64
	v_dual_mov_b32 v135, v63 :: v_dual_mov_b32 v130, v58
	v_dual_mov_b32 v129, v57 :: v_dual_mov_b32 v140, v68
	v_dual_mov_b32 v139, v67 :: v_dual_mov_b32 v170, v134
	v_dual_mov_b32 v169, v133 :: v_dual_mov_b32 v144, v72
	v_dual_mov_b32 v143, v71 :: v_dual_mov_b32 v142, v70
	v_mov_b32_e32 v141, v69
	v_dual_mov_b32 v136, v65 :: v_dual_mov_b32 v137, v64
	v_dual_mov_b32 v160, v124 :: v_dual_mov_b32 v159, v123
	;; [unrolled: 1-line block ×40, first 2 shown]
	v_mov_b32_e32 v22, v84
	v_dual_mov_b32 v22, v38 :: v_dual_mov_b32 v25, v87
	v_dual_mov_b32 v16, v78 :: v_dual_mov_b32 v19, v81
	v_dual_mov_b32 v18, v80 :: v_dual_mov_b32 v21, v83
	v_dual_mov_b32 v20, v82 :: v_dual_mov_b32 v23, v85
	v_dual_mov_b32 v24, v86 :: v_dual_mov_b32 v21, v59
	v_dual_mov_b32 v28, v90 :: v_dual_mov_b32 v31, v93
	v_dual_mov_b32 v30, v92 :: v_dual_mov_b32 v33, v95
	v_dual_mov_b32 v32, v94 :: v_dual_mov_b32 v35, v97
	v_dual_mov_b32 v34, v96 :: v_dual_mov_b32 v31, v69
	v_dual_mov_b32 v36, v98 :: v_dual_mov_b32 v33, v71
	v_dual_mov_b32 v2, v3 :: v_dual_mov_b32 v3, v40
	v_dual_mov_b32 v14, v76 :: v_dual_mov_b32 v17, v79
	v_dual_mov_b32 v19, v57 :: v_dual_mov_b32 v20, v58
	v_dual_mov_b32 v23, v61 :: v_dual_mov_b32 v24, v62
	v_dual_mov_b32 v27, v89 :: v_dual_mov_b32 v26, v88
	v_dual_mov_b32 v29, v91 :: v_dual_mov_b32 v32, v70
	v_mov_b32_e32 v35, v73
	v_dual_mov_b32 v34, v37 :: v_dual_mov_b32 v39, v40
	v_dual_mov_b32 v36, v74 :: v_dual_mov_b32 v65, v64
	v_mov_b32_e32 v53, v52
.LBB280_83:
	s_or_b32 exec_lo, exec_lo, s2
	v_mov_b32_e32 v40, v4
	s_mov_b32 s2, exec_lo
	v_cmpx_lt_f32_e32 v39, v4
	s_cbranch_execz .LBB280_85
; %bb.84:
	v_mov_b32_e32 v137, v66
	v_mov_b32_e32 v125, v54
	;; [unrolled: 1-line block ×4, first 2 shown]
	v_dual_mov_b32 v170, v134 :: v_dual_mov_b32 v169, v133
	v_dual_mov_b32 v168, v132 :: v_dual_mov_b32 v159, v123
	;; [unrolled: 1-line block ×9, first 2 shown]
	v_mov_b32_e32 v157, v145
	v_dual_mov_b32 v155, v143 :: v_dual_mov_b32 v152, v140
	v_mov_b32_e32 v162, v53
	v_mov_b32_e32 v149, v137
	v_dual_mov_b32 v150, v65 :: v_dual_mov_b32 v111, v159
	v_dual_mov_b32 v112, v160 :: v_dual_mov_b32 v99, v147
	;; [unrolled: 1-line block ×13, first 2 shown]
	v_mov_b32_e32 v115, v55
	v_dual_mov_b32 v87, v99 :: v_dual_mov_b32 v88, v100
	v_dual_mov_b32 v75, v111 :: v_dual_mov_b32 v78, v114
	;; [unrolled: 1-line block ×3, first 2 shown]
	s_delay_alu instid0(VALU_DEP_4)
	v_dual_mov_b32 v80, v116 :: v_dual_mov_b32 v79, v115
	v_dual_mov_b32 v82, v118 :: v_dual_mov_b32 v81, v117
	v_dual_mov_b32 v84, v120 :: v_dual_mov_b32 v83, v119
	v_dual_mov_b32 v86, v122 :: v_dual_mov_b32 v85, v121
	v_dual_mov_b32 v90, v102 :: v_dual_mov_b32 v89, v101
	v_dual_mov_b32 v94, v106 :: v_dual_mov_b32 v91, v103
	v_mov_b32_e32 v96, v108
	v_dual_mov_b32 v92, v104 :: v_dual_mov_b32 v93, v105
	v_dual_mov_b32 v98, v110 :: v_dual_mov_b32 v95, v107
	;; [unrolled: 1-line block ×21, first 2 shown]
	v_mov_b32_e32 v34, v37
	v_dual_mov_b32 v35, v73 :: v_dual_mov_b32 v36, v74
	v_mov_b32_e32 v40, v39
	v_mov_b32_e32 v66, v65
	;; [unrolled: 1-line block ×3, first 2 shown]
.LBB280_85:
	s_or_b32 exec_lo, exec_lo, s2
	v_mov_b32_e32 v39, v5
	s_mov_b32 s2, exec_lo
	v_cmpx_lt_f32_e32 v40, v5
	s_cbranch_execz .LBB280_87
; %bb.86:
	v_mov_b32_e32 v126, v55
	v_mov_b32_e32 v111, v123
	;; [unrolled: 1-line block ×3, first 2 shown]
	v_dual_mov_b32 v115, v54 :: v_dual_mov_b32 v116, v128
	v_dual_mov_b32 v138, v67 :: v_dual_mov_b32 v113, v125
	v_mov_b32_e32 v112, v124
	v_dual_mov_b32 v118, v130 :: v_dual_mov_b32 v119, v131
	v_dual_mov_b32 v120, v132 :: v_dual_mov_b32 v121, v133
	;; [unrolled: 1-line block ×24, first 2 shown]
	v_mov_b32_e32 v22, v84
	v_dual_mov_b32 v22, v38 :: v_dual_mov_b32 v25, v87
	v_dual_mov_b32 v16, v78 :: v_dual_mov_b32 v19, v81
	v_dual_mov_b32 v18, v80 :: v_dual_mov_b32 v21, v83
	v_dual_mov_b32 v20, v82 :: v_dual_mov_b32 v23, v85
	v_dual_mov_b32 v24, v86 :: v_dual_mov_b32 v21, v59
	v_dual_mov_b32 v28, v90 :: v_dual_mov_b32 v31, v93
	v_dual_mov_b32 v30, v92 :: v_dual_mov_b32 v33, v95
	v_dual_mov_b32 v32, v94 :: v_dual_mov_b32 v35, v97
	v_dual_mov_b32 v34, v96 :: v_dual_mov_b32 v31, v69
	v_dual_mov_b32 v36, v98 :: v_dual_mov_b32 v33, v71
	v_dual_mov_b32 v158, v146 :: v_dual_mov_b32 v153, v141
	v_dual_mov_b32 v170, v134 :: v_dual_mov_b32 v165, v129
	v_dual_mov_b32 v4, v5 :: v_dual_mov_b32 v5, v40
	v_dual_mov_b32 v14, v76 :: v_dual_mov_b32 v17, v79
	v_dual_mov_b32 v19, v57 :: v_dual_mov_b32 v20, v58
	v_dual_mov_b32 v23, v61 :: v_dual_mov_b32 v24, v62
	v_dual_mov_b32 v27, v89 :: v_dual_mov_b32 v26, v88
	v_dual_mov_b32 v29, v91 :: v_dual_mov_b32 v32, v70
	v_mov_b32_e32 v35, v73
	v_dual_mov_b32 v34, v37 :: v_dual_mov_b32 v155, v143
	v_dual_mov_b32 v36, v74 :: v_dual_mov_b32 v157, v145
	;; [unrolled: 1-line block ×12, first 2 shown]
	v_mov_b32_e32 v55, v54
.LBB280_87:
	s_or_b32 exec_lo, exec_lo, s2
	v_mov_b32_e32 v40, v6
	s_mov_b32 s2, exec_lo
	v_cmpx_lt_f32_e32 v39, v6
	s_cbranch_execz .LBB280_89
; %bb.88:
	v_mov_b32_e32 v163, v56
	v_dual_mov_b32 v75, v159 :: v_dual_mov_b32 v80, v164
	v_dual_mov_b32 v80, v55 :: v_dual_mov_b32 v81, v165
	;; [unrolled: 1-line block ×7, first 2 shown]
	v_mov_b32_e32 v85, v169
	v_dual_mov_b32 v89, v149 :: v_dual_mov_b32 v92, v152
	v_dual_mov_b32 v91, v151 :: v_dual_mov_b32 v94, v154
	;; [unrolled: 1-line block ×6, first 2 shown]
	v_mov_b32_e32 v88, v148
	v_mov_b32_e32 v6, v39
	s_delay_alu instid0(VALU_DEP_3) | instskip(NEXT) | instid1(VALU_DEP_3)
	v_dual_mov_b32 v13, v75 :: v_dual_mov_b32 v14, v76
	v_dual_mov_b32 v25, v87 :: v_dual_mov_b32 v26, v88
	;; [unrolled: 1-line block ×30, first 2 shown]
	v_mov_b32_e32 v40, v39
	v_mov_b32_e32 v68, v67
	;; [unrolled: 1-line block ×3, first 2 shown]
.LBB280_89:
	s_or_b32 exec_lo, exec_lo, s2
	v_mov_b32_e32 v39, v7
	s_mov_b32 s2, exec_lo
	v_cmpx_lt_f32_e32 v40, v7
	s_cbranch_execz .LBB280_91
; %bb.90:
	v_mov_b32_e32 v116, v57
	v_dual_mov_b32 v6, v7 :: v_dual_mov_b32 v7, v40
	v_dual_mov_b32 v104, v69 :: v_dual_mov_b32 v13, v111
	v_mov_b32_e32 v22, v120
	v_dual_mov_b32 v22, v38 :: v_dual_mov_b32 v25, v99
	v_mov_b32_e32 v34, v108
	v_dual_mov_b32 v34, v37 :: v_dual_mov_b32 v87, v99
	v_dual_mov_b32 v16, v114 :: v_dual_mov_b32 v19, v117
	v_dual_mov_b32 v18, v116 :: v_dual_mov_b32 v21, v119
	v_dual_mov_b32 v20, v118 :: v_dual_mov_b32 v23, v121
	v_dual_mov_b32 v24, v122 :: v_dual_mov_b32 v19, v56
	v_dual_mov_b32 v28, v102 :: v_dual_mov_b32 v31, v105
	v_dual_mov_b32 v30, v104 :: v_dual_mov_b32 v33, v107
	v_dual_mov_b32 v32, v106 :: v_dual_mov_b32 v35, v109
	v_dual_mov_b32 v36, v110 :: v_dual_mov_b32 v31, v68
	v_dual_mov_b32 v96, v108 :: v_dual_mov_b32 v75, v111
	v_dual_mov_b32 v14, v112 :: v_dual_mov_b32 v17, v115
	v_dual_mov_b32 v15, v113 :: v_dual_mov_b32 v20, v58
	v_mov_b32_e32 v23, v61
	v_dual_mov_b32 v21, v59 :: v_dual_mov_b32 v24, v62
	v_dual_mov_b32 v27, v101 :: v_dual_mov_b32 v26, v100
	;; [unrolled: 1-line block ×3, first 2 shown]
	v_mov_b32_e32 v35, v73
	v_dual_mov_b32 v33, v71 :: v_dual_mov_b32 v36, v74
	v_dual_mov_b32 v89, v101 :: v_dual_mov_b32 v88, v100
	;; [unrolled: 1-line block ×9, first 2 shown]
	v_mov_b32_e32 v39, v40
	v_mov_b32_e32 v69, v68
	v_dual_mov_b32 v57, v56 :: v_dual_mov_b32 v94, v106
	v_dual_mov_b32 v97, v109 :: v_dual_mov_b32 v82, v118
	;; [unrolled: 1-line block ×3, first 2 shown]
.LBB280_91:
	s_or_b32 exec_lo, exec_lo, s2
	v_mov_b32_e32 v40, v8
	s_mov_b32 s2, exec_lo
	v_cmpx_lt_f32_e32 v39, v8
	s_cbranch_execz .LBB280_93
; %bb.92:
	v_dual_mov_b32 v81, v58 :: v_dual_mov_b32 v82, v57
	v_dual_mov_b32 v83, v59 :: v_dual_mov_b32 v84, v38
	;; [unrolled: 1-line block ×19, first 2 shown]
	v_mov_b32_e32 v40, v39
.LBB280_93:
	s_or_b32 exec_lo, exec_lo, s2
	s_delay_alu instid0(VALU_DEP_1)
	v_cmp_lt_f32_e32 vcc_lo, v40, v9
	v_dual_mov_b32 v38, v2 :: v_dual_mov_b32 v41, v5
	v_dual_mov_b32 v42, v6 :: v_dual_mov_b32 v47, v11
	v_dual_cndmask_b32 v145, v33, v32 :: v_dual_cndmask_b32 v32, v32, v33
	v_dual_cndmask_b32 v146, v21, v20 :: v_dual_mov_b32 v39, v3
	v_dual_cndmask_b32 v20, v20, v21 :: v_dual_cndmask_b32 v45, v9, v40
	v_dual_cndmask_b32 v44, v8, v9 :: v_dual_mov_b32 v37, v1
	v_dual_mov_b32 v40, v4 :: v_dual_mov_b32 v43, v7
	v_mov_b32_e32 v46, v10
	v_mov_b32_e32 v48, v12
	s_mov_b32 s2, exec_lo
	v_cmpx_lt_f32_e32 v1, v2
	s_cbranch_execz .LBB280_95
; %bb.94:
	v_dual_mov_b32 v49, v38 :: v_dual_mov_b32 v50, v37
	v_dual_mov_b32 v51, v39 :: v_dual_mov_b32 v52, v40
	;; [unrolled: 1-line block ×6, first 2 shown]
	v_mov_b32_e32 v3, v25
	v_mov_b32_e32 v4, v13
	v_dual_mov_b32 v37, v49 :: v_dual_mov_b32 v40, v52
	v_swap_b32 v25, v26
	v_swap_b32 v13, v14
	v_dual_mov_b32 v38, v50 :: v_dual_mov_b32 v39, v51
	v_dual_mov_b32 v41, v53 :: v_dual_mov_b32 v42, v54
	;; [unrolled: 1-line block ×5, first 2 shown]
	v_mov_b32_e32 v2, v1
.LBB280_95:
	s_or_b32 exec_lo, exec_lo, s2
	v_mov_b32_e32 v21, v146
	v_dual_mov_b32 v33, v145 :: v_dual_mov_b32 v60, v24
	v_dual_mov_b32 v72, v36 :: v_dual_mov_b32 v61, v25
	;; [unrolled: 1-line block ×43, first 2 shown]
	v_mov_b32_e32 v97, v13
	v_mov_b32_e32 v1, v39
	s_mov_b32 s2, exec_lo
	v_dual_mov_b32 v95, v35 :: v_dual_mov_b32 v94, v34
	v_dual_mov_b32 v93, v33 :: v_dual_mov_b32 v92, v32
	;; [unrolled: 1-line block ×5, first 2 shown]
	v_cmpx_lt_f32_e32 v2, v39
	s_cbranch_execz .LBB280_97
; %bb.96:
	v_dual_mov_b32 v108, v24 :: v_dual_mov_b32 v107, v23
	v_dual_mov_b32 v98, v14 :: v_dual_mov_b32 v97, v13
	v_mov_b32_e32 v98, v15
	v_dual_mov_b32 v104, v20 :: v_dual_mov_b32 v103, v19
	v_dual_mov_b32 v100, v16 :: v_dual_mov_b32 v99, v15
	;; [unrolled: 1-line block ×26, first 2 shown]
	v_mov_b32_e32 v84, v144
	v_dual_mov_b32 v74, v134 :: v_dual_mov_b32 v77, v137
	v_mov_b32_e32 v75, v135
	v_dual_mov_b32 v38, v39 :: v_dual_mov_b32 v85, v121
	v_dual_mov_b32 v76, v136 :: v_dual_mov_b32 v79, v139
	;; [unrolled: 1-line block ×10, first 2 shown]
	v_mov_b32_e32 v39, v2
	v_dual_mov_b32 v49, v73 :: v_dual_mov_b32 v50, v74
	v_dual_mov_b32 v59, v83 :: v_dual_mov_b32 v60, v84
	;; [unrolled: 1-line block ×18, first 2 shown]
	v_mov_b32_e32 v70, v34
	v_dual_mov_b32 v72, v36 :: v_dual_mov_b32 v1, v2
	v_mov_b32_e32 v27, v26
	v_mov_b32_e32 v15, v14
.LBB280_97:
	s_or_b32 exec_lo, exec_lo, s2
	v_mov_b32_e32 v2, v40
	s_mov_b32 s2, exec_lo
	v_cmpx_lt_f32_e32 v1, v40
	s_cbranch_execz .LBB280_99
; %bb.98:
	v_mov_b32_e32 v99, v16
	v_mov_b32_e32 v144, v108
	;; [unrolled: 1-line block ×3, first 2 shown]
	v_dual_mov_b32 v136, v15 :: v_dual_mov_b32 v111, v28
	v_dual_mov_b32 v142, v106 :: v_dual_mov_b32 v133, v97
	;; [unrolled: 1-line block ×4, first 2 shown]
	v_mov_b32_e32 v135, v99
	v_dual_mov_b32 v125, v113 :: v_dual_mov_b32 v124, v112
	v_mov_b32_e32 v143, v107
	v_dual_mov_b32 v141, v105 :: v_dual_mov_b32 v140, v104
	v_dual_mov_b32 v139, v103 :: v_dual_mov_b32 v138, v102
	;; [unrolled: 1-line block ×18, first 2 shown]
	v_mov_b32_e32 v95, v131
	v_dual_mov_b32 v89, v29 :: v_dual_mov_b32 v88, v124
	v_dual_mov_b32 v49, v73 :: v_dual_mov_b32 v54, v78
	v_mov_b32_e32 v50, v74
	v_dual_mov_b32 v52, v76 :: v_dual_mov_b32 v61, v85
	s_delay_alu instid0(VALU_DEP_4)
	v_dual_mov_b32 v64, v88 :: v_dual_mov_b32 v51, v75
	v_dual_mov_b32 v56, v80 :: v_dual_mov_b32 v53, v77
	;; [unrolled: 1-line block ×12, first 2 shown]
	v_mov_b32_e32 v58, v22
	v_dual_mov_b32 v57, v146 :: v_dual_mov_b32 v60, v24
	v_dual_mov_b32 v59, v23 :: v_dual_mov_b32 v62, v86
	;; [unrolled: 1-line block ×5, first 2 shown]
	v_mov_b32_e32 v2, v1
	v_mov_b32_e32 v28, v27
	;; [unrolled: 1-line block ×3, first 2 shown]
.LBB280_99:
	s_or_b32 exec_lo, exec_lo, s2
	v_mov_b32_e32 v1, v41
	s_mov_b32 s2, exec_lo
	v_cmpx_lt_f32_e32 v2, v41
	s_cbranch_execz .LBB280_101
; %bb.100:
	v_mov_b32_e32 v100, v17
	v_mov_b32_e32 v73, v97
	;; [unrolled: 1-line block ×3, first 2 shown]
	v_dual_mov_b32 v77, v16 :: v_dual_mov_b32 v78, v102
	v_dual_mov_b32 v112, v29 :: v_dual_mov_b32 v75, v99
	;; [unrolled: 1-line block ×3, first 2 shown]
	v_mov_b32_e32 v84, v108
	v_dual_mov_b32 v74, v98 :: v_dual_mov_b32 v85, v109
	v_mov_b32_e32 v86, v110
	v_dual_mov_b32 v76, v100 :: v_dual_mov_b32 v79, v103
	v_dual_mov_b32 v80, v104 :: v_dual_mov_b32 v81, v105
	;; [unrolled: 1-line block ×8, first 2 shown]
	v_mov_b32_e32 v49, v73
	v_dual_mov_b32 v89, v28 :: v_dual_mov_b32 v50, v74
	v_dual_mov_b32 v59, v83 :: v_dual_mov_b32 v60, v84
	;; [unrolled: 1-line block ×32, first 2 shown]
	v_mov_b32_e32 v17, v16
.LBB280_101:
	s_or_b32 exec_lo, exec_lo, s2
	v_mov_b32_e32 v2, v42
	s_mov_b32 s2, exec_lo
	v_cmpx_lt_f32_e32 v1, v42
	s_cbranch_execz .LBB280_103
; %bb.102:
	v_mov_b32_e32 v137, v18
	v_mov_b32_e32 v125, v30
	v_dual_mov_b32 v41, v42 :: v_dual_mov_b32 v42, v1
	v_dual_mov_b32 v49, v133 :: v_dual_mov_b32 v50, v134
	;; [unrolled: 1-line block ×13, first 2 shown]
	v_mov_b32_e32 v66, v29
	v_dual_mov_b32 v85, v121 :: v_dual_mov_b32 v86, v122
	v_dual_mov_b32 v73, v133 :: v_dual_mov_b32 v74, v134
	;; [unrolled: 1-line block ×4, first 2 shown]
	v_mov_b32_e32 v64, v124
	v_dual_mov_b32 v58, v22 :: v_dual_mov_b32 v59, v23
	v_dual_mov_b32 v67, v31 :: v_dual_mov_b32 v68, v32
	;; [unrolled: 1-line block ×8, first 2 shown]
	v_mov_b32_e32 v2, v1
	v_mov_b32_e32 v30, v29
	v_dual_mov_b32 v18, v17 :: v_dual_mov_b32 v91, v127
	v_dual_mov_b32 v92, v128 :: v_dual_mov_b32 v93, v129
	;; [unrolled: 1-line block ×6, first 2 shown]
	v_mov_b32_e32 v84, v144
.LBB280_103:
	s_or_b32 exec_lo, exec_lo, s2
	v_mov_b32_e32 v1, v43
	s_mov_b32 s2, exec_lo
	v_cmpx_lt_f32_e32 v2, v43
	s_cbranch_execz .LBB280_105
; %bb.104:
	v_dual_mov_b32 v94, v34 :: v_dual_mov_b32 v95, v35
	v_dual_mov_b32 v78, v19 :: v_dual_mov_b32 v79, v18
	;; [unrolled: 1-line block ×6, first 2 shown]
	v_mov_b32_e32 v96, v36
	v_dual_mov_b32 v42, v43 :: v_dual_mov_b32 v43, v2
	v_dual_mov_b32 v84, v24 :: v_dual_mov_b32 v61, v85
	;; [unrolled: 1-line block ×14, first 2 shown]
.LBB280_105:
	s_or_b32 exec_lo, exec_lo, s2
	s_delay_alu instid0(VALU_DEP_1)
	v_cmp_lt_f32_e32 vcc_lo, v1, v44
	v_dual_mov_b32 v3, v39 :: v_dual_mov_b32 v10, v46
	v_dual_mov_b32 v5, v41 :: v_dual_mov_b32 v12, v48
	v_dual_cndmask_b32 v121, v68, v67 :: v_dual_mov_b32 v2, v38
	v_dual_cndmask_b32 v67, v67, v68 :: v_dual_cndmask_b32 v122, v56, v55
	v_dual_cndmask_b32 v55, v55, v56 :: v_dual_cndmask_b32 v8, v44, v1
	v_dual_cndmask_b32 v7, v43, v44 :: v_dual_mov_b32 v4, v40
	v_dual_mov_b32 v1, v37 :: v_dual_mov_b32 v6, v42
	v_mov_b32_e32 v9, v45
	v_mov_b32_e32 v11, v47
	s_mov_b32 s2, exec_lo
	v_cmpx_lt_f32_e32 v37, v38
	s_cbranch_execz .LBB280_107
; %bb.106:
	v_dual_mov_b32 v13, v2 :: v_dual_mov_b32 v14, v1
	v_dual_mov_b32 v15, v3 :: v_dual_mov_b32 v16, v4
	v_dual_mov_b32 v17, v5 :: v_dual_mov_b32 v18, v6
	v_dual_mov_b32 v19, v7 :: v_dual_mov_b32 v20, v8
	v_dual_mov_b32 v21, v9 :: v_dual_mov_b32 v22, v10
	v_dual_mov_b32 v23, v11 :: v_dual_mov_b32 v24, v12
	v_mov_b32_e32 v25, v61
	v_mov_b32_e32 v26, v49
	v_dual_mov_b32 v1, v13 :: v_dual_mov_b32 v4, v16
	v_swap_b32 v61, v62
	v_swap_b32 v49, v50
	v_dual_mov_b32 v2, v14 :: v_dual_mov_b32 v3, v15
	v_dual_mov_b32 v5, v17 :: v_dual_mov_b32 v6, v18
	;; [unrolled: 1-line block ×5, first 2 shown]
	v_mov_b32_e32 v38, v37
.LBB280_107:
	s_or_b32 exec_lo, exec_lo, s2
	v_mov_b32_e32 v56, v122
	v_mov_b32_e32 v68, v121
	;; [unrolled: 1-line block ×3, first 2 shown]
	v_dual_mov_b32 v27, v51 :: v_dual_mov_b32 v84, v72
	v_mov_b32_e32 v81, v69
	v_dual_mov_b32 v83, v71 :: v_dual_mov_b32 v96, v60
	v_dual_mov_b32 v91, v55 :: v_dual_mov_b32 v120, v72
	;; [unrolled: 1-line block ×31, first 2 shown]
	v_mov_b32_e32 v24, v60
	s_mov_b32 s2, exec_lo
	v_dual_mov_b32 v118, v70 :: v_dual_mov_b32 v115, v67
	v_dual_mov_b32 v116, v68 :: v_dual_mov_b32 v113, v65
	;; [unrolled: 1-line block ×3, first 2 shown]
	v_cmpx_lt_f32_e32 v38, v3
	s_cbranch_execz .LBB280_109
; %bb.108:
	v_dual_mov_b32 v13, v49 :: v_dual_mov_b32 v14, v50
	v_dual_mov_b32 v23, v59 :: v_dual_mov_b32 v24, v60
	;; [unrolled: 1-line block ×30, first 2 shown]
	v_mov_b32_e32 v112, v64
	v_dual_mov_b32 v34, v94 :: v_dual_mov_b32 v35, v95
	v_dual_mov_b32 v35, v59 :: v_dual_mov_b32 v34, v58
	;; [unrolled: 1-line block ×15, first 2 shown]
	v_mov_b32_e32 v81, v69
	v_dual_mov_b32 v80, v121 :: v_dual_mov_b32 v83, v71
	v_mov_b32_e32 v82, v70
	v_dual_mov_b32 v84, v72 :: v_dual_mov_b32 v37, v38
	v_mov_b32_e32 v63, v62
	v_mov_b32_e32 v51, v50
.LBB280_109:
	s_or_b32 exec_lo, exec_lo, s2
	v_mov_b32_e32 v38, v4
	s_mov_b32 s2, exec_lo
	v_cmpx_lt_f32_e32 v37, v4
	s_cbranch_execz .LBB280_111
; %bb.110:
	v_mov_b32_e32 v15, v52
	v_mov_b32_e32 v96, v24
	v_mov_b32_e32 v88, v16
	v_dual_mov_b32 v88, v51 :: v_dual_mov_b32 v99, v64
	v_dual_mov_b32 v94, v22 :: v_dual_mov_b32 v85, v13
	;; [unrolled: 1-line block ×3, first 2 shown]
	v_mov_b32_e32 v95, v23
	v_dual_mov_b32 v93, v21 :: v_dual_mov_b32 v92, v20
	v_dual_mov_b32 v91, v19 :: v_dual_mov_b32 v90, v18
	;; [unrolled: 1-line block ×7, first 2 shown]
	v_mov_b32_e32 v87, v15
	v_dual_mov_b32 v111, v99 :: v_dual_mov_b32 v110, v98
	v_dual_mov_b32 v112, v63 :: v_dual_mov_b32 v25, v85
	;; [unrolled: 1-line block ×3, first 2 shown]
	s_delay_alu instid0(VALU_DEP_3)
	v_dual_mov_b32 v74, v110 :: v_dual_mov_b32 v29, v89
	v_dual_mov_b32 v30, v90 :: v_dual_mov_b32 v31, v91
	;; [unrolled: 1-line block ×8, first 2 shown]
	v_mov_b32_e32 v84, v120
	v_dual_mov_b32 v3, v4 :: v_dual_mov_b32 v4, v37
	v_dual_mov_b32 v27, v87 :: v_dual_mov_b32 v28, v88
	;; [unrolled: 1-line block ×11, first 2 shown]
	v_mov_b32_e32 v38, v37
	v_mov_b32_e32 v64, v63
	;; [unrolled: 1-line block ×3, first 2 shown]
.LBB280_111:
	s_or_b32 exec_lo, exec_lo, s2
	v_mov_b32_e32 v16, v5
	s_mov_b32 s2, exec_lo
	v_cmpx_lt_f32_e32 v38, v5
	s_cbranch_execz .LBB280_113
; %bb.112:
	v_mov_b32_e32 v100, v65
	v_mov_b32_e32 v16, v53
	v_dual_mov_b32 v4, v5 :: v_dual_mov_b32 v5, v38
	v_dual_mov_b32 v36, v24 :: v_dual_mov_b32 v33, v21
	;; [unrolled: 1-line block ×3, first 2 shown]
	v_mov_b32_e32 v31, v19
	v_dual_mov_b32 v35, v59 :: v_dual_mov_b32 v34, v58
	v_dual_mov_b32 v73, v97 :: v_dual_mov_b32 v32, v20
	;; [unrolled: 1-line block ×8, first 2 shown]
	v_mov_b32_e32 v77, v64
	v_dual_mov_b32 v84, v108 :: v_dual_mov_b32 v79, v67
	v_dual_mov_b32 v120, v108 :: v_dual_mov_b32 v115, v103
	v_dual_mov_b32 v96, v24 :: v_dual_mov_b32 v91, v19
	v_dual_mov_b32 v28, v16 :: v_dual_mov_b32 v25, v13
	v_dual_mov_b32 v26, v14 :: v_dual_mov_b32 v29, v52
	v_dual_mov_b32 v30, v54 :: v_dual_mov_b32 v31, v55
	v_dual_mov_b32 v32, v122 :: v_dual_mov_b32 v33, v57
	v_dual_mov_b32 v36, v60 :: v_dual_mov_b32 v75, v99
	v_dual_mov_b32 v78, v66 :: v_dual_mov_b32 v81, v69
	v_dual_mov_b32 v80, v121 :: v_dual_mov_b32 v83, v71
	v_dual_mov_b32 v82, v70 :: v_dual_mov_b32 v119, v107
	v_dual_mov_b32 v84, v72 :: v_dual_mov_b32 v117, v105
	v_dual_mov_b32 v116, v104 :: v_dual_mov_b32 v111, v99
	v_dual_mov_b32 v114, v102 :: v_dual_mov_b32 v109, v97
	v_dual_mov_b32 v112, v100 :: v_dual_mov_b32 v95, v23
	v_dual_mov_b32 v110, v98 :: v_dual_mov_b32 v93, v21
	v_dual_mov_b32 v94, v22 :: v_dual_mov_b32 v89, v17
	v_dual_mov_b32 v92, v20 :: v_dual_mov_b32 v87, v15
	v_dual_mov_b32 v90, v18 :: v_dual_mov_b32 v85, v13
	v_mov_b32_e32 v88, v16
	v_dual_mov_b32 v86, v14 :: v_dual_mov_b32 v65, v64
	v_dual_mov_b32 v16, v38 :: v_dual_mov_b32 v53, v52
	;; [unrolled: 1-line block ×3, first 2 shown]
.LBB280_113:
	s_or_b32 exec_lo, exec_lo, s2
	v_mov_b32_e32 v13, v6
	s_mov_b32 s2, exec_lo
	v_cmpx_lt_f32_e32 v16, v6
	s_cbranch_execz .LBB280_115
; %bb.114:
	v_dual_mov_b32 v89, v54 :: v_dual_mov_b32 v90, v53
	v_dual_mov_b32 v91, v55 :: v_dual_mov_b32 v92, v122
	;; [unrolled: 1-line block ×21, first 2 shown]
	v_mov_b32_e32 v13, v16
.LBB280_115:
	s_or_b32 exec_lo, exec_lo, s2
	s_delay_alu instid0(VALU_DEP_1)
	v_cmp_lt_f32_e32 vcc_lo, v13, v7
	v_dual_mov_b32 v14, v2 :: v_dual_mov_b32 v17, v5
	v_dual_mov_b32 v16, v4 :: v_dual_mov_b32 v21, v9
	v_dual_cndmask_b32 v37, v79, v78 :: v_dual_cndmask_b32 v78, v78, v79
	v_cndmask_b32_e32 v38, v31, v30, vcc_lo
	v_dual_cndmask_b32 v30, v30, v31 :: v_dual_cndmask_b32 v19, v7, v13
	v_dual_cndmask_b32 v18, v6, v7 :: v_dual_mov_b32 v15, v3
	v_dual_mov_b32 v13, v1 :: v_dual_mov_b32 v20, v8
	v_dual_mov_b32 v23, v11 :: v_dual_mov_b32 v22, v10
	v_mov_b32_e32 v24, v12
	s_mov_b32 s2, exec_lo
	v_cmpx_lt_f32_e32 v1, v2
	s_cbranch_execz .LBB280_117
; %bb.116:
	v_dual_mov_b32 v2, v14 :: v_dual_mov_b32 v3, v13
	v_dual_mov_b32 v12, v23 :: v_dual_mov_b32 v13, v24
	;; [unrolled: 1-line block ×6, first 2 shown]
	v_mov_b32_e32 v24, v13
	v_mov_b32_e32 v31, v73
	v_dual_mov_b32 v39, v25 :: v_dual_mov_b32 v18, v7
	v_swap_b32 v73, v74
	v_swap_b32 v25, v26
	v_dual_mov_b32 v23, v12 :: v_dual_mov_b32 v20, v9
	v_dual_mov_b32 v22, v11 :: v_dual_mov_b32 v21, v10
	;; [unrolled: 1-line block ×4, first 2 shown]
	v_mov_b32_e32 v15, v4
	v_dual_mov_b32 v13, v2 :: v_dual_mov_b32 v2, v1
.LBB280_117:
	s_or_b32 exec_lo, exec_lo, s2
	v_mov_b32_e32 v31, v38
	v_dual_mov_b32 v79, v37 :: v_dual_mov_b32 v50, v36
	v_dual_mov_b32 v51, v73 :: v_dual_mov_b32 v52, v74
	;; [unrolled: 1-line block ×24, first 2 shown]
	v_mov_b32_e32 v85, v25
	v_mov_b32_e32 v1, v15
	s_mov_b32 s2, exec_lo
	v_cmpx_lt_f32_e32 v2, v15
	s_cbranch_execz .LBB280_119
; %bb.118:
	v_dual_mov_b32 v96, v36 :: v_dual_mov_b32 v95, v35
	v_dual_mov_b32 v86, v26 :: v_dual_mov_b32 v85, v25
	v_dual_mov_b32 v90, v30 :: v_dual_mov_b32 v89, v29
	v_dual_mov_b32 v88, v28 :: v_dual_mov_b32 v87, v27
	v_dual_mov_b32 v94, v34 :: v_dual_mov_b32 v93, v33
	v_dual_mov_b32 v92, v32 :: v_dual_mov_b32 v91, v31
	v_dual_mov_b32 v86, v27 :: v_dual_mov_b32 v87, v26
	v_dual_mov_b32 v39, v85 :: v_dual_mov_b32 v108, v84
	v_mov_b32_e32 v105, v81
	v_dual_mov_b32 v43, v89 :: v_dual_mov_b32 v44, v90
	v_dual_mov_b32 v100, v76 :: v_dual_mov_b32 v97, v73
	;; [unrolled: 1-line block ×6, first 2 shown]
	v_mov_b32_e32 v98, v74
	v_dual_mov_b32 v98, v75 :: v_dual_mov_b32 v99, v74
	v_dual_mov_b32 v49, v95 :: v_dual_mov_b32 v50, v96
	;; [unrolled: 1-line block ×12, first 2 shown]
	v_mov_b32_e32 v40, v86
	v_dual_mov_b32 v42, v28 :: v_dual_mov_b32 v43, v29
	v_dual_mov_b32 v45, v38 :: v_dual_mov_b32 v46, v32
	;; [unrolled: 1-line block ×9, first 2 shown]
	v_mov_b32_e32 v75, v74
	v_mov_b32_e32 v27, v26
.LBB280_119:
	s_or_b32 exec_lo, exec_lo, s2
	v_mov_b32_e32 v2, v16
	s_mov_b32 s2, exec_lo
	v_cmpx_lt_f32_e32 v1, v16
	s_cbranch_execz .LBB280_121
; %bb.120:
	v_mov_b32_e32 v87, v28
	v_mov_b32_e32 v99, v76
	v_dual_mov_b32 v15, v16 :: v_dual_mov_b32 v16, v1
	v_dual_mov_b32 v39, v85 :: v_dual_mov_b32 v42, v88
	;; [unrolled: 1-line block ×13, first 2 shown]
	v_mov_b32_e32 v56, v78
	v_mov_b32_e32 v40, v86
	v_dual_mov_b32 v42, v27 :: v_dual_mov_b32 v43, v29
	v_dual_mov_b32 v45, v38 :: v_dual_mov_b32 v46, v32
	;; [unrolled: 1-line block ×8, first 2 shown]
	v_mov_b32_e32 v2, v1
	v_mov_b32_e32 v76, v75
	;; [unrolled: 1-line block ×3, first 2 shown]
.LBB280_121:
	s_or_b32 exec_lo, exec_lo, s2
	v_mov_b32_e32 v1, v17
	s_mov_b32 s2, exec_lo
	v_cmpx_lt_f32_e32 v2, v17
	s_cbranch_execz .LBB280_123
; %bb.122:
	v_dual_mov_b32 v106, v82 :: v_dual_mov_b32 v107, v83
	v_dual_mov_b32 v88, v29 :: v_dual_mov_b32 v89, v28
	;; [unrolled: 1-line block ×8, first 2 shown]
	v_mov_b32_e32 v108, v84
	v_dual_mov_b32 v16, v17 :: v_dual_mov_b32 v17, v2
	v_dual_mov_b32 v96, v36 :: v_dual_mov_b32 v51, v97
	;; [unrolled: 1-line block ×14, first 2 shown]
.LBB280_123:
	s_or_b32 exec_lo, exec_lo, s2
	s_delay_alu instid0(VALU_DEP_1)
	v_cmp_lt_f32_e32 vcc_lo, v1, v18
	v_dual_mov_b32 v27, v13 :: v_dual_mov_b32 v34, v20
	v_dual_mov_b32 v29, v15 :: v_dual_mov_b32 v36, v22
	v_dual_cndmask_b32 v63, v56, v55 :: v_dual_cndmask_b32 v32, v18, v1
	v_dual_cndmask_b32 v55, v55, v56 :: v_dual_cndmask_b32 v64, v44, v43
	v_dual_cndmask_b32 v43, v43, v44 :: v_dual_mov_b32 v28, v14
	v_dual_cndmask_b32 v31, v17, v18 :: v_dual_mov_b32 v30, v16
	v_dual_mov_b32 v33, v19 :: v_dual_mov_b32 v38, v24
	v_mov_b32_e32 v35, v21
	v_mov_b32_e32 v37, v23
	s_mov_b32 s2, exec_lo
	v_cmpx_lt_f32_e32 v13, v14
	s_cbranch_execz .LBB280_125
; %bb.124:
	s_delay_alu instid0(VALU_DEP_2)
	v_dual_mov_b32 v11, v37 :: v_dual_mov_b32 v12, v38
	v_dual_mov_b32 v1, v28 :: v_dual_mov_b32 v2, v27
	;; [unrolled: 1-line block ×7, first 2 shown]
	s_delay_alu instid0(VALU_DEP_2)
	v_dual_mov_b32 v16, v39 :: v_dual_mov_b32 v35, v9
	v_swap_b32 v51, v52
	v_swap_b32 v39, v40
	v_dual_mov_b32 v37, v11 :: v_dual_mov_b32 v36, v10
	v_dual_mov_b32 v34, v8 :: v_dual_mov_b32 v33, v7
	;; [unrolled: 1-line block ×5, first 2 shown]
	v_mov_b32_e32 v14, v13
.LBB280_125:
	s_or_b32 exec_lo, exec_lo, s2
	v_mov_b32_e32 v44, v64
	v_mov_b32_e32 v56, v63
	v_mov_b32_e32 v1, v39
	v_mov_b32_e32 v3, v41
	v_dual_mov_b32 v15, v51 :: v_dual_mov_b32 v2, v40
	v_dual_mov_b32 v16, v52 :: v_dual_mov_b32 v17, v53
	;; [unrolled: 1-line block ×11, first 2 shown]
	v_mov_b32_e32 v12, v50
	s_mov_b32 s2, exec_lo
	v_cmpx_lt_f32_e32 v14, v29
	s_cbranch_execz .LBB280_127
; %bb.126:
	v_dual_mov_b32 v1, v39 :: v_dual_mov_b32 v2, v40
	v_dual_mov_b32 v11, v49 :: v_dual_mov_b32 v12, v50
	;; [unrolled: 1-line block ×25, first 2 shown]
	v_mov_b32_e32 v41, v40
.LBB280_127:
	s_or_b32 exec_lo, exec_lo, s2
	v_mov_b32_e32 v39, v30
	s_mov_b32 s2, exec_lo
	v_cmpx_lt_f32_e32 v13, v30
	s_cbranch_execz .LBB280_129
; %bb.128:
	v_dual_mov_b32 v29, v30 :: v_dual_mov_b32 v30, v13
	v_dual_mov_b32 v3, v42 :: v_dual_mov_b32 v4, v41
	;; [unrolled: 1-line block ×11, first 2 shown]
	v_mov_b32_e32 v39, v13
.LBB280_129:
	s_or_b32 exec_lo, exec_lo, s2
	s_delay_alu instid0(VALU_DEP_1)
	v_cmp_lt_f32_e32 vcc_lo, v39, v31
	v_dual_mov_b32 v40, v28 :: v_dual_mov_b32 v45, v33
	v_dual_mov_b32 v44, v32 :: v_dual_mov_b32 v47, v35
	v_dual_cndmask_b32 v13, v19, v18 :: v_dual_cndmask_b32 v18, v18, v19
	v_dual_cndmask_b32 v14, v5, v4 :: v_dual_cndmask_b32 v43, v31, v39
	v_dual_cndmask_b32 v4, v4, v5 :: v_dual_mov_b32 v39, v27
	v_dual_cndmask_b32 v42, v30, v31 :: v_dual_mov_b32 v41, v29
	v_dual_mov_b32 v46, v34 :: v_dual_mov_b32 v49, v37
	v_mov_b32_e32 v48, v36
	v_mov_b32_e32 v50, v38
	s_mov_b32 s2, exec_lo
	v_cmpx_lt_f32_e32 v27, v28
	s_cbranch_execz .LBB280_131
; %bb.130:
	v_dual_mov_b32 v28, v40 :: v_dual_mov_b32 v29, v39
	v_dual_mov_b32 v38, v49 :: v_dual_mov_b32 v39, v50
	v_dual_mov_b32 v30, v41 :: v_dual_mov_b32 v31, v42
	v_dual_mov_b32 v32, v43 :: v_dual_mov_b32 v33, v44
	v_dual_mov_b32 v34, v45 :: v_dual_mov_b32 v35, v46
	v_dual_mov_b32 v36, v47 :: v_dual_mov_b32 v37, v48
	v_dual_mov_b32 v19, v1 :: v_dual_mov_b32 v50, v39
	v_mov_b32_e32 v5, v15
	v_swap_b32 v15, v16
	s_delay_alu instid0(VALU_DEP_4)
	v_mov_b32_e32 v48, v37
	v_swap_b32 v1, v2
	v_dual_mov_b32 v49, v38 :: v_dual_mov_b32 v46, v35
	v_dual_mov_b32 v47, v36 :: v_dual_mov_b32 v44, v33
	;; [unrolled: 1-line block ×4, first 2 shown]
	v_mov_b32_e32 v41, v30
	v_dual_mov_b32 v39, v28 :: v_dual_mov_b32 v28, v27
.LBB280_131:
	s_or_b32 exec_lo, exec_lo, s2
	v_mov_b32_e32 v5, v14
	v_mov_b32_e32 v19, v13
	v_mov_b32_e32 v27, v41
	s_mov_b32 s2, exec_lo
	v_cmpx_lt_f32_e32 v28, v41
	s_cbranch_execz .LBB280_133
; %bb.132:
	v_dual_mov_b32 v74, v26 :: v_dual_mov_b32 v73, v25
	v_dual_mov_b32 v62, v12 :: v_dual_mov_b32 v61, v11
	;; [unrolled: 1-line block ×22, first 2 shown]
	v_mov_b32_e32 v74, v26
	v_dual_mov_b32 v40, v41 :: v_dual_mov_b32 v41, v28
	v_dual_mov_b32 v62, v12 :: v_dual_mov_b32 v15, v63
	;; [unrolled: 1-line block ×14, first 2 shown]
.LBB280_133:
	s_or_b32 exec_lo, exec_lo, s2
	s_delay_alu instid0(VALU_DEP_1)
	v_cmp_lt_f32_e32 vcc_lo, v27, v42
	v_dual_mov_b32 v28, v23 :: v_dual_mov_b32 v29, v24
	v_dual_mov_b32 v30, v25 :: v_dual_mov_b32 v31, v26
	v_dual_cndmask_b32 v13, v18, v17 :: v_dual_cndmask_b32 v14, v4, v3
	v_dual_cndmask_b32 v51, v17, v18 :: v_dual_cndmask_b32 v56, v3, v4
	;; [unrolled: 1-line block ×3, first 2 shown]
	v_cmp_lt_f32_e32 vcc_lo, v39, v40
	v_dual_mov_b32 v4, v19 :: v_dual_mov_b32 v17, v20
	v_dual_mov_b32 v18, v21 :: v_dual_mov_b32 v27, v22
	;; [unrolled: 1-line block ×10, first 2 shown]
	v_mov_b32_e32 v59, v50
	s_and_saveexec_b32 s2, vcc_lo
	s_cbranch_execz .LBB280_135
; %bb.134:
	v_dual_mov_b32 v42, v40 :: v_dual_mov_b32 v27, v22
	v_dual_mov_b32 v4, v15 :: v_dual_mov_b32 v17, v20
	;; [unrolled: 1-line block ×3, first 2 shown]
	v_swap_b32 v15, v16
	v_swap_b32 v1, v2
	v_dual_mov_b32 v40, v39 :: v_dual_mov_b32 v29, v24
	v_dual_mov_b32 v4, v19 :: v_dual_mov_b32 v31, v26
	;; [unrolled: 1-line block ×11, first 2 shown]
	v_mov_b32_e32 v54, v46
	v_mov_b32_e32 v58, v49
.LBB280_135:
	s_or_b32 exec_lo, exec_lo, s2
	s_clause 0x1
	s_load_b32 s8, s[0:1], 0x28
	s_load_b128 s[4:7], s[0:1], 0x10
	s_waitcnt lgkmcnt(0)
	s_cmp_lt_i32 s8, 1
	s_cbranch_scc1 .LBB280_141
; %bb.136:
	v_cmp_lt_f32_e32 vcc_lo, v40, v60
	v_dual_mov_b32 v7, 0 :: v_dual_mov_b32 v6, 0
	s_mov_b32 s9, 0x76543210
	s_mov_b32 s10, s8
	v_dual_cndmask_b32 v5, v56, v2 :: v_dual_cndmask_b32 v12, v61, v60
	v_dual_cndmask_b32 v10, v2, v56 :: v_dual_cndmask_b32 v19, v16, v51
	v_cndmask_b32_e32 v2, v60, v40, vcc_lo
	v_cndmask_b32_e32 v8, v51, v16, vcc_lo
	s_delay_alu instid0(VALU_DEP_4) | instskip(NEXT) | instid1(VALU_DEP_1)
	v_cmp_lt_f32_e64 s2, v39, v12
	v_cndmask_b32_e64 v9, v10, v1, s2
	v_cndmask_b32_e64 v10, v1, v10, s2
	;; [unrolled: 1-line block ×6, first 2 shown]
	v_mov_b32_e32 v19, v0
	v_mov_b32_e32 v1, 0
.LBB280_137:                            ; =>This Inner Loop Header: Depth=1
	v_cmp_eq_u32_e32 vcc_lo, 1, v7
	v_cmp_eq_u32_e64 s2, 2, v7
	v_cmp_gt_u32_e64 s3, 12, v7
	v_dual_cndmask_b32 v20, v12, v11 :: v_dual_cndmask_b32 v21, v10, v9
	s_delay_alu instid0(VALU_DEP_1) | instskip(NEXT) | instid1(VALU_DEP_2)
	v_cndmask_b32_e64 v20, v20, v2, s2
	v_cndmask_b32_e64 v21, v21, v5, s2
	v_cndmask_b32_e32 v22, v15, v16, vcc_lo
	v_cmp_eq_u32_e32 vcc_lo, 3, v7
	s_delay_alu instid0(VALU_DEP_3) | instskip(NEXT) | instid1(VALU_DEP_3)
	v_cndmask_b32_e32 v21, v21, v14, vcc_lo
	v_cndmask_b32_e64 v22, v22, v8, s2
	v_cmp_eq_u32_e64 s2, 4, v7
	s_delay_alu instid0(VALU_DEP_2) | instskip(NEXT) | instid1(VALU_DEP_2)
	v_cndmask_b32_e32 v22, v22, v13, vcc_lo
	v_cndmask_b32_e64 v21, v21, v32, s2
	v_cndmask_b32_e32 v20, v20, v3, vcc_lo
	v_cmp_eq_u32_e32 vcc_lo, 5, v7
	s_delay_alu instid0(VALU_DEP_4) | instskip(NEXT) | instid1(VALU_DEP_4)
	v_cndmask_b32_e64 v22, v22, v4, s2
	v_cndmask_b32_e32 v21, v21, v33, vcc_lo
	s_delay_alu instid0(VALU_DEP_4) | instskip(SKIP_1) | instid1(VALU_DEP_4)
	v_cndmask_b32_e64 v20, v20, v42, s2
	v_cmp_eq_u32_e64 s2, 6, v7
	v_cndmask_b32_e32 v22, v22, v17, vcc_lo
	s_delay_alu instid0(VALU_DEP_3) | instskip(SKIP_1) | instid1(VALU_DEP_4)
	v_cndmask_b32_e32 v20, v20, v52, vcc_lo
	v_cmp_eq_u32_e32 vcc_lo, 7, v7
	v_cndmask_b32_e64 v21, v21, v34, s2
	s_delay_alu instid0(VALU_DEP_4) | instskip(NEXT) | instid1(VALU_DEP_4)
	v_cndmask_b32_e64 v22, v22, v18, s2
	v_cndmask_b32_e64 v20, v20, v53, s2
	v_cmp_eq_u32_e64 s2, 8, v7
	s_delay_alu instid0(VALU_DEP_4) | instskip(NEXT) | instid1(VALU_DEP_4)
	v_cndmask_b32_e32 v21, v21, v35, vcc_lo
	v_cndmask_b32_e32 v22, v22, v27, vcc_lo
	s_delay_alu instid0(VALU_DEP_4) | instskip(SKIP_1) | instid1(VALU_DEP_4)
	v_cndmask_b32_e32 v20, v20, v54, vcc_lo
	v_cmp_eq_u32_e32 vcc_lo, 9, v7
	v_cndmask_b32_e64 v21, v21, v36, s2
	s_delay_alu instid0(VALU_DEP_4) | instskip(NEXT) | instid1(VALU_DEP_4)
	v_cndmask_b32_e64 v22, v22, v28, s2
	v_cndmask_b32_e64 v20, v20, v55, s2
	v_cmp_eq_u32_e64 s2, 10, v7
	s_delay_alu instid0(VALU_DEP_4) | instskip(NEXT) | instid1(VALU_DEP_4)
	v_cndmask_b32_e32 v21, v21, v37, vcc_lo
	v_cndmask_b32_e32 v22, v22, v29, vcc_lo
	s_delay_alu instid0(VALU_DEP_4) | instskip(SKIP_1) | instid1(VALU_DEP_4)
	v_cndmask_b32_e32 v20, v20, v57, vcc_lo
	v_cmp_eq_u32_e32 vcc_lo, 11, v7
	v_cndmask_b32_e64 v21, v21, v38, s2
	s_delay_alu instid0(VALU_DEP_3) | instskip(NEXT) | instid1(VALU_DEP_1)
	v_cndmask_b32_e64 v20, v20, v58, s2
	v_dual_cndmask_b32 v21, v21, v41 :: v_dual_cndmask_b32 v20, v20, v59
	s_delay_alu instid0(VALU_DEP_1)
	v_cndmask_b32_e64 v20, 0xff800000, v20, s3
	;;#ASMSTART
	v_max_f32 v23, v20, v20 quad_perm:[1,0,3,2] row_mask:0xf bank_mask:0xf bound_ctrl:1
	;;#ASMEND
	;;#ASMSTART
	v_max_f32 v24, v23, v23 quad_perm:[2,3,0,1] row_mask:0xf bank_mask:0xf bound_ctrl:1
	;;#ASMEND
	;;#ASMSTART
	v_max_f32 v23, v24, v24 row_half_mirror row_mask:0xf bank_mask:0xf bound_ctrl:1
	;;#ASMEND
	;;#ASMSTART
	v_max_f32 v24, v23, v23 row_mirror row_mask:0xf bank_mask:0xf bound_ctrl:1
	;;#ASMEND
	v_permlanex16_b32 v23, v24, s9, 0xfedcba98 op_sel:[1,1]
	s_delay_alu instid0(VALU_DEP_1) | instskip(NEXT) | instid1(VALU_DEP_1)
	v_dual_max_f32 v24, v24, v24 :: v_dual_max_f32 v23, v23, v23
	v_max_f32_e32 v23, v24, v23
	v_cndmask_b32_e64 v22, v22, v30, s2
	s_delay_alu instid0(VALU_DEP_2) | instskip(SKIP_1) | instid1(VALU_DEP_2)
	v_cmp_eq_f32_e64 s2, v20, v23
	v_cndmask_b32_e64 v20, 0, v21, s3
	s_ctz_i32_b32 s11, s2
	s_cmp_lg_u32 s2, 0
	s_cselect_b32 s2, s11, 0
	s_add_i32 s10, s10, -1
	v_readlane_b32 s11, v20, s2
	v_cndmask_b32_e32 v20, v22, v31, vcc_lo
	s_delay_alu instid0(VALU_DEP_2)
	v_cmp_eq_u32_e32 vcc_lo, s11, v21
	s_and_b32 s2, s11, 31
	s_and_b32 vcc_lo, s3, vcc_lo
	s_cmp_eq_u32 s10, 0
	v_cndmask_b32_e32 v20, 0, v20, vcc_lo
	v_add_co_ci_u32_e32 v7, vcc_lo, 0, v7, vcc_lo
	s_delay_alu instid0(VALU_DEP_2) | instskip(SKIP_2) | instid1(VALU_DEP_2)
	v_readlane_b32 s3, v20, s2
	v_cmp_eq_u32_e64 s2, 0, v19
	v_add_nc_u32_e32 v19, -1, v19
	v_cndmask_b32_e64 v6, v6, s3, s2
	v_cndmask_b32_e64 v1, v1, s11, s2
	s_cbranch_scc0 .LBB280_137
; %bb.138:
	s_mov_b32 s2, exec_lo
	v_cmpx_gt_i32_e64 s8, v0
	s_cbranch_execz .LBB280_140
.LBB280_139:
	s_clause 0x1
	s_load_b64 s[2:3], s[0:1], 0x20
	s_load_b32 s8, s[0:1], 0x30
	s_ashr_i32 s0, s15, 31
	v_lshlrev_b32_e32 v0, 2, v0
	s_waitcnt lgkmcnt(0)
	s_mul_i32 s1, s15, s3
	s_mul_hi_u32 s3, s15, s2
	s_mul_i32 s0, s0, s2
	s_add_i32 s1, s3, s1
	v_mul_f32_e32 v2, s8, v6
	s_add_i32 s1, s1, s0
	s_mul_i32 s0, s15, s2
	s_delay_alu instid0(SALU_CYCLE_1) | instskip(NEXT) | instid1(SALU_CYCLE_1)
	s_lshl_b64 s[0:1], s[0:1], 2
	s_add_u32 s2, s4, s0
	s_addc_u32 s3, s5, s1
	s_add_u32 s0, s6, s0
	s_addc_u32 s1, s7, s1
	s_clause 0x1
	global_store_b32 v0, v2, s[2:3]
	global_store_b32 v0, v1, s[0:1]
.LBB280_140:
	s_endpgm
.LBB280_141:
	v_dual_mov_b32 v1, 0 :: v_dual_mov_b32 v6, 0
	s_mov_b32 s2, exec_lo
	v_cmpx_gt_i32_e64 s8, v0
	s_cbranch_execnz .LBB280_139
	s_branch .LBB280_140
	.section	.rodata,"a",@progbits
	.p2align	6, 0x0
	.amdhsa_kernel _ZN5aiter24topk_softplus_kernel_optI12hip_bfloat16S1_Li384ELb0ELi1EEEvPKT_PKT0_PfPimiif
		.amdhsa_group_segment_fixed_size 0
		.amdhsa_private_segment_fixed_size 196
		.amdhsa_kernarg_size 52
		.amdhsa_user_sgpr_count 15
		.amdhsa_user_sgpr_dispatch_ptr 0
		.amdhsa_user_sgpr_queue_ptr 0
		.amdhsa_user_sgpr_kernarg_segment_ptr 1
		.amdhsa_user_sgpr_dispatch_id 0
		.amdhsa_user_sgpr_private_segment_size 0
		.amdhsa_wavefront_size32 1
		.amdhsa_uses_dynamic_stack 0
		.amdhsa_enable_private_segment 1
		.amdhsa_system_sgpr_workgroup_id_x 1
		.amdhsa_system_sgpr_workgroup_id_y 0
		.amdhsa_system_sgpr_workgroup_id_z 0
		.amdhsa_system_sgpr_workgroup_info 0
		.amdhsa_system_vgpr_workitem_id 0
		.amdhsa_next_free_vgpr 183
		.amdhsa_next_free_sgpr 16
		.amdhsa_reserve_vcc 1
		.amdhsa_float_round_mode_32 0
		.amdhsa_float_round_mode_16_64 0
		.amdhsa_float_denorm_mode_32 3
		.amdhsa_float_denorm_mode_16_64 3
		.amdhsa_dx10_clamp 1
		.amdhsa_ieee_mode 1
		.amdhsa_fp16_overflow 0
		.amdhsa_workgroup_processor_mode 1
		.amdhsa_memory_ordered 1
		.amdhsa_forward_progress 0
		.amdhsa_shared_vgpr_count 0
		.amdhsa_exception_fp_ieee_invalid_op 0
		.amdhsa_exception_fp_denorm_src 0
		.amdhsa_exception_fp_ieee_div_zero 0
		.amdhsa_exception_fp_ieee_overflow 0
		.amdhsa_exception_fp_ieee_underflow 0
		.amdhsa_exception_fp_ieee_inexact 0
		.amdhsa_exception_int_div_zero 0
	.end_amdhsa_kernel
	.section	.text._ZN5aiter24topk_softplus_kernel_optI12hip_bfloat16S1_Li384ELb0ELi1EEEvPKT_PKT0_PfPimiif,"axG",@progbits,_ZN5aiter24topk_softplus_kernel_optI12hip_bfloat16S1_Li384ELb0ELi1EEEvPKT_PKT0_PfPimiif,comdat
.Lfunc_end280:
	.size	_ZN5aiter24topk_softplus_kernel_optI12hip_bfloat16S1_Li384ELb0ELi1EEEvPKT_PKT0_PfPimiif, .Lfunc_end280-_ZN5aiter24topk_softplus_kernel_optI12hip_bfloat16S1_Li384ELb0ELi1EEEvPKT_PKT0_PfPimiif
                                        ; -- End function
	.section	.AMDGPU.csdata,"",@progbits
; Kernel info:
; codeLenInByte = 27972
; NumSgprs: 18
; NumVgprs: 183
; ScratchSize: 196
; MemoryBound: 0
; FloatMode: 240
; IeeeMode: 1
; LDSByteSize: 0 bytes/workgroup (compile time only)
; SGPRBlocks: 2
; VGPRBlocks: 22
; NumSGPRsForWavesPerEU: 18
; NumVGPRsForWavesPerEU: 183
; Occupancy: 8
; WaveLimiterHint : 0
; COMPUTE_PGM_RSRC2:SCRATCH_EN: 1
; COMPUTE_PGM_RSRC2:USER_SGPR: 15
; COMPUTE_PGM_RSRC2:TRAP_HANDLER: 0
; COMPUTE_PGM_RSRC2:TGID_X_EN: 1
; COMPUTE_PGM_RSRC2:TGID_Y_EN: 0
; COMPUTE_PGM_RSRC2:TGID_Z_EN: 0
; COMPUTE_PGM_RSRC2:TIDIG_COMP_CNT: 0
	.section	.text._ZN5aiter20topk_softplus_kernelI12hip_bfloat16S1_Dv4_fLb1ELi1EEEvPKT_PKT0_PfPimiiif,"axG",@progbits,_ZN5aiter20topk_softplus_kernelI12hip_bfloat16S1_Dv4_fLb1ELi1EEEvPKT_PKT0_PfPimiiif,comdat
	.protected	_ZN5aiter20topk_softplus_kernelI12hip_bfloat16S1_Dv4_fLb1ELi1EEEvPKT_PKT0_PfPimiiif ; -- Begin function _ZN5aiter20topk_softplus_kernelI12hip_bfloat16S1_Dv4_fLb1ELi1EEEvPKT_PKT0_PfPimiiif
	.globl	_ZN5aiter20topk_softplus_kernelI12hip_bfloat16S1_Dv4_fLb1ELi1EEEvPKT_PKT0_PfPimiiif
	.p2align	8
	.type	_ZN5aiter20topk_softplus_kernelI12hip_bfloat16S1_Dv4_fLb1ELi1EEEvPKT_PKT0_PfPimiiif,@function
_ZN5aiter20topk_softplus_kernelI12hip_bfloat16S1_Dv4_fLb1ELi1EEEvPKT_PKT0_PfPimiiif: ; @_ZN5aiter20topk_softplus_kernelI12hip_bfloat16S1_Dv4_fLb1ELi1EEEvPKT_PKT0_PfPimiiif
; %bb.0:
	s_clause 0x1
	s_load_b64 s[12:13], s[0:1], 0x28
	s_load_b256 s[4:11], s[0:1], 0x0
	v_lshlrev_b32_e32 v11, 2, v0
	v_lshl_add_u32 v12, v0, 4, 0
	s_waitcnt lgkmcnt(0)
	s_ashr_i32 s2, s12, 31
	s_mul_i32 s16, s15, s12
	s_lshr_b32 s2, s2, 30
	s_ashr_i32 s17, s16, 31
	s_add_i32 s2, s12, s2
	s_delay_alu instid0(SALU_CYCLE_1) | instskip(NEXT) | instid1(SALU_CYCLE_1)
	s_ashr_i32 s14, s2, 2
	v_cmp_gt_i32_e64 s2, s14, v0
	s_delay_alu instid0(VALU_DEP_1)
	s_and_saveexec_b32 s18, s2
	s_cbranch_execz .LBB281_11
; %bb.1:
	s_load_b32 s3, s[0:1], 0x44
	s_cmp_lg_u64 s[6:7], 0
	v_dual_mov_b32 v6, 0 :: v_dual_lshlrev_b32 v1, 3, v0
	s_cselect_b32 s20, -1, 0
	v_dual_mov_b32 v14, v0 :: v_dual_lshlrev_b32 v5, 2, v0
	v_lshl_add_u32 v13, v0, 4, 0
	s_mov_b32 s19, 0
	s_waitcnt lgkmcnt(0)
	s_and_b32 s21, s3, 0xffff
	s_add_u32 s22, s6, 2
	s_addc_u32 s23, s7, 0
	s_add_u32 s24, s6, 4
	s_addc_u32 s25, s7, 0
	;; [unrolled: 2-line block ×3, first 2 shown]
	s_lshl_b64 s[28:29], s[16:17], 1
	s_delay_alu instid0(SALU_CYCLE_1) | instskip(SKIP_2) | instid1(VALU_DEP_1)
	s_add_u32 s3, s4, s28
	s_addc_u32 s28, s5, s29
	v_add_co_u32 v7, s3, s3, v1
	v_add_co_ci_u32_e64 v8, null, s28, 0, s3
	s_lshl_b32 s28, s21, 3
	s_lshl_b32 s29, s21, 2
	;; [unrolled: 1-line block ×3, first 2 shown]
	s_branch .LBB281_3
.LBB281_2:                              ;   in Loop: Header=BB281_3 Depth=1
	v_add_nc_u32_e32 v14, s21, v14
	v_add_co_u32 v7, s3, v7, s28
	ds_store_b128 v13, v[1:4]
	v_add_co_ci_u32_e64 v8, s3, 0, v8, s3
	v_cmp_le_i32_e32 vcc_lo, s14, v14
	v_add_nc_u32_e32 v5, s29, v5
	v_add_nc_u32_e32 v13, s30, v13
	s_or_b32 s19, vcc_lo, s19
	s_delay_alu instid0(SALU_CYCLE_1)
	s_and_not1_b32 exec_lo, exec_lo, s19
	s_cbranch_execz .LBB281_11
.LBB281_3:                              ; =>This Inner Loop Header: Depth=1
	global_load_b64 v[3:4], v[7:8], off
	v_lshlrev_b64 v[9:10], 1, v[5:6]
	s_waitcnt vmcnt(0)
	v_and_b32_e32 v1, 0xffff, v3
	s_delay_alu instid0(VALU_DEP_1) | instskip(NEXT) | instid1(VALU_DEP_1)
	v_cvt_f32_u32_e32 v1, v1
	v_mul_f32_e32 v2, 0xbfb8aa3b, v1
	s_delay_alu instid0(VALU_DEP_1) | instskip(SKIP_1) | instid1(VALU_DEP_1)
	v_cmp_gt_f32_e32 vcc_lo, 0xc2fc0000, v2
	v_cndmask_b32_e64 v2, 0, 0x42800000, vcc_lo
	v_fmac_f32_e32 v2, 0xbfb8aa3b, v1
	s_delay_alu instid0(VALU_DEP_1) | instskip(SKIP_4) | instid1(VALU_DEP_1)
	v_exp_f32_e32 v1, v2
	v_cndmask_b32_e64 v2, 1.0, 0x1f800000, vcc_lo
	s_and_not1_b32 vcc_lo, exec_lo, s20
	s_waitcnt_depctr 0xfff
	v_fma_f32 v1, v1, v2, 1.0
	v_rcp_f32_e32 v1, v1
	s_cbranch_vccnz .LBB281_5
; %bb.4:                                ;   in Loop: Header=BB281_3 Depth=1
	v_add_co_u32 v15, vcc_lo, s6, v9
	v_add_co_ci_u32_e32 v16, vcc_lo, s7, v10, vcc_lo
	global_load_u16 v2, v[15:16], off
	s_waitcnt vmcnt(0)
	v_lshlrev_b32_e32 v2, 16, v2
	s_delay_alu instid0(VALU_DEP_1)
	v_add_f32_e32 v1, v1, v2
.LBB281_5:                              ;   in Loop: Header=BB281_3 Depth=1
	v_lshrrev_b32_e32 v2, 16, v3
	s_delay_alu instid0(VALU_DEP_1) | instskip(NEXT) | instid1(VALU_DEP_1)
	v_cvt_f32_u32_e32 v2, v2
	v_mul_f32_e32 v3, 0xbfb8aa3b, v2
	s_delay_alu instid0(VALU_DEP_1) | instskip(SKIP_1) | instid1(VALU_DEP_1)
	v_cmp_gt_f32_e32 vcc_lo, 0xc2fc0000, v3
	v_cndmask_b32_e64 v3, 0, 0x42800000, vcc_lo
	v_fmac_f32_e32 v3, 0xbfb8aa3b, v2
	s_delay_alu instid0(VALU_DEP_1) | instskip(SKIP_4) | instid1(VALU_DEP_1)
	v_exp_f32_e32 v2, v3
	v_cndmask_b32_e64 v3, 1.0, 0x1f800000, vcc_lo
	s_and_not1_b32 vcc_lo, exec_lo, s20
	s_waitcnt_depctr 0xfff
	v_fma_f32 v2, v2, v3, 1.0
	v_rcp_f32_e32 v2, v2
	s_cbranch_vccnz .LBB281_7
; %bb.6:                                ;   in Loop: Header=BB281_3 Depth=1
	v_add_co_u32 v15, vcc_lo, s22, v9
	v_add_co_ci_u32_e32 v16, vcc_lo, s23, v10, vcc_lo
	global_load_u16 v3, v[15:16], off
	s_waitcnt vmcnt(0)
	v_lshlrev_b32_e32 v3, 16, v3
	s_delay_alu instid0(VALU_DEP_1)
	v_add_f32_e32 v2, v2, v3
.LBB281_7:                              ;   in Loop: Header=BB281_3 Depth=1
	v_and_b32_e32 v3, 0xffff, v4
	s_delay_alu instid0(VALU_DEP_1) | instskip(NEXT) | instid1(VALU_DEP_1)
	v_cvt_f32_u32_e32 v3, v3
	v_mul_f32_e32 v15, 0xbfb8aa3b, v3
	s_delay_alu instid0(VALU_DEP_1) | instskip(SKIP_1) | instid1(VALU_DEP_1)
	v_cmp_gt_f32_e32 vcc_lo, 0xc2fc0000, v15
	v_cndmask_b32_e64 v15, 0, 0x42800000, vcc_lo
	v_fmac_f32_e32 v15, 0xbfb8aa3b, v3
	s_delay_alu instid0(VALU_DEP_1) | instskip(SKIP_4) | instid1(VALU_DEP_1)
	v_exp_f32_e32 v3, v15
	v_cndmask_b32_e64 v15, 1.0, 0x1f800000, vcc_lo
	s_and_not1_b32 vcc_lo, exec_lo, s20
	s_waitcnt_depctr 0xfff
	v_fma_f32 v3, v3, v15, 1.0
	v_rcp_f32_e32 v3, v3
	s_cbranch_vccnz .LBB281_9
; %bb.8:                                ;   in Loop: Header=BB281_3 Depth=1
	v_add_co_u32 v15, vcc_lo, s24, v9
	v_add_co_ci_u32_e32 v16, vcc_lo, s25, v10, vcc_lo
	global_load_u16 v15, v[15:16], off
	s_waitcnt vmcnt(0)
	v_lshlrev_b32_e32 v15, 16, v15
	s_delay_alu instid0(VALU_DEP_1)
	v_add_f32_e32 v3, v3, v15
.LBB281_9:                              ;   in Loop: Header=BB281_3 Depth=1
	v_lshrrev_b32_e32 v4, 16, v4
	s_delay_alu instid0(VALU_DEP_1) | instskip(NEXT) | instid1(VALU_DEP_1)
	v_cvt_f32_u32_e32 v4, v4
	v_mul_f32_e32 v15, 0xbfb8aa3b, v4
	s_delay_alu instid0(VALU_DEP_1) | instskip(SKIP_1) | instid1(VALU_DEP_1)
	v_cmp_gt_f32_e32 vcc_lo, 0xc2fc0000, v15
	v_cndmask_b32_e64 v15, 0, 0x42800000, vcc_lo
	v_fmac_f32_e32 v15, 0xbfb8aa3b, v4
	s_delay_alu instid0(VALU_DEP_1) | instskip(SKIP_4) | instid1(VALU_DEP_1)
	v_exp_f32_e32 v4, v15
	v_cndmask_b32_e64 v15, 1.0, 0x1f800000, vcc_lo
	s_and_not1_b32 vcc_lo, exec_lo, s20
	s_waitcnt_depctr 0xfff
	v_fma_f32 v4, v4, v15, 1.0
	v_rcp_f32_e32 v4, v4
	s_cbranch_vccnz .LBB281_2
; %bb.10:                               ;   in Loop: Header=BB281_3 Depth=1
	v_add_co_u32 v9, vcc_lo, s26, v9
	v_add_co_ci_u32_e32 v10, vcc_lo, s27, v10, vcc_lo
	global_load_u16 v9, v[9:10], off
	s_waitcnt vmcnt(0)
	v_lshlrev_b32_e32 v9, 16, v9
	s_delay_alu instid0(VALU_DEP_1)
	v_add_f32_e32 v4, v4, v9
	s_branch .LBB281_2
.LBB281_11:
	s_or_b32 exec_lo, exec_lo, s18
	v_lshl_add_u32 v1, s14, 2, v0
	s_mov_b32 s3, exec_lo
	s_delay_alu instid0(VALU_DEP_1)
	v_cmpx_gt_i32_e64 s12, v1
	s_cbranch_execz .LBB281_16
; %bb.12:
	s_load_b32 s18, s[0:1], 0x44
	s_lshl_b64 s[16:17], s[16:17], 1
	v_lshlrev_b32_e32 v2, 2, v0
	s_add_u32 s4, s4, s16
	s_addc_u32 s5, s5, s17
	s_cmp_lg_u64 s[6:7], 0
	s_cselect_b32 s16, -1, 0
	s_lshl_b32 s17, s14, 4
	s_delay_alu instid0(SALU_CYCLE_1)
	v_add3_u32 v4, 0, s17, v2
	s_waitcnt lgkmcnt(0)
	s_and_b32 s17, s18, 0xffff
	s_mov_b32 s18, 0
	s_lshl_b32 s19, s17, 2
	s_set_inst_prefetch_distance 0x1
	s_branch .LBB281_14
	.p2align	6
.LBB281_13:                             ;   in Loop: Header=BB281_14 Depth=1
	v_add_nc_u32_e32 v1, s17, v1
	v_add_nc_u32_e32 v4, s19, v4
	s_delay_alu instid0(VALU_DEP_2) | instskip(SKIP_1) | instid1(SALU_CYCLE_1)
	v_cmp_le_i32_e32 vcc_lo, s12, v1
	s_or_b32 s18, vcc_lo, s18
	s_and_not1_b32 exec_lo, exec_lo, s18
	s_cbranch_execz .LBB281_16
.LBB281_14:                             ; =>This Inner Loop Header: Depth=1
	v_ashrrev_i32_e32 v2, 31, v1
	s_delay_alu instid0(VALU_DEP_1) | instskip(NEXT) | instid1(VALU_DEP_1)
	v_lshlrev_b64 v[2:3], 1, v[1:2]
	v_add_co_u32 v5, vcc_lo, s4, v2
	s_delay_alu instid0(VALU_DEP_2) | instskip(SKIP_3) | instid1(VALU_DEP_1)
	v_add_co_ci_u32_e32 v6, vcc_lo, s5, v3, vcc_lo
	global_load_u16 v5, v[5:6], off
	s_waitcnt vmcnt(0)
	v_lshlrev_b32_e32 v5, 16, v5
	v_mul_f32_e32 v6, 0xbfb8aa3b, v5
	s_delay_alu instid0(VALU_DEP_1) | instskip(SKIP_1) | instid1(VALU_DEP_1)
	v_cmp_gt_f32_e32 vcc_lo, 0xc2fc0000, v6
	v_cndmask_b32_e64 v6, 0, 0x42800000, vcc_lo
	v_fmac_f32_e32 v6, 0xbfb8aa3b, v5
	s_delay_alu instid0(VALU_DEP_1) | instskip(SKIP_4) | instid1(VALU_DEP_1)
	v_exp_f32_e32 v5, v6
	v_cndmask_b32_e64 v6, 1.0, 0x1f800000, vcc_lo
	s_and_not1_b32 vcc_lo, exec_lo, s16
	s_waitcnt_depctr 0xfff
	v_fma_f32 v5, v5, v6, 1.0
	v_rcp_f32_e32 v5, v5
	ds_store_b32 v4, v5
	s_cbranch_vccnz .LBB281_13
; %bb.15:                               ;   in Loop: Header=BB281_14 Depth=1
	v_add_co_u32 v2, vcc_lo, s6, v2
	v_add_co_ci_u32_e32 v3, vcc_lo, s7, v3, vcc_lo
	global_load_u16 v2, v[2:3], off
	s_waitcnt vmcnt(0)
	v_lshlrev_b32_e32 v2, 16, v2
	s_delay_alu instid0(VALU_DEP_1)
	v_add_f32_e32 v2, v5, v2
	ds_store_b32 v4, v2
	s_branch .LBB281_13
.LBB281_16:
	s_set_inst_prefetch_distance 0x2
	s_or_b32 exec_lo, exec_lo, s3
	v_mov_b32_e32 v2, 0
	s_cmp_lt_i32 s13, 1
	s_waitcnt lgkmcnt(0)
	s_barrier
	buffer_gl0_inv
	s_cbranch_scc1 .LBB281_25
; %bb.17:
	s_add_u32 s4, s0, 56
	s_addc_u32 s5, s1, 0
	v_dual_mov_b32 v2, 0 :: v_dual_mov_b32 v5, 0xff800000
	v_dual_mov_b32 v4, 0 :: v_dual_mov_b32 v1, 0
	v_mov_b32_e32 v3, 0
	s_cmp_lg_u64 s[6:7], 0
	s_mov_b32 s18, 0
	s_cselect_b32 s12, -1, 0
	s_mov_b32 s19, 0x76543210
	s_branch .LBB281_19
.LBB281_18:                             ;   in Loop: Header=BB281_19 Depth=1
	v_cmp_eq_u32_e32 vcc_lo, s18, v0
	s_delay_alu instid0(VALU_DEP_2)
	s_lshl_b32 s3, s16, 2
	s_add_i32 s18, s18, 1
	s_add_i32 s3, s3, 0
	v_add_f32_e32 v3, v3, v8
	v_cndmask_b32_e64 v1, v1, s16, vcc_lo
	v_mov_b32_e32 v6, s3
	v_cndmask_b32_e32 v2, v2, v8, vcc_lo
	s_cmp_eq_u32 s18, s13
	ds_store_b32 v6, v5
	s_cbranch_scc1 .LBB281_26
.LBB281_19:                             ; =>This Loop Header: Depth=1
                                        ;     Child Loop BB281_21 Depth 2
	v_dual_mov_b32 v6, s18 :: v_dual_mov_b32 v7, 0xff800000
	s_and_saveexec_b32 s16, s2
	s_cbranch_execz .LBB281_23
; %bb.20:                               ;   in Loop: Header=BB281_19 Depth=1
	s_load_b32 s3, s[4:5], 0xc
	v_dual_mov_b32 v6, s18 :: v_dual_mov_b32 v7, 0xff800000
	v_dual_mov_b32 v8, v12 :: v_dual_mov_b32 v9, v11
	v_mov_b32_e32 v10, v0
	s_mov_b32 s21, 0
	s_waitcnt lgkmcnt(0)
	s_and_b32 s17, s3, 0xffff
	s_delay_alu instid0(SALU_CYCLE_1)
	s_lshl_b32 s20, s17, 2
	s_lshl_b32 s22, s17, 4
	.p2align	6
.LBB281_21:                             ;   Parent Loop BB281_19 Depth=1
                                        ; =>  This Inner Loop Header: Depth=2
	ds_load_b128 v[13:16], v8
	v_add_nc_u32_e32 v8, s22, v8
	v_add_nc_u32_e32 v10, s17, v10
	s_delay_alu instid0(VALU_DEP_1) | instskip(NEXT) | instid1(VALU_DEP_1)
	v_cmp_le_i32_e64 s3, s14, v10
	s_or_b32 s21, s3, s21
	s_waitcnt lgkmcnt(0)
	v_cmp_gt_f32_e32 vcc_lo, v13, v7
	v_cndmask_b32_e32 v7, v7, v13, vcc_lo
	v_cndmask_b32_e32 v6, v6, v9, vcc_lo
	s_delay_alu instid0(VALU_DEP_2) | instskip(SKIP_2) | instid1(VALU_DEP_1)
	v_cmp_gt_f32_e32 vcc_lo, v14, v7
	v_dual_cndmask_b32 v7, v7, v14 :: v_dual_add_nc_u32 v14, 2, v9
	v_add_nc_u32_e32 v13, 1, v9
	v_cndmask_b32_e32 v6, v6, v13, vcc_lo
	s_delay_alu instid0(VALU_DEP_3) | instskip(SKIP_2) | instid1(VALU_DEP_4)
	v_cmp_gt_f32_e32 vcc_lo, v15, v7
	v_add_nc_u32_e32 v13, 3, v9
	v_add_nc_u32_e32 v9, s20, v9
	v_dual_cndmask_b32 v7, v7, v15 :: v_dual_cndmask_b32 v6, v6, v14
	s_delay_alu instid0(VALU_DEP_1) | instskip(NEXT) | instid1(VALU_DEP_2)
	v_cmp_gt_f32_e32 vcc_lo, v16, v7
	v_dual_cndmask_b32 v7, v7, v16 :: v_dual_cndmask_b32 v6, v6, v13
	s_and_not1_b32 exec_lo, exec_lo, s21
	s_cbranch_execnz .LBB281_21
; %bb.22:                               ;   in Loop: Header=BB281_19 Depth=1
	s_or_b32 exec_lo, exec_lo, s21
.LBB281_23:                             ;   in Loop: Header=BB281_19 Depth=1
	s_delay_alu instid0(SALU_CYCLE_1)
	s_or_b32 exec_lo, exec_lo, s16
	;;#ASMSTART
	v_max_f32 v8, v7, v7 quad_perm:[1,0,3,2] row_mask:0xf bank_mask:0xf bound_ctrl:1
	;;#ASMEND
	;;#ASMSTART
	v_max_f32 v9, v8, v8 quad_perm:[2,3,0,1] row_mask:0xf bank_mask:0xf bound_ctrl:1
	;;#ASMEND
	;;#ASMSTART
	v_max_f32 v8, v9, v9 row_half_mirror row_mask:0xf bank_mask:0xf bound_ctrl:1
	;;#ASMEND
	;;#ASMSTART
	v_max_f32 v9, v8, v8 row_mirror row_mask:0xf bank_mask:0xf bound_ctrl:1
	;;#ASMEND
	v_permlanex16_b32 v8, v9, s19, 0xfedcba98 op_sel:[1,1]
	s_delay_alu instid0(VALU_DEP_1) | instskip(NEXT) | instid1(VALU_DEP_1)
	v_dual_max_f32 v9, v9, v9 :: v_dual_max_f32 v8, v8, v8
	v_max_f32_e32 v8, v9, v8
	s_delay_alu instid0(VALU_DEP_1)
	v_cmp_eq_f32_e32 vcc_lo, v7, v8
	s_ctz_i32_b32 s3, vcc_lo
	s_cmp_lg_u32 vcc_lo, 0
	s_cselect_b32 s3, s3, 0
	s_and_b32 vcc_lo, exec_lo, s12
	v_readlane_b32 s16, v6, s3
	s_cbranch_vccz .LBB281_18
; %bb.24:                               ;   in Loop: Header=BB281_19 Depth=1
	s_delay_alu instid0(VALU_DEP_1) | instskip(NEXT) | instid1(SALU_CYCLE_1)
	s_ashr_i32 s17, s16, 31
	s_lshl_b64 s[20:21], s[16:17], 1
	s_delay_alu instid0(SALU_CYCLE_1) | instskip(SKIP_4) | instid1(VALU_DEP_1)
	s_add_u32 s20, s6, s20
	s_addc_u32 s21, s7, s21
	global_load_u16 v6, v4, s[20:21]
	s_waitcnt vmcnt(0)
	v_lshlrev_b32_e32 v6, 16, v6
	v_sub_f32_e32 v8, v8, v6
	s_branch .LBB281_18
.LBB281_25:
	v_mov_b32_e32 v1, 0
	v_mov_b32_e32 v3, 0
.LBB281_26:
	s_mov_b32 s2, exec_lo
	v_cmpx_gt_i32_e64 s13, v0
	s_cbranch_execz .LBB281_29
; %bb.27:
	s_clause 0x1
	s_load_b32 s2, s[0:1], 0x34
	s_load_b32 s3, s[0:1], 0x44
	v_max_f32_e32 v3, v3, v3
	s_load_b64 s[0:1], s[0:1], 0x20
	s_ashr_i32 s4, s15, 31
	s_delay_alu instid0(VALU_DEP_1) | instskip(SKIP_1) | instid1(VALU_DEP_1)
	v_max_f32_e32 v3, 0x1e3ce508, v3
	s_waitcnt lgkmcnt(0)
	v_div_scale_f32 v4, null, v3, v3, s2
	v_div_scale_f32 v7, vcc_lo, s2, v3, s2
	s_mul_i32 s1, s15, s1
	s_delay_alu instid0(VALU_DEP_2) | instskip(SKIP_4) | instid1(VALU_DEP_1)
	v_rcp_f32_e32 v5, v4
	s_mul_i32 s4, s4, s0
	s_and_b32 s3, s3, 0xffff
	s_waitcnt_depctr 0xfff
	v_fma_f32 v6, -v4, v5, 1.0
	v_fmac_f32_e32 v5, v6, v5
	s_delay_alu instid0(VALU_DEP_1) | instskip(NEXT) | instid1(VALU_DEP_1)
	v_mul_f32_e32 v6, v7, v5
	v_fma_f32 v8, -v4, v6, v7
	s_delay_alu instid0(VALU_DEP_1) | instskip(NEXT) | instid1(VALU_DEP_1)
	v_fmac_f32_e32 v6, v8, v5
	v_fma_f32 v4, -v4, v6, v7
	s_delay_alu instid0(VALU_DEP_1) | instskip(NEXT) | instid1(VALU_DEP_1)
	v_div_fmas_f32 v4, v4, v5, v6
	v_div_fixup_f32 v3, v4, v3, s2
	s_mul_hi_u32 s2, s15, s0
	s_delay_alu instid0(SALU_CYCLE_1) | instskip(SKIP_1) | instid1(VALU_DEP_1)
	s_add_i32 s1, s2, s1
	s_mul_i32 s2, s15, s0
	v_mul_f32_e32 v2, v2, v3
	s_add_i32 s1, s1, s4
	s_mov_b32 s4, 0
	.p2align	6
.LBB281_28:                             ; =>This Inner Loop Header: Depth=1
	v_ashrrev_i32_e32 v4, 31, v0
	v_add_co_u32 v3, vcc_lo, s2, v0
	v_add_nc_u32_e32 v0, s3, v0
	s_delay_alu instid0(VALU_DEP_3) | instskip(NEXT) | instid1(VALU_DEP_2)
	v_add_co_ci_u32_e32 v4, vcc_lo, s1, v4, vcc_lo
	v_cmp_le_i32_e32 vcc_lo, s13, v0
	s_delay_alu instid0(VALU_DEP_2) | instskip(SKIP_1) | instid1(VALU_DEP_1)
	v_lshlrev_b64 v[3:4], 2, v[3:4]
	s_or_b32 s4, vcc_lo, s4
	v_add_co_u32 v5, s0, s8, v3
	s_delay_alu instid0(VALU_DEP_1) | instskip(SKIP_1) | instid1(VALU_DEP_1)
	v_add_co_ci_u32_e64 v6, s0, s9, v4, s0
	v_add_co_u32 v3, s0, s10, v3
	v_add_co_ci_u32_e64 v4, s0, s11, v4, s0
	global_store_b32 v[5:6], v2, off
	global_store_b32 v[3:4], v1, off
	s_and_not1_b32 exec_lo, exec_lo, s4
	s_cbranch_execnz .LBB281_28
.LBB281_29:
	s_nop 0
	s_sendmsg sendmsg(MSG_DEALLOC_VGPRS)
	s_endpgm
	.section	.rodata,"a",@progbits
	.p2align	6, 0x0
	.amdhsa_kernel _ZN5aiter20topk_softplus_kernelI12hip_bfloat16S1_Dv4_fLb1ELi1EEEvPKT_PKT0_PfPimiiif
		.amdhsa_group_segment_fixed_size 0
		.amdhsa_private_segment_fixed_size 0
		.amdhsa_kernarg_size 312
		.amdhsa_user_sgpr_count 15
		.amdhsa_user_sgpr_dispatch_ptr 0
		.amdhsa_user_sgpr_queue_ptr 0
		.amdhsa_user_sgpr_kernarg_segment_ptr 1
		.amdhsa_user_sgpr_dispatch_id 0
		.amdhsa_user_sgpr_private_segment_size 0
		.amdhsa_wavefront_size32 1
		.amdhsa_uses_dynamic_stack 0
		.amdhsa_enable_private_segment 0
		.amdhsa_system_sgpr_workgroup_id_x 1
		.amdhsa_system_sgpr_workgroup_id_y 0
		.amdhsa_system_sgpr_workgroup_id_z 0
		.amdhsa_system_sgpr_workgroup_info 0
		.amdhsa_system_vgpr_workitem_id 0
		.amdhsa_next_free_vgpr 17
		.amdhsa_next_free_sgpr 31
		.amdhsa_reserve_vcc 1
		.amdhsa_float_round_mode_32 0
		.amdhsa_float_round_mode_16_64 0
		.amdhsa_float_denorm_mode_32 3
		.amdhsa_float_denorm_mode_16_64 3
		.amdhsa_dx10_clamp 1
		.amdhsa_ieee_mode 1
		.amdhsa_fp16_overflow 0
		.amdhsa_workgroup_processor_mode 1
		.amdhsa_memory_ordered 1
		.amdhsa_forward_progress 0
		.amdhsa_shared_vgpr_count 0
		.amdhsa_exception_fp_ieee_invalid_op 0
		.amdhsa_exception_fp_denorm_src 0
		.amdhsa_exception_fp_ieee_div_zero 0
		.amdhsa_exception_fp_ieee_overflow 0
		.amdhsa_exception_fp_ieee_underflow 0
		.amdhsa_exception_fp_ieee_inexact 0
		.amdhsa_exception_int_div_zero 0
	.end_amdhsa_kernel
	.section	.text._ZN5aiter20topk_softplus_kernelI12hip_bfloat16S1_Dv4_fLb1ELi1EEEvPKT_PKT0_PfPimiiif,"axG",@progbits,_ZN5aiter20topk_softplus_kernelI12hip_bfloat16S1_Dv4_fLb1ELi1EEEvPKT_PKT0_PfPimiiif,comdat
.Lfunc_end281:
	.size	_ZN5aiter20topk_softplus_kernelI12hip_bfloat16S1_Dv4_fLb1ELi1EEEvPKT_PKT0_PfPimiiif, .Lfunc_end281-_ZN5aiter20topk_softplus_kernelI12hip_bfloat16S1_Dv4_fLb1ELi1EEEvPKT_PKT0_PfPimiiif
                                        ; -- End function
	.section	.AMDGPU.csdata,"",@progbits
; Kernel info:
; codeLenInByte = 2032
; NumSgprs: 33
; NumVgprs: 17
; ScratchSize: 0
; MemoryBound: 0
; FloatMode: 240
; IeeeMode: 1
; LDSByteSize: 0 bytes/workgroup (compile time only)
; SGPRBlocks: 4
; VGPRBlocks: 2
; NumSGPRsForWavesPerEU: 33
; NumVGPRsForWavesPerEU: 17
; Occupancy: 16
; WaveLimiterHint : 0
; COMPUTE_PGM_RSRC2:SCRATCH_EN: 0
; COMPUTE_PGM_RSRC2:USER_SGPR: 15
; COMPUTE_PGM_RSRC2:TRAP_HANDLER: 0
; COMPUTE_PGM_RSRC2:TGID_X_EN: 1
; COMPUTE_PGM_RSRC2:TGID_Y_EN: 0
; COMPUTE_PGM_RSRC2:TGID_Z_EN: 0
; COMPUTE_PGM_RSRC2:TIDIG_COMP_CNT: 0
	.section	.text._ZN5aiter20topk_softplus_kernelI12hip_bfloat16S1_Dv4_fLb0ELi1EEEvPKT_PKT0_PfPimiiif,"axG",@progbits,_ZN5aiter20topk_softplus_kernelI12hip_bfloat16S1_Dv4_fLb0ELi1EEEvPKT_PKT0_PfPimiiif,comdat
	.protected	_ZN5aiter20topk_softplus_kernelI12hip_bfloat16S1_Dv4_fLb0ELi1EEEvPKT_PKT0_PfPimiiif ; -- Begin function _ZN5aiter20topk_softplus_kernelI12hip_bfloat16S1_Dv4_fLb0ELi1EEEvPKT_PKT0_PfPimiiif
	.globl	_ZN5aiter20topk_softplus_kernelI12hip_bfloat16S1_Dv4_fLb0ELi1EEEvPKT_PKT0_PfPimiiif
	.p2align	8
	.type	_ZN5aiter20topk_softplus_kernelI12hip_bfloat16S1_Dv4_fLb0ELi1EEEvPKT_PKT0_PfPimiiif,@function
_ZN5aiter20topk_softplus_kernelI12hip_bfloat16S1_Dv4_fLb0ELi1EEEvPKT_PKT0_PfPimiiif: ; @_ZN5aiter20topk_softplus_kernelI12hip_bfloat16S1_Dv4_fLb0ELi1EEEvPKT_PKT0_PfPimiiif
; %bb.0:
	s_clause 0x1
	s_load_b64 s[12:13], s[0:1], 0x28
	s_load_b256 s[4:11], s[0:1], 0x0
	v_lshlrev_b32_e32 v11, 2, v0
	v_lshl_add_u32 v12, v0, 4, 0
	s_waitcnt lgkmcnt(0)
	s_ashr_i32 s2, s12, 31
	s_mul_i32 s16, s15, s12
	s_lshr_b32 s2, s2, 30
	s_ashr_i32 s17, s16, 31
	s_add_i32 s2, s12, s2
	s_delay_alu instid0(SALU_CYCLE_1) | instskip(NEXT) | instid1(SALU_CYCLE_1)
	s_ashr_i32 s14, s2, 2
	v_cmp_gt_i32_e64 s2, s14, v0
	s_delay_alu instid0(VALU_DEP_1)
	s_and_saveexec_b32 s18, s2
	s_cbranch_execz .LBB282_11
; %bb.1:
	s_load_b32 s3, s[0:1], 0x44
	s_cmp_lg_u64 s[6:7], 0
	v_dual_mov_b32 v6, 0 :: v_dual_lshlrev_b32 v1, 3, v0
	s_cselect_b32 s20, -1, 0
	v_dual_mov_b32 v14, v0 :: v_dual_lshlrev_b32 v5, 2, v0
	v_lshl_add_u32 v13, v0, 4, 0
	s_mov_b32 s19, 0
	s_waitcnt lgkmcnt(0)
	s_and_b32 s21, s3, 0xffff
	s_add_u32 s22, s6, 2
	s_addc_u32 s23, s7, 0
	s_add_u32 s24, s6, 4
	s_addc_u32 s25, s7, 0
	;; [unrolled: 2-line block ×3, first 2 shown]
	s_lshl_b64 s[28:29], s[16:17], 1
	s_delay_alu instid0(SALU_CYCLE_1) | instskip(SKIP_2) | instid1(VALU_DEP_1)
	s_add_u32 s3, s4, s28
	s_addc_u32 s28, s5, s29
	v_add_co_u32 v7, s3, s3, v1
	v_add_co_ci_u32_e64 v8, null, s28, 0, s3
	s_lshl_b32 s28, s21, 3
	s_lshl_b32 s29, s21, 2
	;; [unrolled: 1-line block ×3, first 2 shown]
	s_branch .LBB282_3
.LBB282_2:                              ;   in Loop: Header=BB282_3 Depth=1
	v_add_nc_u32_e32 v14, s21, v14
	v_add_co_u32 v7, s3, v7, s28
	ds_store_b128 v13, v[1:4]
	v_add_co_ci_u32_e64 v8, s3, 0, v8, s3
	v_cmp_le_i32_e32 vcc_lo, s14, v14
	v_add_nc_u32_e32 v5, s29, v5
	v_add_nc_u32_e32 v13, s30, v13
	s_or_b32 s19, vcc_lo, s19
	s_delay_alu instid0(SALU_CYCLE_1)
	s_and_not1_b32 exec_lo, exec_lo, s19
	s_cbranch_execz .LBB282_11
.LBB282_3:                              ; =>This Inner Loop Header: Depth=1
	global_load_b64 v[3:4], v[7:8], off
	v_lshlrev_b64 v[9:10], 1, v[5:6]
	s_waitcnt vmcnt(0)
	v_and_b32_e32 v1, 0xffff, v3
	s_delay_alu instid0(VALU_DEP_1) | instskip(NEXT) | instid1(VALU_DEP_1)
	v_cvt_f32_u32_e32 v1, v1
	v_mul_f32_e32 v2, 0xbfb8aa3b, v1
	s_delay_alu instid0(VALU_DEP_1) | instskip(SKIP_1) | instid1(VALU_DEP_1)
	v_cmp_gt_f32_e32 vcc_lo, 0xc2fc0000, v2
	v_cndmask_b32_e64 v2, 0, 0x42800000, vcc_lo
	v_fmac_f32_e32 v2, 0xbfb8aa3b, v1
	s_delay_alu instid0(VALU_DEP_1) | instskip(SKIP_4) | instid1(VALU_DEP_1)
	v_exp_f32_e32 v1, v2
	v_cndmask_b32_e64 v2, 1.0, 0x1f800000, vcc_lo
	s_and_not1_b32 vcc_lo, exec_lo, s20
	s_waitcnt_depctr 0xfff
	v_fma_f32 v1, v1, v2, 1.0
	v_rcp_f32_e32 v1, v1
	s_cbranch_vccnz .LBB282_5
; %bb.4:                                ;   in Loop: Header=BB282_3 Depth=1
	v_add_co_u32 v15, vcc_lo, s6, v9
	v_add_co_ci_u32_e32 v16, vcc_lo, s7, v10, vcc_lo
	global_load_u16 v2, v[15:16], off
	s_waitcnt vmcnt(0)
	v_lshlrev_b32_e32 v2, 16, v2
	s_delay_alu instid0(VALU_DEP_1)
	v_add_f32_e32 v1, v1, v2
.LBB282_5:                              ;   in Loop: Header=BB282_3 Depth=1
	v_lshrrev_b32_e32 v2, 16, v3
	s_delay_alu instid0(VALU_DEP_1) | instskip(NEXT) | instid1(VALU_DEP_1)
	v_cvt_f32_u32_e32 v2, v2
	v_mul_f32_e32 v3, 0xbfb8aa3b, v2
	s_delay_alu instid0(VALU_DEP_1) | instskip(SKIP_1) | instid1(VALU_DEP_1)
	v_cmp_gt_f32_e32 vcc_lo, 0xc2fc0000, v3
	v_cndmask_b32_e64 v3, 0, 0x42800000, vcc_lo
	v_fmac_f32_e32 v3, 0xbfb8aa3b, v2
	s_delay_alu instid0(VALU_DEP_1) | instskip(SKIP_4) | instid1(VALU_DEP_1)
	v_exp_f32_e32 v2, v3
	v_cndmask_b32_e64 v3, 1.0, 0x1f800000, vcc_lo
	s_and_not1_b32 vcc_lo, exec_lo, s20
	s_waitcnt_depctr 0xfff
	v_fma_f32 v2, v2, v3, 1.0
	v_rcp_f32_e32 v2, v2
	s_cbranch_vccnz .LBB282_7
; %bb.6:                                ;   in Loop: Header=BB282_3 Depth=1
	v_add_co_u32 v15, vcc_lo, s22, v9
	v_add_co_ci_u32_e32 v16, vcc_lo, s23, v10, vcc_lo
	global_load_u16 v3, v[15:16], off
	s_waitcnt vmcnt(0)
	v_lshlrev_b32_e32 v3, 16, v3
	s_delay_alu instid0(VALU_DEP_1)
	v_add_f32_e32 v2, v2, v3
.LBB282_7:                              ;   in Loop: Header=BB282_3 Depth=1
	v_and_b32_e32 v3, 0xffff, v4
	s_delay_alu instid0(VALU_DEP_1) | instskip(NEXT) | instid1(VALU_DEP_1)
	v_cvt_f32_u32_e32 v3, v3
	v_mul_f32_e32 v15, 0xbfb8aa3b, v3
	s_delay_alu instid0(VALU_DEP_1) | instskip(SKIP_1) | instid1(VALU_DEP_1)
	v_cmp_gt_f32_e32 vcc_lo, 0xc2fc0000, v15
	v_cndmask_b32_e64 v15, 0, 0x42800000, vcc_lo
	v_fmac_f32_e32 v15, 0xbfb8aa3b, v3
	s_delay_alu instid0(VALU_DEP_1) | instskip(SKIP_4) | instid1(VALU_DEP_1)
	v_exp_f32_e32 v3, v15
	v_cndmask_b32_e64 v15, 1.0, 0x1f800000, vcc_lo
	s_and_not1_b32 vcc_lo, exec_lo, s20
	s_waitcnt_depctr 0xfff
	v_fma_f32 v3, v3, v15, 1.0
	v_rcp_f32_e32 v3, v3
	s_cbranch_vccnz .LBB282_9
; %bb.8:                                ;   in Loop: Header=BB282_3 Depth=1
	v_add_co_u32 v15, vcc_lo, s24, v9
	v_add_co_ci_u32_e32 v16, vcc_lo, s25, v10, vcc_lo
	global_load_u16 v15, v[15:16], off
	s_waitcnt vmcnt(0)
	v_lshlrev_b32_e32 v15, 16, v15
	s_delay_alu instid0(VALU_DEP_1)
	v_add_f32_e32 v3, v3, v15
.LBB282_9:                              ;   in Loop: Header=BB282_3 Depth=1
	v_lshrrev_b32_e32 v4, 16, v4
	s_delay_alu instid0(VALU_DEP_1) | instskip(NEXT) | instid1(VALU_DEP_1)
	v_cvt_f32_u32_e32 v4, v4
	v_mul_f32_e32 v15, 0xbfb8aa3b, v4
	s_delay_alu instid0(VALU_DEP_1) | instskip(SKIP_1) | instid1(VALU_DEP_1)
	v_cmp_gt_f32_e32 vcc_lo, 0xc2fc0000, v15
	v_cndmask_b32_e64 v15, 0, 0x42800000, vcc_lo
	v_fmac_f32_e32 v15, 0xbfb8aa3b, v4
	s_delay_alu instid0(VALU_DEP_1) | instskip(SKIP_4) | instid1(VALU_DEP_1)
	v_exp_f32_e32 v4, v15
	v_cndmask_b32_e64 v15, 1.0, 0x1f800000, vcc_lo
	s_and_not1_b32 vcc_lo, exec_lo, s20
	s_waitcnt_depctr 0xfff
	v_fma_f32 v4, v4, v15, 1.0
	v_rcp_f32_e32 v4, v4
	s_cbranch_vccnz .LBB282_2
; %bb.10:                               ;   in Loop: Header=BB282_3 Depth=1
	v_add_co_u32 v9, vcc_lo, s26, v9
	v_add_co_ci_u32_e32 v10, vcc_lo, s27, v10, vcc_lo
	global_load_u16 v9, v[9:10], off
	s_waitcnt vmcnt(0)
	v_lshlrev_b32_e32 v9, 16, v9
	s_delay_alu instid0(VALU_DEP_1)
	v_add_f32_e32 v4, v4, v9
	s_branch .LBB282_2
.LBB282_11:
	s_or_b32 exec_lo, exec_lo, s18
	v_lshl_add_u32 v1, s14, 2, v0
	s_mov_b32 s3, exec_lo
	s_delay_alu instid0(VALU_DEP_1)
	v_cmpx_gt_i32_e64 s12, v1
	s_cbranch_execz .LBB282_16
; %bb.12:
	s_load_b32 s18, s[0:1], 0x44
	s_lshl_b64 s[16:17], s[16:17], 1
	v_lshlrev_b32_e32 v2, 2, v0
	s_add_u32 s4, s4, s16
	s_addc_u32 s5, s5, s17
	s_cmp_lg_u64 s[6:7], 0
	s_cselect_b32 s16, -1, 0
	s_lshl_b32 s17, s14, 4
	s_delay_alu instid0(SALU_CYCLE_1)
	v_add3_u32 v4, 0, s17, v2
	s_waitcnt lgkmcnt(0)
	s_and_b32 s17, s18, 0xffff
	s_mov_b32 s18, 0
	s_lshl_b32 s19, s17, 2
	s_set_inst_prefetch_distance 0x1
	s_branch .LBB282_14
	.p2align	6
.LBB282_13:                             ;   in Loop: Header=BB282_14 Depth=1
	v_add_nc_u32_e32 v1, s17, v1
	v_add_nc_u32_e32 v4, s19, v4
	s_delay_alu instid0(VALU_DEP_2) | instskip(SKIP_1) | instid1(SALU_CYCLE_1)
	v_cmp_le_i32_e32 vcc_lo, s12, v1
	s_or_b32 s18, vcc_lo, s18
	s_and_not1_b32 exec_lo, exec_lo, s18
	s_cbranch_execz .LBB282_16
.LBB282_14:                             ; =>This Inner Loop Header: Depth=1
	v_ashrrev_i32_e32 v2, 31, v1
	s_delay_alu instid0(VALU_DEP_1) | instskip(NEXT) | instid1(VALU_DEP_1)
	v_lshlrev_b64 v[2:3], 1, v[1:2]
	v_add_co_u32 v5, vcc_lo, s4, v2
	s_delay_alu instid0(VALU_DEP_2) | instskip(SKIP_3) | instid1(VALU_DEP_1)
	v_add_co_ci_u32_e32 v6, vcc_lo, s5, v3, vcc_lo
	global_load_u16 v5, v[5:6], off
	s_waitcnt vmcnt(0)
	v_lshlrev_b32_e32 v5, 16, v5
	v_mul_f32_e32 v6, 0xbfb8aa3b, v5
	s_delay_alu instid0(VALU_DEP_1) | instskip(SKIP_1) | instid1(VALU_DEP_1)
	v_cmp_gt_f32_e32 vcc_lo, 0xc2fc0000, v6
	v_cndmask_b32_e64 v6, 0, 0x42800000, vcc_lo
	v_fmac_f32_e32 v6, 0xbfb8aa3b, v5
	s_delay_alu instid0(VALU_DEP_1) | instskip(SKIP_4) | instid1(VALU_DEP_1)
	v_exp_f32_e32 v5, v6
	v_cndmask_b32_e64 v6, 1.0, 0x1f800000, vcc_lo
	s_and_not1_b32 vcc_lo, exec_lo, s16
	s_waitcnt_depctr 0xfff
	v_fma_f32 v5, v5, v6, 1.0
	v_rcp_f32_e32 v5, v5
	ds_store_b32 v4, v5
	s_cbranch_vccnz .LBB282_13
; %bb.15:                               ;   in Loop: Header=BB282_14 Depth=1
	v_add_co_u32 v2, vcc_lo, s6, v2
	v_add_co_ci_u32_e32 v3, vcc_lo, s7, v3, vcc_lo
	global_load_u16 v2, v[2:3], off
	s_waitcnt vmcnt(0)
	v_lshlrev_b32_e32 v2, 16, v2
	s_delay_alu instid0(VALU_DEP_1)
	v_add_f32_e32 v2, v5, v2
	ds_store_b32 v4, v2
	s_branch .LBB282_13
.LBB282_16:
	s_set_inst_prefetch_distance 0x2
	s_or_b32 exec_lo, exec_lo, s3
	s_cmp_lt_i32 s13, 1
	s_waitcnt lgkmcnt(0)
	s_barrier
	buffer_gl0_inv
	s_cbranch_scc1 .LBB282_25
; %bb.17:
	s_add_u32 s4, s0, 56
	s_addc_u32 s5, s1, 0
	v_dual_mov_b32 v3, 0 :: v_dual_mov_b32 v4, 0xff800000
	v_dual_mov_b32 v1, 0 :: v_dual_mov_b32 v2, 0
	s_cmp_lg_u64 s[6:7], 0
	s_mov_b32 s18, 0
	s_cselect_b32 s12, -1, 0
	s_mov_b32 s19, 0x76543210
	s_branch .LBB282_19
.LBB282_18:                             ;   in Loop: Header=BB282_19 Depth=1
	v_cmp_eq_u32_e32 vcc_lo, s18, v0
	s_delay_alu instid0(VALU_DEP_2)
	s_lshl_b32 s3, s16, 2
	s_add_i32 s18, s18, 1
	s_add_i32 s3, s3, 0
	s_cmp_eq_u32 s18, s13
	v_cndmask_b32_e64 v1, v1, s16, vcc_lo
	v_dual_mov_b32 v5, s3 :: v_dual_cndmask_b32 v2, v2, v7
	ds_store_b32 v5, v4
	s_cbranch_scc1 .LBB282_26
.LBB282_19:                             ; =>This Loop Header: Depth=1
                                        ;     Child Loop BB282_21 Depth 2
	v_dual_mov_b32 v5, s18 :: v_dual_mov_b32 v6, 0xff800000
	s_and_saveexec_b32 s16, s2
	s_cbranch_execz .LBB282_23
; %bb.20:                               ;   in Loop: Header=BB282_19 Depth=1
	s_load_b32 s3, s[4:5], 0xc
	v_dual_mov_b32 v5, s18 :: v_dual_mov_b32 v6, 0xff800000
	v_dual_mov_b32 v7, v12 :: v_dual_mov_b32 v8, v11
	v_mov_b32_e32 v9, v0
	s_mov_b32 s21, 0
	s_waitcnt lgkmcnt(0)
	s_and_b32 s17, s3, 0xffff
	s_delay_alu instid0(SALU_CYCLE_1)
	s_lshl_b32 s20, s17, 2
	s_lshl_b32 s22, s17, 4
	.p2align	6
.LBB282_21:                             ;   Parent Loop BB282_19 Depth=1
                                        ; =>  This Inner Loop Header: Depth=2
	ds_load_b128 v[13:16], v7
	v_add_nc_u32_e32 v7, s22, v7
	s_waitcnt lgkmcnt(0)
	v_cmp_gt_f32_e32 vcc_lo, v13, v6
	v_dual_cndmask_b32 v6, v6, v13 :: v_dual_cndmask_b32 v5, v5, v8
	v_add_nc_u32_e32 v13, 2, v8
	v_add_nc_u32_e32 v10, 1, v8
	s_delay_alu instid0(VALU_DEP_3) | instskip(SKIP_1) | instid1(VALU_DEP_3)
	v_cmp_gt_f32_e32 vcc_lo, v14, v6
	v_cndmask_b32_e32 v6, v6, v14, vcc_lo
	v_dual_cndmask_b32 v5, v5, v10 :: v_dual_add_nc_u32 v10, 3, v8
	s_delay_alu instid0(VALU_DEP_2) | instskip(NEXT) | instid1(VALU_DEP_2)
	v_cmp_gt_f32_e32 vcc_lo, v15, v6
	v_dual_cndmask_b32 v6, v6, v15 :: v_dual_cndmask_b32 v5, v5, v13
	s_delay_alu instid0(VALU_DEP_1) | instskip(SKIP_1) | instid1(VALU_DEP_3)
	v_cmp_gt_f32_e32 vcc_lo, v16, v6
	v_add_nc_u32_e32 v9, s17, v9
	v_dual_cndmask_b32 v5, v5, v10 :: v_dual_add_nc_u32 v8, s20, v8
	v_cndmask_b32_e32 v6, v6, v16, vcc_lo
	s_delay_alu instid0(VALU_DEP_3) | instskip(NEXT) | instid1(VALU_DEP_1)
	v_cmp_le_i32_e64 s3, s14, v9
	s_or_b32 s21, s3, s21
	s_delay_alu instid0(SALU_CYCLE_1)
	s_and_not1_b32 exec_lo, exec_lo, s21
	s_cbranch_execnz .LBB282_21
; %bb.22:                               ;   in Loop: Header=BB282_19 Depth=1
	s_or_b32 exec_lo, exec_lo, s21
.LBB282_23:                             ;   in Loop: Header=BB282_19 Depth=1
	s_delay_alu instid0(SALU_CYCLE_1)
	s_or_b32 exec_lo, exec_lo, s16
	;;#ASMSTART
	v_max_f32 v7, v6, v6 quad_perm:[1,0,3,2] row_mask:0xf bank_mask:0xf bound_ctrl:1
	;;#ASMEND
	;;#ASMSTART
	v_max_f32 v8, v7, v7 quad_perm:[2,3,0,1] row_mask:0xf bank_mask:0xf bound_ctrl:1
	;;#ASMEND
	;;#ASMSTART
	v_max_f32 v7, v8, v8 row_half_mirror row_mask:0xf bank_mask:0xf bound_ctrl:1
	;;#ASMEND
	;;#ASMSTART
	v_max_f32 v8, v7, v7 row_mirror row_mask:0xf bank_mask:0xf bound_ctrl:1
	;;#ASMEND
	v_permlanex16_b32 v7, v8, s19, 0xfedcba98 op_sel:[1,1]
	s_delay_alu instid0(VALU_DEP_1) | instskip(NEXT) | instid1(VALU_DEP_1)
	v_dual_max_f32 v8, v8, v8 :: v_dual_max_f32 v7, v7, v7
	v_max_f32_e32 v7, v8, v7
	s_delay_alu instid0(VALU_DEP_1)
	v_cmp_eq_f32_e32 vcc_lo, v6, v7
	s_ctz_i32_b32 s3, vcc_lo
	s_cmp_lg_u32 vcc_lo, 0
	s_cselect_b32 s3, s3, 0
	s_and_b32 vcc_lo, exec_lo, s12
	v_readlane_b32 s16, v5, s3
	s_cbranch_vccz .LBB282_18
; %bb.24:                               ;   in Loop: Header=BB282_19 Depth=1
	s_delay_alu instid0(VALU_DEP_1) | instskip(NEXT) | instid1(SALU_CYCLE_1)
	s_ashr_i32 s17, s16, 31
	s_lshl_b64 s[20:21], s[16:17], 1
	s_delay_alu instid0(SALU_CYCLE_1) | instskip(SKIP_4) | instid1(VALU_DEP_1)
	s_add_u32 s20, s6, s20
	s_addc_u32 s21, s7, s21
	global_load_u16 v5, v3, s[20:21]
	s_waitcnt vmcnt(0)
	v_lshlrev_b32_e32 v5, 16, v5
	v_sub_f32_e32 v7, v7, v5
	s_branch .LBB282_18
.LBB282_25:
	v_dual_mov_b32 v2, 0 :: v_dual_mov_b32 v1, 0
.LBB282_26:
	s_mov_b32 s2, exec_lo
	v_cmpx_gt_i32_e64 s13, v0
	s_cbranch_execz .LBB282_29
; %bb.27:
	s_clause 0x2
	s_load_b32 s4, s[0:1], 0x34
	s_load_b64 s[2:3], s[0:1], 0x20
	s_load_b32 s0, s[0:1], 0x44
	s_ashr_i32 s1, s15, 31
	s_waitcnt lgkmcnt(0)
	v_mul_f32_e32 v2, s4, v2
	s_mul_i32 s3, s15, s3
	s_mul_hi_u32 s4, s15, s2
	s_mul_i32 s5, s1, s2
	s_add_i32 s3, s4, s3
	s_mul_i32 s1, s15, s2
	s_and_b32 s2, s0, 0xffff
	s_add_i32 s3, s3, s5
	s_mov_b32 s4, 0
	.p2align	6
.LBB282_28:                             ; =>This Inner Loop Header: Depth=1
	v_ashrrev_i32_e32 v4, 31, v0
	v_add_co_u32 v3, vcc_lo, s1, v0
	v_add_nc_u32_e32 v0, s2, v0
	s_delay_alu instid0(VALU_DEP_3) | instskip(NEXT) | instid1(VALU_DEP_2)
	v_add_co_ci_u32_e32 v4, vcc_lo, s3, v4, vcc_lo
	v_cmp_le_i32_e32 vcc_lo, s13, v0
	s_delay_alu instid0(VALU_DEP_2) | instskip(SKIP_1) | instid1(VALU_DEP_1)
	v_lshlrev_b64 v[3:4], 2, v[3:4]
	s_or_b32 s4, vcc_lo, s4
	v_add_co_u32 v5, s0, s8, v3
	s_delay_alu instid0(VALU_DEP_1) | instskip(SKIP_1) | instid1(VALU_DEP_1)
	v_add_co_ci_u32_e64 v6, s0, s9, v4, s0
	v_add_co_u32 v3, s0, s10, v3
	v_add_co_ci_u32_e64 v4, s0, s11, v4, s0
	global_store_b32 v[5:6], v2, off
	global_store_b32 v[3:4], v1, off
	s_and_not1_b32 exec_lo, exec_lo, s4
	s_cbranch_execnz .LBB282_28
.LBB282_29:
	s_nop 0
	s_sendmsg sendmsg(MSG_DEALLOC_VGPRS)
	s_endpgm
	.section	.rodata,"a",@progbits
	.p2align	6, 0x0
	.amdhsa_kernel _ZN5aiter20topk_softplus_kernelI12hip_bfloat16S1_Dv4_fLb0ELi1EEEvPKT_PKT0_PfPimiiif
		.amdhsa_group_segment_fixed_size 0
		.amdhsa_private_segment_fixed_size 0
		.amdhsa_kernarg_size 312
		.amdhsa_user_sgpr_count 15
		.amdhsa_user_sgpr_dispatch_ptr 0
		.amdhsa_user_sgpr_queue_ptr 0
		.amdhsa_user_sgpr_kernarg_segment_ptr 1
		.amdhsa_user_sgpr_dispatch_id 0
		.amdhsa_user_sgpr_private_segment_size 0
		.amdhsa_wavefront_size32 1
		.amdhsa_uses_dynamic_stack 0
		.amdhsa_enable_private_segment 0
		.amdhsa_system_sgpr_workgroup_id_x 1
		.amdhsa_system_sgpr_workgroup_id_y 0
		.amdhsa_system_sgpr_workgroup_id_z 0
		.amdhsa_system_sgpr_workgroup_info 0
		.amdhsa_system_vgpr_workitem_id 0
		.amdhsa_next_free_vgpr 17
		.amdhsa_next_free_sgpr 31
		.amdhsa_reserve_vcc 1
		.amdhsa_float_round_mode_32 0
		.amdhsa_float_round_mode_16_64 0
		.amdhsa_float_denorm_mode_32 3
		.amdhsa_float_denorm_mode_16_64 3
		.amdhsa_dx10_clamp 1
		.amdhsa_ieee_mode 1
		.amdhsa_fp16_overflow 0
		.amdhsa_workgroup_processor_mode 1
		.amdhsa_memory_ordered 1
		.amdhsa_forward_progress 0
		.amdhsa_shared_vgpr_count 0
		.amdhsa_exception_fp_ieee_invalid_op 0
		.amdhsa_exception_fp_denorm_src 0
		.amdhsa_exception_fp_ieee_div_zero 0
		.amdhsa_exception_fp_ieee_overflow 0
		.amdhsa_exception_fp_ieee_underflow 0
		.amdhsa_exception_fp_ieee_inexact 0
		.amdhsa_exception_int_div_zero 0
	.end_amdhsa_kernel
	.section	.text._ZN5aiter20topk_softplus_kernelI12hip_bfloat16S1_Dv4_fLb0ELi1EEEvPKT_PKT0_PfPimiiif,"axG",@progbits,_ZN5aiter20topk_softplus_kernelI12hip_bfloat16S1_Dv4_fLb0ELi1EEEvPKT_PKT0_PfPimiiif,comdat
.Lfunc_end282:
	.size	_ZN5aiter20topk_softplus_kernelI12hip_bfloat16S1_Dv4_fLb0ELi1EEEvPKT_PKT0_PfPimiiif, .Lfunc_end282-_ZN5aiter20topk_softplus_kernelI12hip_bfloat16S1_Dv4_fLb0ELi1EEEvPKT_PKT0_PfPimiiif
                                        ; -- End function
	.section	.AMDGPU.csdata,"",@progbits
; Kernel info:
; codeLenInByte = 1912
; NumSgprs: 33
; NumVgprs: 17
; ScratchSize: 0
; MemoryBound: 0
; FloatMode: 240
; IeeeMode: 1
; LDSByteSize: 0 bytes/workgroup (compile time only)
; SGPRBlocks: 4
; VGPRBlocks: 2
; NumSGPRsForWavesPerEU: 33
; NumVGPRsForWavesPerEU: 17
; Occupancy: 16
; WaveLimiterHint : 0
; COMPUTE_PGM_RSRC2:SCRATCH_EN: 0
; COMPUTE_PGM_RSRC2:USER_SGPR: 15
; COMPUTE_PGM_RSRC2:TRAP_HANDLER: 0
; COMPUTE_PGM_RSRC2:TGID_X_EN: 1
; COMPUTE_PGM_RSRC2:TGID_Y_EN: 0
; COMPUTE_PGM_RSRC2:TGID_Z_EN: 0
; COMPUTE_PGM_RSRC2:TIDIG_COMP_CNT: 0
	.section	.text._ZN5aiter20topk_softplus_kernelI12hip_bfloat16S1_Dv2_fLb1ELi1EEEvPKT_PKT0_PfPimiiif,"axG",@progbits,_ZN5aiter20topk_softplus_kernelI12hip_bfloat16S1_Dv2_fLb1ELi1EEEvPKT_PKT0_PfPimiiif,comdat
	.protected	_ZN5aiter20topk_softplus_kernelI12hip_bfloat16S1_Dv2_fLb1ELi1EEEvPKT_PKT0_PfPimiiif ; -- Begin function _ZN5aiter20topk_softplus_kernelI12hip_bfloat16S1_Dv2_fLb1ELi1EEEvPKT_PKT0_PfPimiiif
	.globl	_ZN5aiter20topk_softplus_kernelI12hip_bfloat16S1_Dv2_fLb1ELi1EEEvPKT_PKT0_PfPimiiif
	.p2align	8
	.type	_ZN5aiter20topk_softplus_kernelI12hip_bfloat16S1_Dv2_fLb1ELi1EEEvPKT_PKT0_PfPimiiif,@function
_ZN5aiter20topk_softplus_kernelI12hip_bfloat16S1_Dv2_fLb1ELi1EEEvPKT_PKT0_PfPimiiif: ; @_ZN5aiter20topk_softplus_kernelI12hip_bfloat16S1_Dv2_fLb1ELi1EEEvPKT_PKT0_PfPimiiif
; %bb.0:
	s_clause 0x1
	s_load_b64 s[12:13], s[0:1], 0x28
	s_load_b256 s[4:11], s[0:1], 0x0
	v_lshl_add_u32 v4, v0, 3, 0
	s_waitcnt lgkmcnt(0)
	s_lshr_b32 s3, s12, 31
	s_mul_i32 s2, s15, s12
	s_add_i32 s14, s12, s3
	s_ashr_i32 s3, s2, 31
	s_ashr_i32 s14, s14, 1
	s_lshl_b64 s[16:17], s[2:3], 1
	v_cmp_gt_i32_e64 s2, s14, v0
	s_add_u32 s4, s4, s16
	s_addc_u32 s5, s5, s17
	s_delay_alu instid0(VALU_DEP_1)
	s_and_saveexec_b32 s16, s2
	s_cbranch_execz .LBB283_7
; %bb.1:
	s_load_b32 s3, s[0:1], 0x44
	s_cmp_lg_u64 s[6:7], 0
	v_lshlrev_b32_e32 v3, 2, v0
	v_mov_b32_e32 v5, 0
	v_lshl_add_u32 v6, v0, 3, 0
	v_mov_b32_e32 v7, v0
	s_cselect_b32 s17, -1, 0
	s_mov_b32 s19, 0
	s_waitcnt lgkmcnt(0)
	s_and_b32 s18, s3, 0xffff
	s_delay_alu instid0(SALU_CYCLE_1)
	s_lshl_b32 s20, s18, 2
	s_lshl_b32 s21, s18, 3
	s_branch .LBB283_3
.LBB283_2:                              ;   in Loop: Header=BB283_3 Depth=1
	v_add_nc_u32_e32 v7, s18, v7
	v_add_co_u32 v3, s3, v3, s20
	ds_store_b64 v6, v[1:2]
	v_add_co_ci_u32_e64 v5, s3, 0, v5, s3
	v_cmp_le_i32_e32 vcc_lo, s14, v7
	v_add_nc_u32_e32 v6, s21, v6
	s_or_b32 s19, vcc_lo, s19
	s_delay_alu instid0(SALU_CYCLE_1)
	s_and_not1_b32 exec_lo, exec_lo, s19
	s_cbranch_execz .LBB283_7
.LBB283_3:                              ; =>This Inner Loop Header: Depth=1
	v_add_co_u32 v1, vcc_lo, s4, v3
	v_add_co_ci_u32_e32 v2, vcc_lo, s5, v5, vcc_lo
	global_load_b32 v2, v[1:2], off
	s_waitcnt vmcnt(0)
	v_and_b32_e32 v1, 0xffff, v2
	s_delay_alu instid0(VALU_DEP_1) | instskip(NEXT) | instid1(VALU_DEP_1)
	v_cvt_f32_u32_e32 v1, v1
	v_mul_f32_e32 v8, 0xbfb8aa3b, v1
	s_delay_alu instid0(VALU_DEP_1) | instskip(SKIP_1) | instid1(VALU_DEP_1)
	v_cmp_gt_f32_e32 vcc_lo, 0xc2fc0000, v8
	v_cndmask_b32_e64 v8, 0, 0x42800000, vcc_lo
	v_fmac_f32_e32 v8, 0xbfb8aa3b, v1
	s_delay_alu instid0(VALU_DEP_1) | instskip(SKIP_4) | instid1(VALU_DEP_1)
	v_exp_f32_e32 v1, v8
	v_cndmask_b32_e64 v8, 1.0, 0x1f800000, vcc_lo
	s_and_not1_b32 vcc_lo, exec_lo, s17
	s_waitcnt_depctr 0xfff
	v_fma_f32 v1, v1, v8, 1.0
	v_rcp_f32_e32 v1, v1
	s_cbranch_vccnz .LBB283_5
; %bb.4:                                ;   in Loop: Header=BB283_3 Depth=1
	v_add_co_u32 v8, vcc_lo, s6, v3
	v_add_co_ci_u32_e32 v9, vcc_lo, s7, v5, vcc_lo
	global_load_u16 v8, v[8:9], off
	s_waitcnt vmcnt(0)
	v_lshlrev_b32_e32 v8, 16, v8
	s_delay_alu instid0(VALU_DEP_1)
	v_add_f32_e32 v1, v1, v8
.LBB283_5:                              ;   in Loop: Header=BB283_3 Depth=1
	v_lshrrev_b32_e32 v2, 16, v2
	s_delay_alu instid0(VALU_DEP_1) | instskip(NEXT) | instid1(VALU_DEP_1)
	v_cvt_f32_u32_e32 v2, v2
	v_mul_f32_e32 v8, 0xbfb8aa3b, v2
	s_delay_alu instid0(VALU_DEP_1) | instskip(SKIP_1) | instid1(VALU_DEP_1)
	v_cmp_gt_f32_e32 vcc_lo, 0xc2fc0000, v8
	v_cndmask_b32_e64 v8, 0, 0x42800000, vcc_lo
	v_fmac_f32_e32 v8, 0xbfb8aa3b, v2
	s_delay_alu instid0(VALU_DEP_1) | instskip(SKIP_4) | instid1(VALU_DEP_1)
	v_exp_f32_e32 v2, v8
	v_cndmask_b32_e64 v8, 1.0, 0x1f800000, vcc_lo
	s_and_not1_b32 vcc_lo, exec_lo, s17
	s_waitcnt_depctr 0xfff
	v_fma_f32 v2, v2, v8, 1.0
	v_rcp_f32_e32 v2, v2
	s_cbranch_vccnz .LBB283_2
; %bb.6:                                ;   in Loop: Header=BB283_3 Depth=1
	v_add_co_u32 v8, vcc_lo, s6, v3
	v_add_co_ci_u32_e32 v9, vcc_lo, s7, v5, vcc_lo
	global_load_u16 v8, v[8:9], off offset:2
	s_waitcnt vmcnt(0)
	v_lshlrev_b32_e32 v8, 16, v8
	s_delay_alu instid0(VALU_DEP_1)
	v_add_f32_e32 v2, v2, v8
	s_branch .LBB283_2
.LBB283_7:
	s_or_b32 exec_lo, exec_lo, s16
	v_lshl_add_u32 v1, s14, 1, v0
	s_mov_b32 s3, exec_lo
	s_delay_alu instid0(VALU_DEP_1)
	v_cmpx_gt_i32_e64 s12, v1
	s_cbranch_execz .LBB283_12
; %bb.8:
	s_load_b32 s17, s[0:1], 0x44
	v_lshlrev_b32_e32 v2, 2, v0
	s_cmp_lg_u64 s[6:7], 0
	s_cselect_b32 s16, -1, 0
	s_lshl_b32 s18, s14, 3
	s_delay_alu instid0(VALU_DEP_1) | instid1(SALU_CYCLE_1)
	v_add3_u32 v5, 0, s18, v2
	s_mov_b32 s18, 0
	s_waitcnt lgkmcnt(0)
	s_and_b32 s17, s17, 0xffff
	s_delay_alu instid0(SALU_CYCLE_1)
	s_lshl_b32 s19, s17, 2
	s_set_inst_prefetch_distance 0x1
	s_branch .LBB283_10
	.p2align	6
.LBB283_9:                              ;   in Loop: Header=BB283_10 Depth=1
	v_add_nc_u32_e32 v1, s17, v1
	v_add_nc_u32_e32 v5, s19, v5
	s_delay_alu instid0(VALU_DEP_2) | instskip(SKIP_1) | instid1(SALU_CYCLE_1)
	v_cmp_le_i32_e32 vcc_lo, s12, v1
	s_or_b32 s18, vcc_lo, s18
	s_and_not1_b32 exec_lo, exec_lo, s18
	s_cbranch_execz .LBB283_12
.LBB283_10:                             ; =>This Inner Loop Header: Depth=1
	v_ashrrev_i32_e32 v2, 31, v1
	s_delay_alu instid0(VALU_DEP_1) | instskip(NEXT) | instid1(VALU_DEP_1)
	v_lshlrev_b64 v[2:3], 1, v[1:2]
	v_add_co_u32 v6, vcc_lo, s4, v2
	s_delay_alu instid0(VALU_DEP_2) | instskip(SKIP_3) | instid1(VALU_DEP_1)
	v_add_co_ci_u32_e32 v7, vcc_lo, s5, v3, vcc_lo
	global_load_u16 v6, v[6:7], off
	s_waitcnt vmcnt(0)
	v_lshlrev_b32_e32 v6, 16, v6
	v_mul_f32_e32 v7, 0xbfb8aa3b, v6
	s_delay_alu instid0(VALU_DEP_1) | instskip(SKIP_1) | instid1(VALU_DEP_1)
	v_cmp_gt_f32_e32 vcc_lo, 0xc2fc0000, v7
	v_cndmask_b32_e64 v7, 0, 0x42800000, vcc_lo
	v_fmac_f32_e32 v7, 0xbfb8aa3b, v6
	s_delay_alu instid0(VALU_DEP_1) | instskip(SKIP_4) | instid1(VALU_DEP_1)
	v_exp_f32_e32 v6, v7
	v_cndmask_b32_e64 v7, 1.0, 0x1f800000, vcc_lo
	s_and_not1_b32 vcc_lo, exec_lo, s16
	s_waitcnt_depctr 0xfff
	v_fma_f32 v6, v6, v7, 1.0
	v_rcp_f32_e32 v6, v6
	ds_store_b32 v5, v6
	s_cbranch_vccnz .LBB283_9
; %bb.11:                               ;   in Loop: Header=BB283_10 Depth=1
	v_add_co_u32 v2, vcc_lo, s6, v2
	v_add_co_ci_u32_e32 v3, vcc_lo, s7, v3, vcc_lo
	global_load_u16 v2, v[2:3], off
	s_waitcnt vmcnt(0)
	v_lshlrev_b32_e32 v2, 16, v2
	s_delay_alu instid0(VALU_DEP_1)
	v_add_f32_e32 v2, v6, v2
	ds_store_b32 v5, v2
	s_branch .LBB283_9
.LBB283_12:
	s_set_inst_prefetch_distance 0x2
	s_or_b32 exec_lo, exec_lo, s3
	v_mov_b32_e32 v2, 0
	s_cmp_lt_i32 s13, 1
	s_waitcnt lgkmcnt(0)
	s_barrier
	buffer_gl0_inv
	s_cbranch_scc1 .LBB283_21
; %bb.13:
	s_add_u32 s4, s0, 56
	s_addc_u32 s5, s1, 0
	v_dual_mov_b32 v2, 0 :: v_dual_lshlrev_b32 v5, 1, v0
	v_dual_mov_b32 v6, 0 :: v_dual_mov_b32 v7, 0xff800000
	v_mov_b32_e32 v1, 0
	v_mov_b32_e32 v3, 0
	s_cmp_lg_u64 s[6:7], 0
	s_mov_b32 s18, 0
	s_cselect_b32 s12, -1, 0
	s_mov_b32 s19, 0x76543210
	s_branch .LBB283_15
.LBB283_14:                             ;   in Loop: Header=BB283_15 Depth=1
	v_cmp_eq_u32_e32 vcc_lo, s18, v0
	s_delay_alu instid0(VALU_DEP_2)
	s_lshl_b32 s3, s16, 2
	s_add_i32 s18, s18, 1
	s_add_i32 s3, s3, 0
	v_add_f32_e32 v3, v3, v10
	v_cndmask_b32_e64 v1, v1, s16, vcc_lo
	v_mov_b32_e32 v8, s3
	v_cndmask_b32_e32 v2, v2, v10, vcc_lo
	s_cmp_eq_u32 s18, s13
	ds_store_b32 v8, v7
	s_cbranch_scc1 .LBB283_22
.LBB283_15:                             ; =>This Loop Header: Depth=1
                                        ;     Child Loop BB283_17 Depth 2
	v_dual_mov_b32 v8, s18 :: v_dual_mov_b32 v9, 0xff800000
	s_and_saveexec_b32 s16, s2
	s_cbranch_execz .LBB283_19
; %bb.16:                               ;   in Loop: Header=BB283_15 Depth=1
	s_load_b32 s3, s[4:5], 0xc
	v_dual_mov_b32 v8, s18 :: v_dual_mov_b32 v9, 0xff800000
	v_dual_mov_b32 v10, v4 :: v_dual_mov_b32 v11, v5
	v_mov_b32_e32 v12, v0
	s_mov_b32 s21, 0
	s_waitcnt lgkmcnt(0)
	s_and_b32 s17, s3, 0xffff
	s_delay_alu instid0(SALU_CYCLE_1)
	s_lshl_b32 s20, s17, 1
	s_lshl_b32 s22, s17, 3
	.p2align	6
.LBB283_17:                             ;   Parent Loop BB283_15 Depth=1
                                        ; =>  This Inner Loop Header: Depth=2
	ds_load_b64 v[13:14], v10
	v_add_nc_u32_e32 v10, s22, v10
	v_add_nc_u32_e32 v12, s17, v12
	s_delay_alu instid0(VALU_DEP_1) | instskip(NEXT) | instid1(VALU_DEP_1)
	v_cmp_le_i32_e64 s3, s14, v12
	s_or_b32 s21, s3, s21
	s_waitcnt lgkmcnt(0)
	v_cmp_gt_f32_e32 vcc_lo, v13, v9
	v_cndmask_b32_e32 v9, v9, v13, vcc_lo
	v_add_nc_u32_e32 v13, 1, v11
	v_cndmask_b32_e32 v8, v8, v11, vcc_lo
	s_delay_alu instid0(VALU_DEP_3) | instskip(SKIP_1) | instid1(VALU_DEP_3)
	v_cmp_gt_f32_e32 vcc_lo, v14, v9
	v_cndmask_b32_e32 v9, v9, v14, vcc_lo
	v_dual_cndmask_b32 v8, v8, v13 :: v_dual_add_nc_u32 v11, s20, v11
	s_and_not1_b32 exec_lo, exec_lo, s21
	s_cbranch_execnz .LBB283_17
; %bb.18:                               ;   in Loop: Header=BB283_15 Depth=1
	s_or_b32 exec_lo, exec_lo, s21
.LBB283_19:                             ;   in Loop: Header=BB283_15 Depth=1
	s_delay_alu instid0(SALU_CYCLE_1)
	s_or_b32 exec_lo, exec_lo, s16
	;;#ASMSTART
	v_max_f32 v10, v9, v9 quad_perm:[1,0,3,2] row_mask:0xf bank_mask:0xf bound_ctrl:1
	;;#ASMEND
	;;#ASMSTART
	v_max_f32 v11, v10, v10 quad_perm:[2,3,0,1] row_mask:0xf bank_mask:0xf bound_ctrl:1
	;;#ASMEND
	;;#ASMSTART
	v_max_f32 v10, v11, v11 row_half_mirror row_mask:0xf bank_mask:0xf bound_ctrl:1
	;;#ASMEND
	;;#ASMSTART
	v_max_f32 v11, v10, v10 row_mirror row_mask:0xf bank_mask:0xf bound_ctrl:1
	;;#ASMEND
	v_permlanex16_b32 v10, v11, s19, 0xfedcba98 op_sel:[1,1]
	s_delay_alu instid0(VALU_DEP_1) | instskip(NEXT) | instid1(VALU_DEP_1)
	v_dual_max_f32 v11, v11, v11 :: v_dual_max_f32 v10, v10, v10
	v_max_f32_e32 v10, v11, v10
	s_delay_alu instid0(VALU_DEP_1)
	v_cmp_eq_f32_e32 vcc_lo, v9, v10
	s_ctz_i32_b32 s3, vcc_lo
	s_cmp_lg_u32 vcc_lo, 0
	s_cselect_b32 s3, s3, 0
	s_and_b32 vcc_lo, exec_lo, s12
	v_readlane_b32 s16, v8, s3
	s_cbranch_vccz .LBB283_14
; %bb.20:                               ;   in Loop: Header=BB283_15 Depth=1
	s_delay_alu instid0(VALU_DEP_1) | instskip(NEXT) | instid1(SALU_CYCLE_1)
	s_ashr_i32 s17, s16, 31
	s_lshl_b64 s[20:21], s[16:17], 1
	s_delay_alu instid0(SALU_CYCLE_1) | instskip(SKIP_4) | instid1(VALU_DEP_1)
	s_add_u32 s20, s6, s20
	s_addc_u32 s21, s7, s21
	global_load_u16 v8, v6, s[20:21]
	s_waitcnt vmcnt(0)
	v_lshlrev_b32_e32 v8, 16, v8
	v_sub_f32_e32 v10, v10, v8
	s_branch .LBB283_14
.LBB283_21:
	v_mov_b32_e32 v1, 0
	v_mov_b32_e32 v3, 0
.LBB283_22:
	s_mov_b32 s2, exec_lo
	v_cmpx_gt_i32_e64 s13, v0
	s_cbranch_execz .LBB283_25
; %bb.23:
	s_clause 0x1
	s_load_b32 s2, s[0:1], 0x34
	s_load_b32 s3, s[0:1], 0x44
	v_max_f32_e32 v3, v3, v3
	s_load_b64 s[0:1], s[0:1], 0x20
	s_ashr_i32 s4, s15, 31
	s_delay_alu instid0(VALU_DEP_1) | instskip(SKIP_1) | instid1(VALU_DEP_1)
	v_max_f32_e32 v3, 0x1e3ce508, v3
	s_waitcnt lgkmcnt(0)
	v_div_scale_f32 v4, null, v3, v3, s2
	v_div_scale_f32 v7, vcc_lo, s2, v3, s2
	s_mul_i32 s1, s15, s1
	s_delay_alu instid0(VALU_DEP_2) | instskip(SKIP_4) | instid1(VALU_DEP_1)
	v_rcp_f32_e32 v5, v4
	s_mul_i32 s4, s4, s0
	s_and_b32 s3, s3, 0xffff
	s_waitcnt_depctr 0xfff
	v_fma_f32 v6, -v4, v5, 1.0
	v_fmac_f32_e32 v5, v6, v5
	s_delay_alu instid0(VALU_DEP_1) | instskip(NEXT) | instid1(VALU_DEP_1)
	v_mul_f32_e32 v6, v7, v5
	v_fma_f32 v8, -v4, v6, v7
	s_delay_alu instid0(VALU_DEP_1) | instskip(NEXT) | instid1(VALU_DEP_1)
	v_fmac_f32_e32 v6, v8, v5
	v_fma_f32 v4, -v4, v6, v7
	s_delay_alu instid0(VALU_DEP_1) | instskip(NEXT) | instid1(VALU_DEP_1)
	v_div_fmas_f32 v4, v4, v5, v6
	v_div_fixup_f32 v3, v4, v3, s2
	s_mul_hi_u32 s2, s15, s0
	s_delay_alu instid0(SALU_CYCLE_1) | instskip(SKIP_1) | instid1(VALU_DEP_1)
	s_add_i32 s1, s2, s1
	s_mul_i32 s2, s15, s0
	v_mul_f32_e32 v2, v2, v3
	s_add_i32 s1, s1, s4
	s_mov_b32 s4, 0
	.p2align	6
.LBB283_24:                             ; =>This Inner Loop Header: Depth=1
	v_ashrrev_i32_e32 v4, 31, v0
	v_add_co_u32 v3, vcc_lo, s2, v0
	v_add_nc_u32_e32 v0, s3, v0
	s_delay_alu instid0(VALU_DEP_3) | instskip(NEXT) | instid1(VALU_DEP_2)
	v_add_co_ci_u32_e32 v4, vcc_lo, s1, v4, vcc_lo
	v_cmp_le_i32_e32 vcc_lo, s13, v0
	s_delay_alu instid0(VALU_DEP_2) | instskip(SKIP_1) | instid1(VALU_DEP_1)
	v_lshlrev_b64 v[3:4], 2, v[3:4]
	s_or_b32 s4, vcc_lo, s4
	v_add_co_u32 v5, s0, s8, v3
	s_delay_alu instid0(VALU_DEP_1) | instskip(SKIP_1) | instid1(VALU_DEP_1)
	v_add_co_ci_u32_e64 v6, s0, s9, v4, s0
	v_add_co_u32 v3, s0, s10, v3
	v_add_co_ci_u32_e64 v4, s0, s11, v4, s0
	global_store_b32 v[5:6], v2, off
	global_store_b32 v[3:4], v1, off
	s_and_not1_b32 exec_lo, exec_lo, s4
	s_cbranch_execnz .LBB283_24
.LBB283_25:
	s_nop 0
	s_sendmsg sendmsg(MSG_DEALLOC_VGPRS)
	s_endpgm
	.section	.rodata,"a",@progbits
	.p2align	6, 0x0
	.amdhsa_kernel _ZN5aiter20topk_softplus_kernelI12hip_bfloat16S1_Dv2_fLb1ELi1EEEvPKT_PKT0_PfPimiiif
		.amdhsa_group_segment_fixed_size 0
		.amdhsa_private_segment_fixed_size 0
		.amdhsa_kernarg_size 312
		.amdhsa_user_sgpr_count 15
		.amdhsa_user_sgpr_dispatch_ptr 0
		.amdhsa_user_sgpr_queue_ptr 0
		.amdhsa_user_sgpr_kernarg_segment_ptr 1
		.amdhsa_user_sgpr_dispatch_id 0
		.amdhsa_user_sgpr_private_segment_size 0
		.amdhsa_wavefront_size32 1
		.amdhsa_uses_dynamic_stack 0
		.amdhsa_enable_private_segment 0
		.amdhsa_system_sgpr_workgroup_id_x 1
		.amdhsa_system_sgpr_workgroup_id_y 0
		.amdhsa_system_sgpr_workgroup_id_z 0
		.amdhsa_system_sgpr_workgroup_info 0
		.amdhsa_system_vgpr_workitem_id 0
		.amdhsa_next_free_vgpr 15
		.amdhsa_next_free_sgpr 23
		.amdhsa_reserve_vcc 1
		.amdhsa_float_round_mode_32 0
		.amdhsa_float_round_mode_16_64 0
		.amdhsa_float_denorm_mode_32 3
		.amdhsa_float_denorm_mode_16_64 3
		.amdhsa_dx10_clamp 1
		.amdhsa_ieee_mode 1
		.amdhsa_fp16_overflow 0
		.amdhsa_workgroup_processor_mode 1
		.amdhsa_memory_ordered 1
		.amdhsa_forward_progress 0
		.amdhsa_shared_vgpr_count 0
		.amdhsa_exception_fp_ieee_invalid_op 0
		.amdhsa_exception_fp_denorm_src 0
		.amdhsa_exception_fp_ieee_div_zero 0
		.amdhsa_exception_fp_ieee_overflow 0
		.amdhsa_exception_fp_ieee_underflow 0
		.amdhsa_exception_fp_ieee_inexact 0
		.amdhsa_exception_int_div_zero 0
	.end_amdhsa_kernel
	.section	.text._ZN5aiter20topk_softplus_kernelI12hip_bfloat16S1_Dv2_fLb1ELi1EEEvPKT_PKT0_PfPimiiif,"axG",@progbits,_ZN5aiter20topk_softplus_kernelI12hip_bfloat16S1_Dv2_fLb1ELi1EEEvPKT_PKT0_PfPimiiif,comdat
.Lfunc_end283:
	.size	_ZN5aiter20topk_softplus_kernelI12hip_bfloat16S1_Dv2_fLb1ELi1EEEvPKT_PKT0_PfPimiiif, .Lfunc_end283-_ZN5aiter20topk_softplus_kernelI12hip_bfloat16S1_Dv2_fLb1ELi1EEEvPKT_PKT0_PfPimiiif
                                        ; -- End function
	.section	.AMDGPU.csdata,"",@progbits
; Kernel info:
; codeLenInByte = 1660
; NumSgprs: 25
; NumVgprs: 15
; ScratchSize: 0
; MemoryBound: 0
; FloatMode: 240
; IeeeMode: 1
; LDSByteSize: 0 bytes/workgroup (compile time only)
; SGPRBlocks: 3
; VGPRBlocks: 1
; NumSGPRsForWavesPerEU: 25
; NumVGPRsForWavesPerEU: 15
; Occupancy: 16
; WaveLimiterHint : 0
; COMPUTE_PGM_RSRC2:SCRATCH_EN: 0
; COMPUTE_PGM_RSRC2:USER_SGPR: 15
; COMPUTE_PGM_RSRC2:TRAP_HANDLER: 0
; COMPUTE_PGM_RSRC2:TGID_X_EN: 1
; COMPUTE_PGM_RSRC2:TGID_Y_EN: 0
; COMPUTE_PGM_RSRC2:TGID_Z_EN: 0
; COMPUTE_PGM_RSRC2:TIDIG_COMP_CNT: 0
	.section	.text._ZN5aiter20topk_softplus_kernelI12hip_bfloat16S1_Dv2_fLb0ELi1EEEvPKT_PKT0_PfPimiiif,"axG",@progbits,_ZN5aiter20topk_softplus_kernelI12hip_bfloat16S1_Dv2_fLb0ELi1EEEvPKT_PKT0_PfPimiiif,comdat
	.protected	_ZN5aiter20topk_softplus_kernelI12hip_bfloat16S1_Dv2_fLb0ELi1EEEvPKT_PKT0_PfPimiiif ; -- Begin function _ZN5aiter20topk_softplus_kernelI12hip_bfloat16S1_Dv2_fLb0ELi1EEEvPKT_PKT0_PfPimiiif
	.globl	_ZN5aiter20topk_softplus_kernelI12hip_bfloat16S1_Dv2_fLb0ELi1EEEvPKT_PKT0_PfPimiiif
	.p2align	8
	.type	_ZN5aiter20topk_softplus_kernelI12hip_bfloat16S1_Dv2_fLb0ELi1EEEvPKT_PKT0_PfPimiiif,@function
_ZN5aiter20topk_softplus_kernelI12hip_bfloat16S1_Dv2_fLb0ELi1EEEvPKT_PKT0_PfPimiiif: ; @_ZN5aiter20topk_softplus_kernelI12hip_bfloat16S1_Dv2_fLb0ELi1EEEvPKT_PKT0_PfPimiiif
; %bb.0:
	s_clause 0x1
	s_load_b64 s[12:13], s[0:1], 0x28
	s_load_b256 s[4:11], s[0:1], 0x0
	v_lshl_add_u32 v4, v0, 3, 0
	s_waitcnt lgkmcnt(0)
	s_lshr_b32 s3, s12, 31
	s_mul_i32 s2, s15, s12
	s_add_i32 s14, s12, s3
	s_ashr_i32 s3, s2, 31
	s_ashr_i32 s14, s14, 1
	s_lshl_b64 s[16:17], s[2:3], 1
	v_cmp_gt_i32_e64 s2, s14, v0
	s_add_u32 s4, s4, s16
	s_addc_u32 s5, s5, s17
	s_delay_alu instid0(VALU_DEP_1)
	s_and_saveexec_b32 s16, s2
	s_cbranch_execz .LBB284_7
; %bb.1:
	s_load_b32 s3, s[0:1], 0x44
	s_cmp_lg_u64 s[6:7], 0
	v_lshlrev_b32_e32 v3, 2, v0
	v_mov_b32_e32 v5, 0
	v_lshl_add_u32 v6, v0, 3, 0
	v_mov_b32_e32 v7, v0
	s_cselect_b32 s17, -1, 0
	s_mov_b32 s19, 0
	s_waitcnt lgkmcnt(0)
	s_and_b32 s18, s3, 0xffff
	s_delay_alu instid0(SALU_CYCLE_1)
	s_lshl_b32 s20, s18, 2
	s_lshl_b32 s21, s18, 3
	s_branch .LBB284_3
.LBB284_2:                              ;   in Loop: Header=BB284_3 Depth=1
	v_add_nc_u32_e32 v7, s18, v7
	v_add_co_u32 v3, s3, v3, s20
	ds_store_b64 v6, v[1:2]
	v_add_co_ci_u32_e64 v5, s3, 0, v5, s3
	v_cmp_le_i32_e32 vcc_lo, s14, v7
	v_add_nc_u32_e32 v6, s21, v6
	s_or_b32 s19, vcc_lo, s19
	s_delay_alu instid0(SALU_CYCLE_1)
	s_and_not1_b32 exec_lo, exec_lo, s19
	s_cbranch_execz .LBB284_7
.LBB284_3:                              ; =>This Inner Loop Header: Depth=1
	v_add_co_u32 v1, vcc_lo, s4, v3
	v_add_co_ci_u32_e32 v2, vcc_lo, s5, v5, vcc_lo
	global_load_b32 v2, v[1:2], off
	s_waitcnt vmcnt(0)
	v_and_b32_e32 v1, 0xffff, v2
	s_delay_alu instid0(VALU_DEP_1) | instskip(NEXT) | instid1(VALU_DEP_1)
	v_cvt_f32_u32_e32 v1, v1
	v_mul_f32_e32 v8, 0xbfb8aa3b, v1
	s_delay_alu instid0(VALU_DEP_1) | instskip(SKIP_1) | instid1(VALU_DEP_1)
	v_cmp_gt_f32_e32 vcc_lo, 0xc2fc0000, v8
	v_cndmask_b32_e64 v8, 0, 0x42800000, vcc_lo
	v_fmac_f32_e32 v8, 0xbfb8aa3b, v1
	s_delay_alu instid0(VALU_DEP_1) | instskip(SKIP_4) | instid1(VALU_DEP_1)
	v_exp_f32_e32 v1, v8
	v_cndmask_b32_e64 v8, 1.0, 0x1f800000, vcc_lo
	s_and_not1_b32 vcc_lo, exec_lo, s17
	s_waitcnt_depctr 0xfff
	v_fma_f32 v1, v1, v8, 1.0
	v_rcp_f32_e32 v1, v1
	s_cbranch_vccnz .LBB284_5
; %bb.4:                                ;   in Loop: Header=BB284_3 Depth=1
	v_add_co_u32 v8, vcc_lo, s6, v3
	v_add_co_ci_u32_e32 v9, vcc_lo, s7, v5, vcc_lo
	global_load_u16 v8, v[8:9], off
	s_waitcnt vmcnt(0)
	v_lshlrev_b32_e32 v8, 16, v8
	s_delay_alu instid0(VALU_DEP_1)
	v_add_f32_e32 v1, v1, v8
.LBB284_5:                              ;   in Loop: Header=BB284_3 Depth=1
	v_lshrrev_b32_e32 v2, 16, v2
	s_delay_alu instid0(VALU_DEP_1) | instskip(NEXT) | instid1(VALU_DEP_1)
	v_cvt_f32_u32_e32 v2, v2
	v_mul_f32_e32 v8, 0xbfb8aa3b, v2
	s_delay_alu instid0(VALU_DEP_1) | instskip(SKIP_1) | instid1(VALU_DEP_1)
	v_cmp_gt_f32_e32 vcc_lo, 0xc2fc0000, v8
	v_cndmask_b32_e64 v8, 0, 0x42800000, vcc_lo
	v_fmac_f32_e32 v8, 0xbfb8aa3b, v2
	s_delay_alu instid0(VALU_DEP_1) | instskip(SKIP_4) | instid1(VALU_DEP_1)
	v_exp_f32_e32 v2, v8
	v_cndmask_b32_e64 v8, 1.0, 0x1f800000, vcc_lo
	s_and_not1_b32 vcc_lo, exec_lo, s17
	s_waitcnt_depctr 0xfff
	v_fma_f32 v2, v2, v8, 1.0
	v_rcp_f32_e32 v2, v2
	s_cbranch_vccnz .LBB284_2
; %bb.6:                                ;   in Loop: Header=BB284_3 Depth=1
	v_add_co_u32 v8, vcc_lo, s6, v3
	v_add_co_ci_u32_e32 v9, vcc_lo, s7, v5, vcc_lo
	global_load_u16 v8, v[8:9], off offset:2
	s_waitcnt vmcnt(0)
	v_lshlrev_b32_e32 v8, 16, v8
	s_delay_alu instid0(VALU_DEP_1)
	v_add_f32_e32 v2, v2, v8
	s_branch .LBB284_2
.LBB284_7:
	s_or_b32 exec_lo, exec_lo, s16
	v_lshl_add_u32 v1, s14, 1, v0
	s_mov_b32 s3, exec_lo
	s_delay_alu instid0(VALU_DEP_1)
	v_cmpx_gt_i32_e64 s12, v1
	s_cbranch_execz .LBB284_12
; %bb.8:
	s_load_b32 s17, s[0:1], 0x44
	v_lshlrev_b32_e32 v2, 2, v0
	s_cmp_lg_u64 s[6:7], 0
	s_cselect_b32 s16, -1, 0
	s_lshl_b32 s18, s14, 3
	s_delay_alu instid0(VALU_DEP_1) | instid1(SALU_CYCLE_1)
	v_add3_u32 v5, 0, s18, v2
	s_mov_b32 s18, 0
	s_waitcnt lgkmcnt(0)
	s_and_b32 s17, s17, 0xffff
	s_delay_alu instid0(SALU_CYCLE_1)
	s_lshl_b32 s19, s17, 2
	s_set_inst_prefetch_distance 0x1
	s_branch .LBB284_10
	.p2align	6
.LBB284_9:                              ;   in Loop: Header=BB284_10 Depth=1
	v_add_nc_u32_e32 v1, s17, v1
	v_add_nc_u32_e32 v5, s19, v5
	s_delay_alu instid0(VALU_DEP_2) | instskip(SKIP_1) | instid1(SALU_CYCLE_1)
	v_cmp_le_i32_e32 vcc_lo, s12, v1
	s_or_b32 s18, vcc_lo, s18
	s_and_not1_b32 exec_lo, exec_lo, s18
	s_cbranch_execz .LBB284_12
.LBB284_10:                             ; =>This Inner Loop Header: Depth=1
	v_ashrrev_i32_e32 v2, 31, v1
	s_delay_alu instid0(VALU_DEP_1) | instskip(NEXT) | instid1(VALU_DEP_1)
	v_lshlrev_b64 v[2:3], 1, v[1:2]
	v_add_co_u32 v6, vcc_lo, s4, v2
	s_delay_alu instid0(VALU_DEP_2) | instskip(SKIP_3) | instid1(VALU_DEP_1)
	v_add_co_ci_u32_e32 v7, vcc_lo, s5, v3, vcc_lo
	global_load_u16 v6, v[6:7], off
	s_waitcnt vmcnt(0)
	v_lshlrev_b32_e32 v6, 16, v6
	v_mul_f32_e32 v7, 0xbfb8aa3b, v6
	s_delay_alu instid0(VALU_DEP_1) | instskip(SKIP_1) | instid1(VALU_DEP_1)
	v_cmp_gt_f32_e32 vcc_lo, 0xc2fc0000, v7
	v_cndmask_b32_e64 v7, 0, 0x42800000, vcc_lo
	v_fmac_f32_e32 v7, 0xbfb8aa3b, v6
	s_delay_alu instid0(VALU_DEP_1) | instskip(SKIP_4) | instid1(VALU_DEP_1)
	v_exp_f32_e32 v6, v7
	v_cndmask_b32_e64 v7, 1.0, 0x1f800000, vcc_lo
	s_and_not1_b32 vcc_lo, exec_lo, s16
	s_waitcnt_depctr 0xfff
	v_fma_f32 v6, v6, v7, 1.0
	v_rcp_f32_e32 v6, v6
	ds_store_b32 v5, v6
	s_cbranch_vccnz .LBB284_9
; %bb.11:                               ;   in Loop: Header=BB284_10 Depth=1
	v_add_co_u32 v2, vcc_lo, s6, v2
	v_add_co_ci_u32_e32 v3, vcc_lo, s7, v3, vcc_lo
	global_load_u16 v2, v[2:3], off
	s_waitcnt vmcnt(0)
	v_lshlrev_b32_e32 v2, 16, v2
	s_delay_alu instid0(VALU_DEP_1)
	v_add_f32_e32 v2, v6, v2
	ds_store_b32 v5, v2
	s_branch .LBB284_9
.LBB284_12:
	s_set_inst_prefetch_distance 0x2
	s_or_b32 exec_lo, exec_lo, s3
	s_cmp_lt_i32 s13, 1
	s_waitcnt lgkmcnt(0)
	s_barrier
	buffer_gl0_inv
	s_cbranch_scc1 .LBB284_21
; %bb.13:
	s_add_u32 s4, s0, 56
	s_addc_u32 s5, s1, 0
	v_dual_mov_b32 v6, 0xff800000 :: v_dual_lshlrev_b32 v3, 1, v0
	v_dual_mov_b32 v5, 0 :: v_dual_mov_b32 v2, 0
	v_mov_b32_e32 v1, 0
	s_cmp_lg_u64 s[6:7], 0
	s_mov_b32 s18, 0
	s_cselect_b32 s12, -1, 0
	s_mov_b32 s19, 0x76543210
	s_branch .LBB284_15
.LBB284_14:                             ;   in Loop: Header=BB284_15 Depth=1
	v_cmp_eq_u32_e32 vcc_lo, s18, v0
	s_delay_alu instid0(VALU_DEP_2)
	s_lshl_b32 s3, s16, 2
	s_add_i32 s18, s18, 1
	s_add_i32 s3, s3, 0
	s_cmp_eq_u32 s18, s13
	v_cndmask_b32_e64 v1, v1, s16, vcc_lo
	v_dual_mov_b32 v7, s3 :: v_dual_cndmask_b32 v2, v2, v9
	ds_store_b32 v7, v6
	s_cbranch_scc1 .LBB284_22
.LBB284_15:                             ; =>This Loop Header: Depth=1
                                        ;     Child Loop BB284_17 Depth 2
	v_dual_mov_b32 v7, s18 :: v_dual_mov_b32 v8, 0xff800000
	s_and_saveexec_b32 s16, s2
	s_cbranch_execz .LBB284_19
; %bb.16:                               ;   in Loop: Header=BB284_15 Depth=1
	s_load_b32 s3, s[4:5], 0xc
	v_dual_mov_b32 v7, s18 :: v_dual_mov_b32 v8, 0xff800000
	v_dual_mov_b32 v9, v4 :: v_dual_mov_b32 v10, v3
	v_mov_b32_e32 v11, v0
	s_mov_b32 s21, 0
	s_waitcnt lgkmcnt(0)
	s_and_b32 s17, s3, 0xffff
	s_delay_alu instid0(SALU_CYCLE_1)
	s_lshl_b32 s20, s17, 1
	s_lshl_b32 s22, s17, 3
	.p2align	6
.LBB284_17:                             ;   Parent Loop BB284_15 Depth=1
                                        ; =>  This Inner Loop Header: Depth=2
	ds_load_b64 v[12:13], v9
	v_add_nc_u32_e32 v9, s22, v9
	v_add_nc_u32_e32 v11, s17, v11
	s_delay_alu instid0(VALU_DEP_1) | instskip(NEXT) | instid1(VALU_DEP_1)
	v_cmp_le_i32_e64 s3, s14, v11
	s_or_b32 s21, s3, s21
	s_waitcnt lgkmcnt(0)
	v_cmp_gt_f32_e32 vcc_lo, v12, v8
	v_cndmask_b32_e32 v8, v8, v12, vcc_lo
	v_add_nc_u32_e32 v12, 1, v10
	v_cndmask_b32_e32 v7, v7, v10, vcc_lo
	s_delay_alu instid0(VALU_DEP_3) | instskip(SKIP_1) | instid1(VALU_DEP_3)
	v_cmp_gt_f32_e32 vcc_lo, v13, v8
	v_cndmask_b32_e32 v8, v8, v13, vcc_lo
	v_dual_cndmask_b32 v7, v7, v12 :: v_dual_add_nc_u32 v10, s20, v10
	s_and_not1_b32 exec_lo, exec_lo, s21
	s_cbranch_execnz .LBB284_17
; %bb.18:                               ;   in Loop: Header=BB284_15 Depth=1
	s_or_b32 exec_lo, exec_lo, s21
.LBB284_19:                             ;   in Loop: Header=BB284_15 Depth=1
	s_delay_alu instid0(SALU_CYCLE_1)
	s_or_b32 exec_lo, exec_lo, s16
	;;#ASMSTART
	v_max_f32 v9, v8, v8 quad_perm:[1,0,3,2] row_mask:0xf bank_mask:0xf bound_ctrl:1
	;;#ASMEND
	;;#ASMSTART
	v_max_f32 v10, v9, v9 quad_perm:[2,3,0,1] row_mask:0xf bank_mask:0xf bound_ctrl:1
	;;#ASMEND
	;;#ASMSTART
	v_max_f32 v9, v10, v10 row_half_mirror row_mask:0xf bank_mask:0xf bound_ctrl:1
	;;#ASMEND
	;;#ASMSTART
	v_max_f32 v10, v9, v9 row_mirror row_mask:0xf bank_mask:0xf bound_ctrl:1
	;;#ASMEND
	v_permlanex16_b32 v9, v10, s19, 0xfedcba98 op_sel:[1,1]
	s_delay_alu instid0(VALU_DEP_1) | instskip(NEXT) | instid1(VALU_DEP_1)
	v_dual_max_f32 v10, v10, v10 :: v_dual_max_f32 v9, v9, v9
	v_max_f32_e32 v9, v10, v9
	s_delay_alu instid0(VALU_DEP_1)
	v_cmp_eq_f32_e32 vcc_lo, v8, v9
	s_ctz_i32_b32 s3, vcc_lo
	s_cmp_lg_u32 vcc_lo, 0
	s_cselect_b32 s3, s3, 0
	s_and_b32 vcc_lo, exec_lo, s12
	v_readlane_b32 s16, v7, s3
	s_cbranch_vccz .LBB284_14
; %bb.20:                               ;   in Loop: Header=BB284_15 Depth=1
	s_delay_alu instid0(VALU_DEP_1) | instskip(NEXT) | instid1(SALU_CYCLE_1)
	s_ashr_i32 s17, s16, 31
	s_lshl_b64 s[20:21], s[16:17], 1
	s_delay_alu instid0(SALU_CYCLE_1) | instskip(SKIP_4) | instid1(VALU_DEP_1)
	s_add_u32 s20, s6, s20
	s_addc_u32 s21, s7, s21
	global_load_u16 v7, v5, s[20:21]
	s_waitcnt vmcnt(0)
	v_lshlrev_b32_e32 v7, 16, v7
	v_sub_f32_e32 v9, v9, v7
	s_branch .LBB284_14
.LBB284_21:
	v_dual_mov_b32 v2, 0 :: v_dual_mov_b32 v1, 0
.LBB284_22:
	s_mov_b32 s2, exec_lo
	v_cmpx_gt_i32_e64 s13, v0
	s_cbranch_execz .LBB284_25
; %bb.23:
	s_clause 0x2
	s_load_b32 s4, s[0:1], 0x34
	s_load_b64 s[2:3], s[0:1], 0x20
	s_load_b32 s0, s[0:1], 0x44
	s_ashr_i32 s1, s15, 31
	s_waitcnt lgkmcnt(0)
	v_mul_f32_e32 v2, s4, v2
	s_mul_i32 s3, s15, s3
	s_mul_hi_u32 s4, s15, s2
	s_mul_i32 s5, s1, s2
	s_add_i32 s3, s4, s3
	s_mul_i32 s1, s15, s2
	s_and_b32 s2, s0, 0xffff
	s_add_i32 s3, s3, s5
	s_mov_b32 s4, 0
	.p2align	6
.LBB284_24:                             ; =>This Inner Loop Header: Depth=1
	v_ashrrev_i32_e32 v4, 31, v0
	v_add_co_u32 v3, vcc_lo, s1, v0
	v_add_nc_u32_e32 v0, s2, v0
	s_delay_alu instid0(VALU_DEP_3) | instskip(NEXT) | instid1(VALU_DEP_2)
	v_add_co_ci_u32_e32 v4, vcc_lo, s3, v4, vcc_lo
	v_cmp_le_i32_e32 vcc_lo, s13, v0
	s_delay_alu instid0(VALU_DEP_2) | instskip(SKIP_1) | instid1(VALU_DEP_1)
	v_lshlrev_b64 v[3:4], 2, v[3:4]
	s_or_b32 s4, vcc_lo, s4
	v_add_co_u32 v5, s0, s8, v3
	s_delay_alu instid0(VALU_DEP_1) | instskip(SKIP_1) | instid1(VALU_DEP_1)
	v_add_co_ci_u32_e64 v6, s0, s9, v4, s0
	v_add_co_u32 v3, s0, s10, v3
	v_add_co_ci_u32_e64 v4, s0, s11, v4, s0
	global_store_b32 v[5:6], v2, off
	global_store_b32 v[3:4], v1, off
	s_and_not1_b32 exec_lo, exec_lo, s4
	s_cbranch_execnz .LBB284_24
.LBB284_25:
	s_nop 0
	s_sendmsg sendmsg(MSG_DEALLOC_VGPRS)
	s_endpgm
	.section	.rodata,"a",@progbits
	.p2align	6, 0x0
	.amdhsa_kernel _ZN5aiter20topk_softplus_kernelI12hip_bfloat16S1_Dv2_fLb0ELi1EEEvPKT_PKT0_PfPimiiif
		.amdhsa_group_segment_fixed_size 0
		.amdhsa_private_segment_fixed_size 0
		.amdhsa_kernarg_size 312
		.amdhsa_user_sgpr_count 15
		.amdhsa_user_sgpr_dispatch_ptr 0
		.amdhsa_user_sgpr_queue_ptr 0
		.amdhsa_user_sgpr_kernarg_segment_ptr 1
		.amdhsa_user_sgpr_dispatch_id 0
		.amdhsa_user_sgpr_private_segment_size 0
		.amdhsa_wavefront_size32 1
		.amdhsa_uses_dynamic_stack 0
		.amdhsa_enable_private_segment 0
		.amdhsa_system_sgpr_workgroup_id_x 1
		.amdhsa_system_sgpr_workgroup_id_y 0
		.amdhsa_system_sgpr_workgroup_id_z 0
		.amdhsa_system_sgpr_workgroup_info 0
		.amdhsa_system_vgpr_workitem_id 0
		.amdhsa_next_free_vgpr 14
		.amdhsa_next_free_sgpr 23
		.amdhsa_reserve_vcc 1
		.amdhsa_float_round_mode_32 0
		.amdhsa_float_round_mode_16_64 0
		.amdhsa_float_denorm_mode_32 3
		.amdhsa_float_denorm_mode_16_64 3
		.amdhsa_dx10_clamp 1
		.amdhsa_ieee_mode 1
		.amdhsa_fp16_overflow 0
		.amdhsa_workgroup_processor_mode 1
		.amdhsa_memory_ordered 1
		.amdhsa_forward_progress 0
		.amdhsa_shared_vgpr_count 0
		.amdhsa_exception_fp_ieee_invalid_op 0
		.amdhsa_exception_fp_denorm_src 0
		.amdhsa_exception_fp_ieee_div_zero 0
		.amdhsa_exception_fp_ieee_overflow 0
		.amdhsa_exception_fp_ieee_underflow 0
		.amdhsa_exception_fp_ieee_inexact 0
		.amdhsa_exception_int_div_zero 0
	.end_amdhsa_kernel
	.section	.text._ZN5aiter20topk_softplus_kernelI12hip_bfloat16S1_Dv2_fLb0ELi1EEEvPKT_PKT0_PfPimiiif,"axG",@progbits,_ZN5aiter20topk_softplus_kernelI12hip_bfloat16S1_Dv2_fLb0ELi1EEEvPKT_PKT0_PfPimiiif,comdat
.Lfunc_end284:
	.size	_ZN5aiter20topk_softplus_kernelI12hip_bfloat16S1_Dv2_fLb0ELi1EEEvPKT_PKT0_PfPimiiif, .Lfunc_end284-_ZN5aiter20topk_softplus_kernelI12hip_bfloat16S1_Dv2_fLb0ELi1EEEvPKT_PKT0_PfPimiiif
                                        ; -- End function
	.section	.AMDGPU.csdata,"",@progbits
; Kernel info:
; codeLenInByte = 1536
; NumSgprs: 25
; NumVgprs: 14
; ScratchSize: 0
; MemoryBound: 0
; FloatMode: 240
; IeeeMode: 1
; LDSByteSize: 0 bytes/workgroup (compile time only)
; SGPRBlocks: 3
; VGPRBlocks: 1
; NumSGPRsForWavesPerEU: 25
; NumVGPRsForWavesPerEU: 14
; Occupancy: 16
; WaveLimiterHint : 0
; COMPUTE_PGM_RSRC2:SCRATCH_EN: 0
; COMPUTE_PGM_RSRC2:USER_SGPR: 15
; COMPUTE_PGM_RSRC2:TRAP_HANDLER: 0
; COMPUTE_PGM_RSRC2:TGID_X_EN: 1
; COMPUTE_PGM_RSRC2:TGID_Y_EN: 0
; COMPUTE_PGM_RSRC2:TGID_Z_EN: 0
; COMPUTE_PGM_RSRC2:TIDIG_COMP_CNT: 0
	.section	.text._ZN5aiter20topk_softplus_kernelI12hip_bfloat16S1_Dv1_fLb1ELi1EEEvPKT_PKT0_PfPimiiif,"axG",@progbits,_ZN5aiter20topk_softplus_kernelI12hip_bfloat16S1_Dv1_fLb1ELi1EEEvPKT_PKT0_PfPimiiif,comdat
	.protected	_ZN5aiter20topk_softplus_kernelI12hip_bfloat16S1_Dv1_fLb1ELi1EEEvPKT_PKT0_PfPimiiif ; -- Begin function _ZN5aiter20topk_softplus_kernelI12hip_bfloat16S1_Dv1_fLb1ELi1EEEvPKT_PKT0_PfPimiiif
	.globl	_ZN5aiter20topk_softplus_kernelI12hip_bfloat16S1_Dv1_fLb1ELi1EEEvPKT_PKT0_PfPimiiif
	.p2align	8
	.type	_ZN5aiter20topk_softplus_kernelI12hip_bfloat16S1_Dv1_fLb1ELi1EEEvPKT_PKT0_PfPimiiif,@function
_ZN5aiter20topk_softplus_kernelI12hip_bfloat16S1_Dv1_fLb1ELi1EEEvPKT_PKT0_PfPimiiif: ; @_ZN5aiter20topk_softplus_kernelI12hip_bfloat16S1_Dv1_fLb1ELi1EEEvPKT_PKT0_PfPimiiif
; %bb.0:
	s_clause 0x1
	s_load_b64 s[12:13], s[0:1], 0x28
	s_load_b256 s[4:11], s[0:1], 0x0
	v_lshl_add_u32 v4, v0, 2, 0
	s_waitcnt lgkmcnt(0)
	s_mul_i32 s16, s15, s12
	v_cmp_gt_i32_e64 s2, s12, v0
	s_ashr_i32 s17, s16, 31
	s_delay_alu instid0(SALU_CYCLE_1) | instskip(NEXT) | instid1(SALU_CYCLE_1)
	s_lshl_b64 s[16:17], s[16:17], 1
	s_add_u32 s3, s4, s16
	s_addc_u32 s4, s5, s17
	s_and_saveexec_b32 s5, s2
	s_cbranch_execz .LBB285_5
; %bb.1:
	s_load_b32 s16, s[0:1], 0x44
	s_cmp_lg_u64 s[6:7], 0
	v_lshl_add_u32 v5, v0, 2, 0
	v_mov_b32_e32 v1, v0
	s_cselect_b32 s14, -1, 0
	s_mov_b32 s17, 0
	s_waitcnt lgkmcnt(0)
	s_and_b32 s16, s16, 0xffff
	s_delay_alu instid0(SALU_CYCLE_1)
	s_lshl_b32 s18, s16, 2
	s_set_inst_prefetch_distance 0x1
	s_branch .LBB285_3
	.p2align	6
.LBB285_2:                              ;   in Loop: Header=BB285_3 Depth=1
	v_add_nc_u32_e32 v1, s16, v1
	ds_store_b32 v5, v6
	v_add_nc_u32_e32 v5, s18, v5
	v_cmp_le_i32_e32 vcc_lo, s12, v1
	s_or_b32 s17, vcc_lo, s17
	s_delay_alu instid0(SALU_CYCLE_1)
	s_and_not1_b32 exec_lo, exec_lo, s17
	s_cbranch_execz .LBB285_5
.LBB285_3:                              ; =>This Inner Loop Header: Depth=1
	v_ashrrev_i32_e32 v2, 31, v1
	s_delay_alu instid0(VALU_DEP_1) | instskip(NEXT) | instid1(VALU_DEP_1)
	v_lshlrev_b64 v[2:3], 1, v[1:2]
	v_add_co_u32 v6, vcc_lo, s3, v2
	s_delay_alu instid0(VALU_DEP_2) | instskip(SKIP_3) | instid1(VALU_DEP_1)
	v_add_co_ci_u32_e32 v7, vcc_lo, s4, v3, vcc_lo
	global_load_u16 v6, v[6:7], off
	s_waitcnt vmcnt(0)
	v_cvt_f32_u32_e32 v6, v6
	v_mul_f32_e32 v7, 0xbfb8aa3b, v6
	s_delay_alu instid0(VALU_DEP_1) | instskip(SKIP_1) | instid1(VALU_DEP_1)
	v_cmp_gt_f32_e32 vcc_lo, 0xc2fc0000, v7
	v_cndmask_b32_e64 v7, 0, 0x42800000, vcc_lo
	v_fmac_f32_e32 v7, 0xbfb8aa3b, v6
	s_delay_alu instid0(VALU_DEP_1) | instskip(SKIP_4) | instid1(VALU_DEP_1)
	v_exp_f32_e32 v6, v7
	v_cndmask_b32_e64 v7, 1.0, 0x1f800000, vcc_lo
	s_and_not1_b32 vcc_lo, exec_lo, s14
	s_waitcnt_depctr 0xfff
	v_fma_f32 v6, v6, v7, 1.0
	v_rcp_f32_e32 v6, v6
	s_cbranch_vccnz .LBB285_2
; %bb.4:                                ;   in Loop: Header=BB285_3 Depth=1
	v_add_co_u32 v2, vcc_lo, s6, v2
	v_add_co_ci_u32_e32 v3, vcc_lo, s7, v3, vcc_lo
	global_load_u16 v2, v[2:3], off
	s_waitcnt vmcnt(0)
	v_lshlrev_b32_e32 v2, 16, v2
	s_delay_alu instid0(VALU_DEP_1)
	v_add_f32_e32 v6, v6, v2
	s_branch .LBB285_2
.LBB285_5:
	s_set_inst_prefetch_distance 0x2
	s_or_b32 exec_lo, exec_lo, s5
	v_add_nc_u32_e32 v1, s12, v0
	s_mov_b32 s5, exec_lo
	s_delay_alu instid0(VALU_DEP_1)
	v_cmpx_gt_i32_e64 s12, v1
	s_cbranch_execz .LBB285_10
; %bb.6:
	s_load_b32 s16, s[0:1], 0x44
	s_cmp_lg_u64 s[6:7], 0
	v_lshl_add_u32 v5, v1, 2, 0
	s_cselect_b32 s14, -1, 0
	s_mov_b32 s17, 0
	s_waitcnt lgkmcnt(0)
	s_and_b32 s16, s16, 0xffff
	s_delay_alu instid0(SALU_CYCLE_1)
	s_lshl_b32 s18, s16, 2
	s_set_inst_prefetch_distance 0x1
	s_branch .LBB285_8
	.p2align	6
.LBB285_7:                              ;   in Loop: Header=BB285_8 Depth=1
	v_add_nc_u32_e32 v1, s16, v1
	v_add_nc_u32_e32 v5, s18, v5
	s_delay_alu instid0(VALU_DEP_2) | instskip(SKIP_1) | instid1(SALU_CYCLE_1)
	v_cmp_le_i32_e32 vcc_lo, s12, v1
	s_or_b32 s17, vcc_lo, s17
	s_and_not1_b32 exec_lo, exec_lo, s17
	s_cbranch_execz .LBB285_10
.LBB285_8:                              ; =>This Inner Loop Header: Depth=1
	v_ashrrev_i32_e32 v2, 31, v1
	s_delay_alu instid0(VALU_DEP_1) | instskip(NEXT) | instid1(VALU_DEP_1)
	v_lshlrev_b64 v[2:3], 1, v[1:2]
	v_add_co_u32 v6, vcc_lo, s3, v2
	s_delay_alu instid0(VALU_DEP_2) | instskip(SKIP_3) | instid1(VALU_DEP_1)
	v_add_co_ci_u32_e32 v7, vcc_lo, s4, v3, vcc_lo
	global_load_u16 v6, v[6:7], off
	s_waitcnt vmcnt(0)
	v_lshlrev_b32_e32 v6, 16, v6
	v_mul_f32_e32 v7, 0xbfb8aa3b, v6
	s_delay_alu instid0(VALU_DEP_1) | instskip(SKIP_1) | instid1(VALU_DEP_1)
	v_cmp_gt_f32_e32 vcc_lo, 0xc2fc0000, v7
	v_cndmask_b32_e64 v7, 0, 0x42800000, vcc_lo
	v_fmac_f32_e32 v7, 0xbfb8aa3b, v6
	s_delay_alu instid0(VALU_DEP_1) | instskip(SKIP_4) | instid1(VALU_DEP_1)
	v_exp_f32_e32 v6, v7
	v_cndmask_b32_e64 v7, 1.0, 0x1f800000, vcc_lo
	s_and_not1_b32 vcc_lo, exec_lo, s14
	s_waitcnt_depctr 0xfff
	v_fma_f32 v6, v6, v7, 1.0
	v_rcp_f32_e32 v6, v6
	ds_store_b32 v5, v6
	s_cbranch_vccnz .LBB285_7
; %bb.9:                                ;   in Loop: Header=BB285_8 Depth=1
	v_add_co_u32 v2, vcc_lo, s6, v2
	v_add_co_ci_u32_e32 v3, vcc_lo, s7, v3, vcc_lo
	global_load_u16 v2, v[2:3], off
	s_waitcnt vmcnt(0)
	v_lshlrev_b32_e32 v2, 16, v2
	s_delay_alu instid0(VALU_DEP_1)
	v_add_f32_e32 v2, v6, v2
	ds_store_b32 v5, v2
	s_branch .LBB285_7
.LBB285_10:
	s_set_inst_prefetch_distance 0x2
	s_or_b32 exec_lo, exec_lo, s5
	v_mov_b32_e32 v2, 0
	s_cmp_lt_i32 s13, 1
	s_waitcnt lgkmcnt(0)
	s_barrier
	buffer_gl0_inv
	s_cbranch_scc1 .LBB285_19
; %bb.11:
	s_add_u32 s4, s0, 56
	s_addc_u32 s5, s1, 0
	v_dual_mov_b32 v2, 0 :: v_dual_mov_b32 v5, 0
	v_dual_mov_b32 v6, 0xff800000 :: v_dual_mov_b32 v1, 0
	v_mov_b32_e32 v3, 0
	s_cmp_lg_u64 s[6:7], 0
	s_mov_b32 s14, 0
	s_cselect_b32 s3, -1, 0
	s_mov_b32 s18, 0x76543210
	s_branch .LBB285_13
.LBB285_12:                             ;   in Loop: Header=BB285_13 Depth=1
	v_cmp_eq_u32_e32 vcc_lo, s14, v0
	s_delay_alu instid0(VALU_DEP_2) | instskip(NEXT) | instid1(VALU_DEP_2)
	s_lshl_b32 s17, s16, 2
	v_add_f32_e32 v3, v3, v9
	s_add_i32 s17, s17, 0
	s_add_i32 s14, s14, 1
	v_cndmask_b32_e64 v1, v1, s16, vcc_lo
	v_dual_mov_b32 v7, s17 :: v_dual_cndmask_b32 v2, v2, v9
	s_cmp_eq_u32 s14, s13
	ds_store_b32 v7, v6
	s_cbranch_scc1 .LBB285_20
.LBB285_13:                             ; =>This Loop Header: Depth=1
                                        ;     Child Loop BB285_15 Depth 2
	v_dual_mov_b32 v7, s14 :: v_dual_mov_b32 v8, 0xff800000
	s_and_saveexec_b32 s16, s2
	s_cbranch_execz .LBB285_17
; %bb.14:                               ;   in Loop: Header=BB285_13 Depth=1
	s_load_b32 s17, s[4:5], 0xc
	v_dual_mov_b32 v7, s14 :: v_dual_mov_b32 v8, 0xff800000
	v_mov_b32_e32 v9, v4
	v_mov_b32_e32 v10, v0
	s_mov_b32 s19, 0
	s_waitcnt lgkmcnt(0)
	s_and_b32 s17, s17, 0xffff
	s_delay_alu instid0(SALU_CYCLE_1)
	s_lshl_b32 s20, s17, 2
.LBB285_15:                             ;   Parent Loop BB285_13 Depth=1
                                        ; =>  This Inner Loop Header: Depth=2
	ds_load_b32 v11, v9
	v_add_nc_u32_e32 v9, s20, v9
	s_waitcnt lgkmcnt(0)
	v_cmp_gt_f32_e32 vcc_lo, v11, v8
	v_dual_cndmask_b32 v8, v8, v11 :: v_dual_cndmask_b32 v7, v7, v10
	v_add_nc_u32_e32 v10, s17, v10
	s_delay_alu instid0(VALU_DEP_1) | instskip(SKIP_1) | instid1(SALU_CYCLE_1)
	v_cmp_le_i32_e32 vcc_lo, s12, v10
	s_or_b32 s19, vcc_lo, s19
	s_and_not1_b32 exec_lo, exec_lo, s19
	s_cbranch_execnz .LBB285_15
; %bb.16:                               ;   in Loop: Header=BB285_13 Depth=1
	s_or_b32 exec_lo, exec_lo, s19
.LBB285_17:                             ;   in Loop: Header=BB285_13 Depth=1
	s_delay_alu instid0(SALU_CYCLE_1)
	s_or_b32 exec_lo, exec_lo, s16
	;;#ASMSTART
	v_max_f32 v9, v8, v8 quad_perm:[1,0,3,2] row_mask:0xf bank_mask:0xf bound_ctrl:1
	;;#ASMEND
	;;#ASMSTART
	v_max_f32 v10, v9, v9 quad_perm:[2,3,0,1] row_mask:0xf bank_mask:0xf bound_ctrl:1
	;;#ASMEND
	;;#ASMSTART
	v_max_f32 v9, v10, v10 row_half_mirror row_mask:0xf bank_mask:0xf bound_ctrl:1
	;;#ASMEND
	;;#ASMSTART
	v_max_f32 v10, v9, v9 row_mirror row_mask:0xf bank_mask:0xf bound_ctrl:1
	;;#ASMEND
	v_permlanex16_b32 v9, v10, s18, 0xfedcba98 op_sel:[1,1]
	s_delay_alu instid0(VALU_DEP_1) | instskip(NEXT) | instid1(VALU_DEP_1)
	v_dual_max_f32 v10, v10, v10 :: v_dual_max_f32 v9, v9, v9
	v_max_f32_e32 v9, v10, v9
	s_delay_alu instid0(VALU_DEP_1)
	v_cmp_eq_f32_e32 vcc_lo, v8, v9
	s_ctz_i32_b32 s16, vcc_lo
	s_cmp_lg_u32 vcc_lo, 0
	s_cselect_b32 s16, s16, 0
	s_and_b32 vcc_lo, exec_lo, s3
	v_readlane_b32 s16, v7, s16
	s_cbranch_vccz .LBB285_12
; %bb.18:                               ;   in Loop: Header=BB285_13 Depth=1
	s_delay_alu instid0(VALU_DEP_1) | instskip(NEXT) | instid1(SALU_CYCLE_1)
	s_ashr_i32 s17, s16, 31
	s_lshl_b64 s[20:21], s[16:17], 1
	s_delay_alu instid0(SALU_CYCLE_1) | instskip(SKIP_4) | instid1(VALU_DEP_1)
	s_add_u32 s20, s6, s20
	s_addc_u32 s21, s7, s21
	global_load_u16 v7, v5, s[20:21]
	s_waitcnt vmcnt(0)
	v_lshlrev_b32_e32 v7, 16, v7
	v_sub_f32_e32 v9, v9, v7
	s_branch .LBB285_12
.LBB285_19:
	v_mov_b32_e32 v1, 0
	v_mov_b32_e32 v3, 0
.LBB285_20:
	s_mov_b32 s2, exec_lo
	v_cmpx_gt_i32_e64 s13, v0
	s_cbranch_execz .LBB285_23
; %bb.21:
	s_clause 0x1
	s_load_b32 s2, s[0:1], 0x34
	s_load_b32 s3, s[0:1], 0x44
	v_max_f32_e32 v3, v3, v3
	s_load_b64 s[0:1], s[0:1], 0x20
	s_ashr_i32 s4, s15, 31
	s_delay_alu instid0(VALU_DEP_1) | instskip(SKIP_1) | instid1(VALU_DEP_1)
	v_max_f32_e32 v3, 0x1e3ce508, v3
	s_waitcnt lgkmcnt(0)
	v_div_scale_f32 v4, null, v3, v3, s2
	v_div_scale_f32 v7, vcc_lo, s2, v3, s2
	s_mul_i32 s1, s15, s1
	s_delay_alu instid0(VALU_DEP_2) | instskip(SKIP_4) | instid1(VALU_DEP_1)
	v_rcp_f32_e32 v5, v4
	s_mul_i32 s4, s4, s0
	s_and_b32 s3, s3, 0xffff
	s_waitcnt_depctr 0xfff
	v_fma_f32 v6, -v4, v5, 1.0
	v_fmac_f32_e32 v5, v6, v5
	s_delay_alu instid0(VALU_DEP_1) | instskip(NEXT) | instid1(VALU_DEP_1)
	v_mul_f32_e32 v6, v7, v5
	v_fma_f32 v8, -v4, v6, v7
	s_delay_alu instid0(VALU_DEP_1) | instskip(NEXT) | instid1(VALU_DEP_1)
	v_fmac_f32_e32 v6, v8, v5
	v_fma_f32 v4, -v4, v6, v7
	s_delay_alu instid0(VALU_DEP_1) | instskip(NEXT) | instid1(VALU_DEP_1)
	v_div_fmas_f32 v4, v4, v5, v6
	v_div_fixup_f32 v3, v4, v3, s2
	s_mul_hi_u32 s2, s15, s0
	s_delay_alu instid0(SALU_CYCLE_1) | instskip(SKIP_1) | instid1(VALU_DEP_1)
	s_add_i32 s1, s2, s1
	s_mul_i32 s2, s15, s0
	v_mul_f32_e32 v2, v2, v3
	s_add_i32 s1, s1, s4
	s_mov_b32 s4, 0
	.p2align	6
.LBB285_22:                             ; =>This Inner Loop Header: Depth=1
	v_ashrrev_i32_e32 v4, 31, v0
	v_add_co_u32 v3, vcc_lo, s2, v0
	v_add_nc_u32_e32 v0, s3, v0
	s_delay_alu instid0(VALU_DEP_3) | instskip(NEXT) | instid1(VALU_DEP_2)
	v_add_co_ci_u32_e32 v4, vcc_lo, s1, v4, vcc_lo
	v_cmp_le_i32_e32 vcc_lo, s13, v0
	s_delay_alu instid0(VALU_DEP_2) | instskip(SKIP_1) | instid1(VALU_DEP_1)
	v_lshlrev_b64 v[3:4], 2, v[3:4]
	s_or_b32 s4, vcc_lo, s4
	v_add_co_u32 v5, s0, s8, v3
	s_delay_alu instid0(VALU_DEP_1) | instskip(SKIP_1) | instid1(VALU_DEP_1)
	v_add_co_ci_u32_e64 v6, s0, s9, v4, s0
	v_add_co_u32 v3, s0, s10, v3
	v_add_co_ci_u32_e64 v4, s0, s11, v4, s0
	global_store_b32 v[5:6], v2, off
	global_store_b32 v[3:4], v1, off
	s_and_not1_b32 exec_lo, exec_lo, s4
	s_cbranch_execnz .LBB285_22
.LBB285_23:
	s_nop 0
	s_sendmsg sendmsg(MSG_DEALLOC_VGPRS)
	s_endpgm
	.section	.rodata,"a",@progbits
	.p2align	6, 0x0
	.amdhsa_kernel _ZN5aiter20topk_softplus_kernelI12hip_bfloat16S1_Dv1_fLb1ELi1EEEvPKT_PKT0_PfPimiiif
		.amdhsa_group_segment_fixed_size 0
		.amdhsa_private_segment_fixed_size 0
		.amdhsa_kernarg_size 312
		.amdhsa_user_sgpr_count 15
		.amdhsa_user_sgpr_dispatch_ptr 0
		.amdhsa_user_sgpr_queue_ptr 0
		.amdhsa_user_sgpr_kernarg_segment_ptr 1
		.amdhsa_user_sgpr_dispatch_id 0
		.amdhsa_user_sgpr_private_segment_size 0
		.amdhsa_wavefront_size32 1
		.amdhsa_uses_dynamic_stack 0
		.amdhsa_enable_private_segment 0
		.amdhsa_system_sgpr_workgroup_id_x 1
		.amdhsa_system_sgpr_workgroup_id_y 0
		.amdhsa_system_sgpr_workgroup_id_z 0
		.amdhsa_system_sgpr_workgroup_info 0
		.amdhsa_system_vgpr_workitem_id 0
		.amdhsa_next_free_vgpr 12
		.amdhsa_next_free_sgpr 22
		.amdhsa_reserve_vcc 1
		.amdhsa_float_round_mode_32 0
		.amdhsa_float_round_mode_16_64 0
		.amdhsa_float_denorm_mode_32 3
		.amdhsa_float_denorm_mode_16_64 3
		.amdhsa_dx10_clamp 1
		.amdhsa_ieee_mode 1
		.amdhsa_fp16_overflow 0
		.amdhsa_workgroup_processor_mode 1
		.amdhsa_memory_ordered 1
		.amdhsa_forward_progress 0
		.amdhsa_shared_vgpr_count 0
		.amdhsa_exception_fp_ieee_invalid_op 0
		.amdhsa_exception_fp_denorm_src 0
		.amdhsa_exception_fp_ieee_div_zero 0
		.amdhsa_exception_fp_ieee_overflow 0
		.amdhsa_exception_fp_ieee_underflow 0
		.amdhsa_exception_fp_ieee_inexact 0
		.amdhsa_exception_int_div_zero 0
	.end_amdhsa_kernel
	.section	.text._ZN5aiter20topk_softplus_kernelI12hip_bfloat16S1_Dv1_fLb1ELi1EEEvPKT_PKT0_PfPimiiif,"axG",@progbits,_ZN5aiter20topk_softplus_kernelI12hip_bfloat16S1_Dv1_fLb1ELi1EEEvPKT_PKT0_PfPimiiif,comdat
.Lfunc_end285:
	.size	_ZN5aiter20topk_softplus_kernelI12hip_bfloat16S1_Dv1_fLb1ELi1EEEvPKT_PKT0_PfPimiiif, .Lfunc_end285-_ZN5aiter20topk_softplus_kernelI12hip_bfloat16S1_Dv1_fLb1ELi1EEEvPKT_PKT0_PfPimiiif
                                        ; -- End function
	.section	.AMDGPU.csdata,"",@progbits
; Kernel info:
; codeLenInByte = 1448
; NumSgprs: 24
; NumVgprs: 12
; ScratchSize: 0
; MemoryBound: 0
; FloatMode: 240
; IeeeMode: 1
; LDSByteSize: 0 bytes/workgroup (compile time only)
; SGPRBlocks: 2
; VGPRBlocks: 1
; NumSGPRsForWavesPerEU: 24
; NumVGPRsForWavesPerEU: 12
; Occupancy: 16
; WaveLimiterHint : 0
; COMPUTE_PGM_RSRC2:SCRATCH_EN: 0
; COMPUTE_PGM_RSRC2:USER_SGPR: 15
; COMPUTE_PGM_RSRC2:TRAP_HANDLER: 0
; COMPUTE_PGM_RSRC2:TGID_X_EN: 1
; COMPUTE_PGM_RSRC2:TGID_Y_EN: 0
; COMPUTE_PGM_RSRC2:TGID_Z_EN: 0
; COMPUTE_PGM_RSRC2:TIDIG_COMP_CNT: 0
	.section	.text._ZN5aiter20topk_softplus_kernelI12hip_bfloat16S1_Dv1_fLb0ELi1EEEvPKT_PKT0_PfPimiiif,"axG",@progbits,_ZN5aiter20topk_softplus_kernelI12hip_bfloat16S1_Dv1_fLb0ELi1EEEvPKT_PKT0_PfPimiiif,comdat
	.protected	_ZN5aiter20topk_softplus_kernelI12hip_bfloat16S1_Dv1_fLb0ELi1EEEvPKT_PKT0_PfPimiiif ; -- Begin function _ZN5aiter20topk_softplus_kernelI12hip_bfloat16S1_Dv1_fLb0ELi1EEEvPKT_PKT0_PfPimiiif
	.globl	_ZN5aiter20topk_softplus_kernelI12hip_bfloat16S1_Dv1_fLb0ELi1EEEvPKT_PKT0_PfPimiiif
	.p2align	8
	.type	_ZN5aiter20topk_softplus_kernelI12hip_bfloat16S1_Dv1_fLb0ELi1EEEvPKT_PKT0_PfPimiiif,@function
_ZN5aiter20topk_softplus_kernelI12hip_bfloat16S1_Dv1_fLb0ELi1EEEvPKT_PKT0_PfPimiiif: ; @_ZN5aiter20topk_softplus_kernelI12hip_bfloat16S1_Dv1_fLb0ELi1EEEvPKT_PKT0_PfPimiiif
; %bb.0:
	s_clause 0x1
	s_load_b64 s[12:13], s[0:1], 0x28
	s_load_b256 s[4:11], s[0:1], 0x0
	v_lshl_add_u32 v4, v0, 2, 0
	s_waitcnt lgkmcnt(0)
	s_mul_i32 s16, s15, s12
	v_cmp_gt_i32_e64 s2, s12, v0
	s_ashr_i32 s17, s16, 31
	s_delay_alu instid0(SALU_CYCLE_1) | instskip(NEXT) | instid1(SALU_CYCLE_1)
	s_lshl_b64 s[16:17], s[16:17], 1
	s_add_u32 s3, s4, s16
	s_addc_u32 s4, s5, s17
	s_and_saveexec_b32 s5, s2
	s_cbranch_execz .LBB286_5
; %bb.1:
	s_load_b32 s16, s[0:1], 0x44
	s_cmp_lg_u64 s[6:7], 0
	v_lshl_add_u32 v5, v0, 2, 0
	v_mov_b32_e32 v1, v0
	s_cselect_b32 s14, -1, 0
	s_mov_b32 s17, 0
	s_waitcnt lgkmcnt(0)
	s_and_b32 s16, s16, 0xffff
	s_delay_alu instid0(SALU_CYCLE_1)
	s_lshl_b32 s18, s16, 2
	s_set_inst_prefetch_distance 0x1
	s_branch .LBB286_3
	.p2align	6
.LBB286_2:                              ;   in Loop: Header=BB286_3 Depth=1
	v_add_nc_u32_e32 v1, s16, v1
	ds_store_b32 v5, v6
	v_add_nc_u32_e32 v5, s18, v5
	v_cmp_le_i32_e32 vcc_lo, s12, v1
	s_or_b32 s17, vcc_lo, s17
	s_delay_alu instid0(SALU_CYCLE_1)
	s_and_not1_b32 exec_lo, exec_lo, s17
	s_cbranch_execz .LBB286_5
.LBB286_3:                              ; =>This Inner Loop Header: Depth=1
	v_ashrrev_i32_e32 v2, 31, v1
	s_delay_alu instid0(VALU_DEP_1) | instskip(NEXT) | instid1(VALU_DEP_1)
	v_lshlrev_b64 v[2:3], 1, v[1:2]
	v_add_co_u32 v6, vcc_lo, s3, v2
	s_delay_alu instid0(VALU_DEP_2) | instskip(SKIP_3) | instid1(VALU_DEP_1)
	v_add_co_ci_u32_e32 v7, vcc_lo, s4, v3, vcc_lo
	global_load_u16 v6, v[6:7], off
	s_waitcnt vmcnt(0)
	v_cvt_f32_u32_e32 v6, v6
	v_mul_f32_e32 v7, 0xbfb8aa3b, v6
	s_delay_alu instid0(VALU_DEP_1) | instskip(SKIP_1) | instid1(VALU_DEP_1)
	v_cmp_gt_f32_e32 vcc_lo, 0xc2fc0000, v7
	v_cndmask_b32_e64 v7, 0, 0x42800000, vcc_lo
	v_fmac_f32_e32 v7, 0xbfb8aa3b, v6
	s_delay_alu instid0(VALU_DEP_1) | instskip(SKIP_4) | instid1(VALU_DEP_1)
	v_exp_f32_e32 v6, v7
	v_cndmask_b32_e64 v7, 1.0, 0x1f800000, vcc_lo
	s_and_not1_b32 vcc_lo, exec_lo, s14
	s_waitcnt_depctr 0xfff
	v_fma_f32 v6, v6, v7, 1.0
	v_rcp_f32_e32 v6, v6
	s_cbranch_vccnz .LBB286_2
; %bb.4:                                ;   in Loop: Header=BB286_3 Depth=1
	v_add_co_u32 v2, vcc_lo, s6, v2
	v_add_co_ci_u32_e32 v3, vcc_lo, s7, v3, vcc_lo
	global_load_u16 v2, v[2:3], off
	s_waitcnt vmcnt(0)
	v_lshlrev_b32_e32 v2, 16, v2
	s_delay_alu instid0(VALU_DEP_1)
	v_add_f32_e32 v6, v6, v2
	s_branch .LBB286_2
.LBB286_5:
	s_set_inst_prefetch_distance 0x2
	s_or_b32 exec_lo, exec_lo, s5
	v_add_nc_u32_e32 v1, s12, v0
	s_mov_b32 s5, exec_lo
	s_delay_alu instid0(VALU_DEP_1)
	v_cmpx_gt_i32_e64 s12, v1
	s_cbranch_execz .LBB286_10
; %bb.6:
	s_load_b32 s16, s[0:1], 0x44
	s_cmp_lg_u64 s[6:7], 0
	v_lshl_add_u32 v5, v1, 2, 0
	s_cselect_b32 s14, -1, 0
	s_mov_b32 s17, 0
	s_waitcnt lgkmcnt(0)
	s_and_b32 s16, s16, 0xffff
	s_delay_alu instid0(SALU_CYCLE_1)
	s_lshl_b32 s18, s16, 2
	s_set_inst_prefetch_distance 0x1
	s_branch .LBB286_8
	.p2align	6
.LBB286_7:                              ;   in Loop: Header=BB286_8 Depth=1
	v_add_nc_u32_e32 v1, s16, v1
	v_add_nc_u32_e32 v5, s18, v5
	s_delay_alu instid0(VALU_DEP_2) | instskip(SKIP_1) | instid1(SALU_CYCLE_1)
	v_cmp_le_i32_e32 vcc_lo, s12, v1
	s_or_b32 s17, vcc_lo, s17
	s_and_not1_b32 exec_lo, exec_lo, s17
	s_cbranch_execz .LBB286_10
.LBB286_8:                              ; =>This Inner Loop Header: Depth=1
	v_ashrrev_i32_e32 v2, 31, v1
	s_delay_alu instid0(VALU_DEP_1) | instskip(NEXT) | instid1(VALU_DEP_1)
	v_lshlrev_b64 v[2:3], 1, v[1:2]
	v_add_co_u32 v6, vcc_lo, s3, v2
	s_delay_alu instid0(VALU_DEP_2) | instskip(SKIP_3) | instid1(VALU_DEP_1)
	v_add_co_ci_u32_e32 v7, vcc_lo, s4, v3, vcc_lo
	global_load_u16 v6, v[6:7], off
	s_waitcnt vmcnt(0)
	v_lshlrev_b32_e32 v6, 16, v6
	v_mul_f32_e32 v7, 0xbfb8aa3b, v6
	s_delay_alu instid0(VALU_DEP_1) | instskip(SKIP_1) | instid1(VALU_DEP_1)
	v_cmp_gt_f32_e32 vcc_lo, 0xc2fc0000, v7
	v_cndmask_b32_e64 v7, 0, 0x42800000, vcc_lo
	v_fmac_f32_e32 v7, 0xbfb8aa3b, v6
	s_delay_alu instid0(VALU_DEP_1) | instskip(SKIP_4) | instid1(VALU_DEP_1)
	v_exp_f32_e32 v6, v7
	v_cndmask_b32_e64 v7, 1.0, 0x1f800000, vcc_lo
	s_and_not1_b32 vcc_lo, exec_lo, s14
	s_waitcnt_depctr 0xfff
	v_fma_f32 v6, v6, v7, 1.0
	v_rcp_f32_e32 v6, v6
	ds_store_b32 v5, v6
	s_cbranch_vccnz .LBB286_7
; %bb.9:                                ;   in Loop: Header=BB286_8 Depth=1
	v_add_co_u32 v2, vcc_lo, s6, v2
	v_add_co_ci_u32_e32 v3, vcc_lo, s7, v3, vcc_lo
	global_load_u16 v2, v[2:3], off
	s_waitcnt vmcnt(0)
	v_lshlrev_b32_e32 v2, 16, v2
	s_delay_alu instid0(VALU_DEP_1)
	v_add_f32_e32 v2, v6, v2
	ds_store_b32 v5, v2
	s_branch .LBB286_7
.LBB286_10:
	s_set_inst_prefetch_distance 0x2
	s_or_b32 exec_lo, exec_lo, s5
	s_cmp_lt_i32 s13, 1
	s_waitcnt lgkmcnt(0)
	s_barrier
	buffer_gl0_inv
	s_cbranch_scc1 .LBB286_19
; %bb.11:
	s_add_u32 s4, s0, 56
	s_addc_u32 s5, s1, 0
	v_dual_mov_b32 v3, 0 :: v_dual_mov_b32 v2, 0
	v_mov_b32_e32 v1, 0
	v_mov_b32_e32 v5, 0xff800000
	s_cmp_lg_u64 s[6:7], 0
	s_mov_b32 s14, 0
	s_cselect_b32 s3, -1, 0
	s_mov_b32 s18, 0x76543210
	s_branch .LBB286_13
.LBB286_12:                             ;   in Loop: Header=BB286_13 Depth=1
	v_cmp_eq_u32_e32 vcc_lo, s14, v0
	s_delay_alu instid0(VALU_DEP_2)
	s_lshl_b32 s17, s16, 2
	s_add_i32 s14, s14, 1
	s_add_i32 s17, s17, 0
	s_cmp_eq_u32 s14, s13
	v_cndmask_b32_e64 v1, v1, s16, vcc_lo
	v_mov_b32_e32 v6, s17
	v_cndmask_b32_e32 v2, v2, v8, vcc_lo
	ds_store_b32 v6, v5
	s_cbranch_scc1 .LBB286_20
.LBB286_13:                             ; =>This Loop Header: Depth=1
                                        ;     Child Loop BB286_15 Depth 2
	v_dual_mov_b32 v6, s14 :: v_dual_mov_b32 v7, 0xff800000
	s_and_saveexec_b32 s16, s2
	s_cbranch_execz .LBB286_17
; %bb.14:                               ;   in Loop: Header=BB286_13 Depth=1
	s_load_b32 s17, s[4:5], 0xc
	v_dual_mov_b32 v6, s14 :: v_dual_mov_b32 v7, 0xff800000
	v_mov_b32_e32 v8, v4
	v_mov_b32_e32 v9, v0
	s_mov_b32 s19, 0
	s_waitcnt lgkmcnt(0)
	s_and_b32 s17, s17, 0xffff
	s_delay_alu instid0(SALU_CYCLE_1)
	s_lshl_b32 s20, s17, 2
.LBB286_15:                             ;   Parent Loop BB286_13 Depth=1
                                        ; =>  This Inner Loop Header: Depth=2
	ds_load_b32 v10, v8
	v_add_nc_u32_e32 v8, s20, v8
	s_waitcnt lgkmcnt(0)
	v_cmp_gt_f32_e32 vcc_lo, v10, v7
	v_dual_cndmask_b32 v7, v7, v10 :: v_dual_cndmask_b32 v6, v6, v9
	v_add_nc_u32_e32 v9, s17, v9
	s_delay_alu instid0(VALU_DEP_1) | instskip(SKIP_1) | instid1(SALU_CYCLE_1)
	v_cmp_le_i32_e32 vcc_lo, s12, v9
	s_or_b32 s19, vcc_lo, s19
	s_and_not1_b32 exec_lo, exec_lo, s19
	s_cbranch_execnz .LBB286_15
; %bb.16:                               ;   in Loop: Header=BB286_13 Depth=1
	s_or_b32 exec_lo, exec_lo, s19
.LBB286_17:                             ;   in Loop: Header=BB286_13 Depth=1
	s_delay_alu instid0(SALU_CYCLE_1)
	s_or_b32 exec_lo, exec_lo, s16
	;;#ASMSTART
	v_max_f32 v8, v7, v7 quad_perm:[1,0,3,2] row_mask:0xf bank_mask:0xf bound_ctrl:1
	;;#ASMEND
	;;#ASMSTART
	v_max_f32 v9, v8, v8 quad_perm:[2,3,0,1] row_mask:0xf bank_mask:0xf bound_ctrl:1
	;;#ASMEND
	;;#ASMSTART
	v_max_f32 v8, v9, v9 row_half_mirror row_mask:0xf bank_mask:0xf bound_ctrl:1
	;;#ASMEND
	;;#ASMSTART
	v_max_f32 v9, v8, v8 row_mirror row_mask:0xf bank_mask:0xf bound_ctrl:1
	;;#ASMEND
	v_permlanex16_b32 v8, v9, s18, 0xfedcba98 op_sel:[1,1]
	s_delay_alu instid0(VALU_DEP_1) | instskip(NEXT) | instid1(VALU_DEP_1)
	v_dual_max_f32 v9, v9, v9 :: v_dual_max_f32 v8, v8, v8
	v_max_f32_e32 v8, v9, v8
	s_delay_alu instid0(VALU_DEP_1)
	v_cmp_eq_f32_e32 vcc_lo, v7, v8
	s_ctz_i32_b32 s16, vcc_lo
	s_cmp_lg_u32 vcc_lo, 0
	s_cselect_b32 s16, s16, 0
	s_and_b32 vcc_lo, exec_lo, s3
	v_readlane_b32 s16, v6, s16
	s_cbranch_vccz .LBB286_12
; %bb.18:                               ;   in Loop: Header=BB286_13 Depth=1
	s_delay_alu instid0(VALU_DEP_1) | instskip(NEXT) | instid1(SALU_CYCLE_1)
	s_ashr_i32 s17, s16, 31
	s_lshl_b64 s[20:21], s[16:17], 1
	s_delay_alu instid0(SALU_CYCLE_1) | instskip(SKIP_4) | instid1(VALU_DEP_1)
	s_add_u32 s20, s6, s20
	s_addc_u32 s21, s7, s21
	global_load_u16 v6, v3, s[20:21]
	s_waitcnt vmcnt(0)
	v_lshlrev_b32_e32 v6, 16, v6
	v_sub_f32_e32 v8, v8, v6
	s_branch .LBB286_12
.LBB286_19:
	v_dual_mov_b32 v2, 0 :: v_dual_mov_b32 v1, 0
.LBB286_20:
	s_mov_b32 s2, exec_lo
	v_cmpx_gt_i32_e64 s13, v0
	s_cbranch_execz .LBB286_23
; %bb.21:
	s_clause 0x2
	s_load_b32 s4, s[0:1], 0x34
	s_load_b64 s[2:3], s[0:1], 0x20
	s_load_b32 s0, s[0:1], 0x44
	s_ashr_i32 s1, s15, 31
	s_waitcnt lgkmcnt(0)
	v_mul_f32_e32 v2, s4, v2
	s_mul_i32 s3, s15, s3
	s_mul_hi_u32 s4, s15, s2
	s_mul_i32 s5, s1, s2
	s_add_i32 s3, s4, s3
	s_mul_i32 s1, s15, s2
	s_and_b32 s2, s0, 0xffff
	s_add_i32 s3, s3, s5
	s_mov_b32 s4, 0
	.p2align	6
.LBB286_22:                             ; =>This Inner Loop Header: Depth=1
	v_ashrrev_i32_e32 v4, 31, v0
	v_add_co_u32 v3, vcc_lo, s1, v0
	v_add_nc_u32_e32 v0, s2, v0
	s_delay_alu instid0(VALU_DEP_3) | instskip(NEXT) | instid1(VALU_DEP_2)
	v_add_co_ci_u32_e32 v4, vcc_lo, s3, v4, vcc_lo
	v_cmp_le_i32_e32 vcc_lo, s13, v0
	s_delay_alu instid0(VALU_DEP_2) | instskip(SKIP_1) | instid1(VALU_DEP_1)
	v_lshlrev_b64 v[3:4], 2, v[3:4]
	s_or_b32 s4, vcc_lo, s4
	v_add_co_u32 v5, s0, s8, v3
	s_delay_alu instid0(VALU_DEP_1) | instskip(SKIP_1) | instid1(VALU_DEP_1)
	v_add_co_ci_u32_e64 v6, s0, s9, v4, s0
	v_add_co_u32 v3, s0, s10, v3
	v_add_co_ci_u32_e64 v4, s0, s11, v4, s0
	global_store_b32 v[5:6], v2, off
	global_store_b32 v[3:4], v1, off
	s_and_not1_b32 exec_lo, exec_lo, s4
	s_cbranch_execnz .LBB286_22
.LBB286_23:
	s_nop 0
	s_sendmsg sendmsg(MSG_DEALLOC_VGPRS)
	s_endpgm
	.section	.rodata,"a",@progbits
	.p2align	6, 0x0
	.amdhsa_kernel _ZN5aiter20topk_softplus_kernelI12hip_bfloat16S1_Dv1_fLb0ELi1EEEvPKT_PKT0_PfPimiiif
		.amdhsa_group_segment_fixed_size 0
		.amdhsa_private_segment_fixed_size 0
		.amdhsa_kernarg_size 312
		.amdhsa_user_sgpr_count 15
		.amdhsa_user_sgpr_dispatch_ptr 0
		.amdhsa_user_sgpr_queue_ptr 0
		.amdhsa_user_sgpr_kernarg_segment_ptr 1
		.amdhsa_user_sgpr_dispatch_id 0
		.amdhsa_user_sgpr_private_segment_size 0
		.amdhsa_wavefront_size32 1
		.amdhsa_uses_dynamic_stack 0
		.amdhsa_enable_private_segment 0
		.amdhsa_system_sgpr_workgroup_id_x 1
		.amdhsa_system_sgpr_workgroup_id_y 0
		.amdhsa_system_sgpr_workgroup_id_z 0
		.amdhsa_system_sgpr_workgroup_info 0
		.amdhsa_system_vgpr_workitem_id 0
		.amdhsa_next_free_vgpr 11
		.amdhsa_next_free_sgpr 22
		.amdhsa_reserve_vcc 1
		.amdhsa_float_round_mode_32 0
		.amdhsa_float_round_mode_16_64 0
		.amdhsa_float_denorm_mode_32 3
		.amdhsa_float_denorm_mode_16_64 3
		.amdhsa_dx10_clamp 1
		.amdhsa_ieee_mode 1
		.amdhsa_fp16_overflow 0
		.amdhsa_workgroup_processor_mode 1
		.amdhsa_memory_ordered 1
		.amdhsa_forward_progress 0
		.amdhsa_shared_vgpr_count 0
		.amdhsa_exception_fp_ieee_invalid_op 0
		.amdhsa_exception_fp_denorm_src 0
		.amdhsa_exception_fp_ieee_div_zero 0
		.amdhsa_exception_fp_ieee_overflow 0
		.amdhsa_exception_fp_ieee_underflow 0
		.amdhsa_exception_fp_ieee_inexact 0
		.amdhsa_exception_int_div_zero 0
	.end_amdhsa_kernel
	.section	.text._ZN5aiter20topk_softplus_kernelI12hip_bfloat16S1_Dv1_fLb0ELi1EEEvPKT_PKT0_PfPimiiif,"axG",@progbits,_ZN5aiter20topk_softplus_kernelI12hip_bfloat16S1_Dv1_fLb0ELi1EEEvPKT_PKT0_PfPimiiif,comdat
.Lfunc_end286:
	.size	_ZN5aiter20topk_softplus_kernelI12hip_bfloat16S1_Dv1_fLb0ELi1EEEvPKT_PKT0_PfPimiiif, .Lfunc_end286-_ZN5aiter20topk_softplus_kernelI12hip_bfloat16S1_Dv1_fLb0ELi1EEEvPKT_PKT0_PfPimiiif
                                        ; -- End function
	.section	.AMDGPU.csdata,"",@progbits
; Kernel info:
; codeLenInByte = 1324
; NumSgprs: 24
; NumVgprs: 11
; ScratchSize: 0
; MemoryBound: 0
; FloatMode: 240
; IeeeMode: 1
; LDSByteSize: 0 bytes/workgroup (compile time only)
; SGPRBlocks: 2
; VGPRBlocks: 1
; NumSGPRsForWavesPerEU: 24
; NumVGPRsForWavesPerEU: 11
; Occupancy: 16
; WaveLimiterHint : 0
; COMPUTE_PGM_RSRC2:SCRATCH_EN: 0
; COMPUTE_PGM_RSRC2:USER_SGPR: 15
; COMPUTE_PGM_RSRC2:TRAP_HANDLER: 0
; COMPUTE_PGM_RSRC2:TGID_X_EN: 1
; COMPUTE_PGM_RSRC2:TGID_Y_EN: 0
; COMPUTE_PGM_RSRC2:TGID_Z_EN: 0
; COMPUTE_PGM_RSRC2:TIDIG_COMP_CNT: 0
	.section	.text._ZN5aiter20topk_softplus_kernelI12hip_bfloat16S1_Dv4_fLb1ELi2EEEvPKT_PKT0_PfPimiiif,"axG",@progbits,_ZN5aiter20topk_softplus_kernelI12hip_bfloat16S1_Dv4_fLb1ELi2EEEvPKT_PKT0_PfPimiiif,comdat
	.protected	_ZN5aiter20topk_softplus_kernelI12hip_bfloat16S1_Dv4_fLb1ELi2EEEvPKT_PKT0_PfPimiiif ; -- Begin function _ZN5aiter20topk_softplus_kernelI12hip_bfloat16S1_Dv4_fLb1ELi2EEEvPKT_PKT0_PfPimiiif
	.globl	_ZN5aiter20topk_softplus_kernelI12hip_bfloat16S1_Dv4_fLb1ELi2EEEvPKT_PKT0_PfPimiiif
	.p2align	8
	.type	_ZN5aiter20topk_softplus_kernelI12hip_bfloat16S1_Dv4_fLb1ELi2EEEvPKT_PKT0_PfPimiiif,@function
_ZN5aiter20topk_softplus_kernelI12hip_bfloat16S1_Dv4_fLb1ELi2EEEvPKT_PKT0_PfPimiiif: ; @_ZN5aiter20topk_softplus_kernelI12hip_bfloat16S1_Dv4_fLb1ELi2EEEvPKT_PKT0_PfPimiiif
; %bb.0:
	s_clause 0x1
	s_load_b64 s[12:13], s[0:1], 0x28
	s_load_b256 s[4:11], s[0:1], 0x0
	v_lshl_add_u32 v3, v0, 4, 0
	s_waitcnt lgkmcnt(0)
	s_ashr_i32 s2, s12, 31
	s_mul_i32 s16, s15, s12
	s_lshr_b32 s2, s2, 30
	s_ashr_i32 s17, s16, 31
	s_add_i32 s2, s12, s2
	s_delay_alu instid0(SALU_CYCLE_1) | instskip(NEXT) | instid1(SALU_CYCLE_1)
	s_ashr_i32 s14, s2, 2
	v_cmp_gt_i32_e64 s2, s14, v0
	s_delay_alu instid0(VALU_DEP_1)
	s_and_saveexec_b32 s18, s2
	s_cbranch_execz .LBB287_3
; %bb.1:
	s_load_b32 s3, s[0:1], 0x44
	v_lshlrev_b32_e32 v1, 3, v0
	s_lshl_b64 s[20:21], s[16:17], 1
	v_lshl_add_u32 v4, v0, 4, 0
	v_mov_b32_e32 v5, v0
	s_waitcnt lgkmcnt(0)
	s_and_b32 s19, s3, 0xffff
	s_add_u32 s3, s4, s20
	s_addc_u32 s20, s5, s21
	v_add_co_u32 v1, s3, s3, v1
	s_delay_alu instid0(VALU_DEP_1)
	v_add_co_ci_u32_e64 v2, null, s20, 0, s3
	s_mov_b32 s20, 0
	s_lshl_b32 s21, s19, 3
	s_lshl_b32 s22, s19, 4
	.p2align	6
.LBB287_2:                              ; =>This Inner Loop Header: Depth=1
	global_load_b64 v[6:7], v[1:2], off
	v_add_nc_u32_e32 v5, s19, v5
	v_add_co_u32 v1, vcc_lo, v1, s21
	v_add_co_ci_u32_e32 v2, vcc_lo, 0, v2, vcc_lo
	s_delay_alu instid0(VALU_DEP_3) | instskip(NEXT) | instid1(VALU_DEP_1)
	v_cmp_le_i32_e64 s3, s14, v5
	s_or_b32 s20, s3, s20
	s_waitcnt vmcnt(0)
	v_lshrrev_b32_e32 v8, 16, v6
	v_and_b32_e32 v6, 0xffff, v6
	v_lshrrev_b32_e32 v9, 16, v7
	v_and_b32_e32 v10, 0xffff, v7
	s_delay_alu instid0(VALU_DEP_4) | instskip(NEXT) | instid1(VALU_DEP_4)
	v_cvt_f32_u32_e32 v7, v8
	v_cvt_f32_u32_e32 v6, v6
	s_delay_alu instid0(VALU_DEP_4) | instskip(NEXT) | instid1(VALU_DEP_4)
	v_cvt_f32_u32_e32 v9, v9
	v_cvt_f32_u32_e32 v8, v10
	ds_store_b128 v4, v[6:9]
	v_add_nc_u32_e32 v4, s22, v4
	s_and_not1_b32 exec_lo, exec_lo, s20
	s_cbranch_execnz .LBB287_2
.LBB287_3:
	s_or_b32 exec_lo, exec_lo, s18
	v_lshl_add_u32 v1, s14, 2, v0
	v_lshlrev_b32_e32 v4, 2, v0
	s_mov_b32 s3, exec_lo
	s_delay_alu instid0(VALU_DEP_2)
	v_cmpx_gt_i32_e64 s12, v1
	s_cbranch_execz .LBB287_6
; %bb.4:
	s_load_b32 s18, s[0:1], 0x44
	s_lshl_b64 s[16:17], s[16:17], 1
	v_lshlrev_b32_e32 v2, 2, v0
	s_add_u32 s4, s4, s16
	s_addc_u32 s5, s5, s17
	s_lshl_b32 s16, s14, 4
	s_mov_b32 s17, 0
	v_add3_u32 v5, 0, s16, v2
	s_waitcnt lgkmcnt(0)
	s_and_b32 s16, s18, 0xffff
	s_delay_alu instid0(SALU_CYCLE_1)
	s_lshl_b32 s18, s16, 2
	.p2align	6
.LBB287_5:                              ; =>This Inner Loop Header: Depth=1
	v_ashrrev_i32_e32 v2, 31, v1
	s_delay_alu instid0(VALU_DEP_1) | instskip(SKIP_1) | instid1(VALU_DEP_2)
	v_lshlrev_b64 v[6:7], 1, v[1:2]
	v_add_nc_u32_e32 v1, s16, v1
	v_add_co_u32 v6, vcc_lo, s4, v6
	s_delay_alu instid0(VALU_DEP_3) | instskip(NEXT) | instid1(VALU_DEP_3)
	v_add_co_ci_u32_e32 v7, vcc_lo, s5, v7, vcc_lo
	v_cmp_le_i32_e32 vcc_lo, s12, v1
	global_load_u16 v2, v[6:7], off
	s_or_b32 s17, vcc_lo, s17
	s_waitcnt vmcnt(0)
	v_lshlrev_b32_e32 v2, 16, v2
	ds_store_b32 v5, v2
	v_add_nc_u32_e32 v5, s18, v5
	s_and_not1_b32 exec_lo, exec_lo, s17
	s_cbranch_execnz .LBB287_5
.LBB287_6:
	s_or_b32 exec_lo, exec_lo, s3
	v_cmp_gt_i32_e32 vcc_lo, s12, v0
	v_mov_b32_e32 v2, 0xff800000
	s_waitcnt lgkmcnt(0)
	s_barrier
	buffer_gl0_inv
	s_and_saveexec_b32 s4, vcc_lo
	s_cbranch_execz .LBB287_10
; %bb.7:
	s_load_b32 s3, s[0:1], 0x44
	v_lshl_add_u32 v1, v0, 2, 0
	v_dual_mov_b32 v2, 0xff800000 :: v_dual_mov_b32 v5, v0
	s_mov_b32 s5, 0
	s_waitcnt lgkmcnt(0)
	s_and_b32 s16, s3, 0xffff
	s_delay_alu instid0(SALU_CYCLE_1)
	s_lshl_b32 s17, s16, 2
.LBB287_8:                              ; =>This Inner Loop Header: Depth=1
	ds_load_b32 v6, v1
	v_dual_max_f32 v2, v2, v2 :: v_dual_add_nc_u32 v5, s16, v5
	v_add_nc_u32_e32 v1, s17, v1
	s_delay_alu instid0(VALU_DEP_2) | instskip(NEXT) | instid1(VALU_DEP_1)
	v_cmp_le_i32_e64 s3, s12, v5
	s_or_b32 s5, s3, s5
	s_waitcnt lgkmcnt(0)
	v_max_f32_e32 v6, v6, v6
	s_delay_alu instid0(VALU_DEP_1)
	v_max_f32_e32 v2, v2, v6
	s_and_not1_b32 exec_lo, exec_lo, s5
	s_cbranch_execnz .LBB287_8
; %bb.9:
	s_or_b32 exec_lo, exec_lo, s5
.LBB287_10:
	s_delay_alu instid0(SALU_CYCLE_1)
	s_or_b32 exec_lo, exec_lo, s4
	v_mov_b32_e32 v1, 0
	;;#ASMSTART
	v_max_f32 v5, v2, v2 quad_perm:[1,0,3,2] row_mask:0xf bank_mask:0xf bound_ctrl:1
	;;#ASMEND
	;;#ASMSTART
	v_max_f32 v2, v5, v5 quad_perm:[2,3,0,1] row_mask:0xf bank_mask:0xf bound_ctrl:1
	;;#ASMEND
	;;#ASMSTART
	v_max_f32 v5, v2, v2 row_half_mirror row_mask:0xf bank_mask:0xf bound_ctrl:1
	;;#ASMEND
	;;#ASMSTART
	v_max_f32 v2, v5, v5 row_mirror row_mask:0xf bank_mask:0xf bound_ctrl:1
	;;#ASMEND
	s_and_saveexec_b32 s4, vcc_lo
	s_cbranch_execz .LBB287_14
; %bb.11:
	s_load_b32 s3, s[0:1], 0x44
	s_mov_b32 s5, 0x76543210
	v_lshl_add_u32 v5, v0, 2, 0
	v_permlanex16_b32 v1, v2, s5, 0xfedcba98 op_sel:[1,1]
	v_mov_b32_e32 v6, v0
	s_mov_b32 s5, 0
	s_delay_alu instid0(VALU_DEP_2) | instskip(NEXT) | instid1(VALU_DEP_1)
	v_dual_max_f32 v2, v2, v2 :: v_dual_max_f32 v1, v1, v1
	v_dual_max_f32 v2, v2, v1 :: v_dual_mov_b32 v1, 0
	s_waitcnt lgkmcnt(0)
	s_and_b32 s16, s3, 0xffff
	s_delay_alu instid0(SALU_CYCLE_1)
	s_lshl_b32 s17, s16, 2
	.p2align	6
.LBB287_12:                             ; =>This Inner Loop Header: Depth=1
	ds_load_b32 v7, v5
	s_waitcnt lgkmcnt(0)
	v_sub_f32_e32 v7, v7, v2
	s_delay_alu instid0(VALU_DEP_1) | instskip(NEXT) | instid1(VALU_DEP_1)
	v_mul_f32_e32 v8, 0x3fb8aa3b, v7
	v_cmp_gt_f32_e64 s3, 0xc2fc0000, v8
	s_delay_alu instid0(VALU_DEP_1) | instskip(NEXT) | instid1(VALU_DEP_1)
	v_cndmask_b32_e64 v8, 0, 0x42800000, s3
	v_fmac_f32_e32 v8, 0x3fb8aa3b, v7
	s_delay_alu instid0(VALU_DEP_1) | instskip(SKIP_3) | instid1(VALU_DEP_1)
	v_exp_f32_e32 v7, v8
	v_cndmask_b32_e64 v8, 1.0, 0x1f800000, s3
	s_waitcnt_depctr 0xfff
	v_dual_mul_f32 v9, v7, v8 :: v_dual_add_nc_u32 v6, s16, v6
	v_cmp_le_i32_e64 s3, s12, v6
	v_fmac_f32_e32 v1, v7, v8
	ds_store_b32 v5, v9
	v_add_nc_u32_e32 v5, s17, v5
	s_or_b32 s5, s3, s5
	s_delay_alu instid0(SALU_CYCLE_1)
	s_and_not1_b32 exec_lo, exec_lo, s5
	s_cbranch_execnz .LBB287_12
; %bb.13:
	s_or_b32 exec_lo, exec_lo, s5
.LBB287_14:
	s_delay_alu instid0(SALU_CYCLE_1) | instskip(SKIP_1) | instid1(VALU_DEP_1)
	s_or_b32 exec_lo, exec_lo, s4
	v_mov_b32_dpp v2, v1 quad_perm:[1,0,3,2] row_mask:0xf bank_mask:0xf
	v_add_f32_e32 v1, v1, v2
	s_delay_alu instid0(VALU_DEP_1) | instskip(NEXT) | instid1(VALU_DEP_1)
	v_mov_b32_dpp v2, v1 quad_perm:[2,3,0,1] row_mask:0xf bank_mask:0xf
	v_add_f32_e32 v1, v1, v2
	s_delay_alu instid0(VALU_DEP_1) | instskip(NEXT) | instid1(VALU_DEP_1)
	v_mov_b32_dpp v2, v1 row_xmask:7 row_mask:0xf bank_mask:0xf
	v_add_f32_e32 v1, v1, v2
	s_delay_alu instid0(VALU_DEP_1)
	v_mov_b32_dpp v2, v1 row_xmask:15 row_mask:0xf bank_mask:0xf
	s_and_saveexec_b32 s3, vcc_lo
	s_cbranch_execz .LBB287_19
; %bb.15:
	s_delay_alu instid0(VALU_DEP_1)
	v_add_f32_e32 v1, v1, v2
	s_load_b32 s5, s[0:1], 0x44
	s_mov_b32 s4, 0x76543210
	s_cmp_lg_u64 s[6:7], 0
	v_lshl_add_u32 v6, v0, 2, 0
	v_permlanex16_b32 v2, v1, s4, 0xfedcba98 op_sel:[1,1]
	s_cselect_b32 s4, -1, 0
	s_mov_b32 s16, 0
	s_delay_alu instid0(VALU_DEP_1) | instskip(NEXT) | instid1(VALU_DEP_1)
	v_add_f32_e32 v1, v1, v2
	v_rcp_f32_e32 v5, v1
	v_mov_b32_e32 v1, v0
	s_waitcnt lgkmcnt(0)
	s_and_b32 s5, s5, 0xffff
	s_delay_alu instid0(SALU_CYCLE_1)
	s_lshl_b32 s17, s5, 2
	s_set_inst_prefetch_distance 0x1
	s_branch .LBB287_17
	.p2align	6
.LBB287_16:                             ;   in Loop: Header=BB287_17 Depth=1
	v_add_nc_u32_e32 v1, s5, v1
	v_add_nc_u32_e32 v6, s17, v6
	s_delay_alu instid0(VALU_DEP_2) | instskip(SKIP_1) | instid1(SALU_CYCLE_1)
	v_cmp_le_i32_e32 vcc_lo, s12, v1
	s_or_b32 s16, vcc_lo, s16
	s_and_not1_b32 exec_lo, exec_lo, s16
	s_cbranch_execz .LBB287_19
.LBB287_17:                             ; =>This Inner Loop Header: Depth=1
	ds_load_b32 v2, v6
	s_and_not1_b32 vcc_lo, exec_lo, s4
	s_waitcnt lgkmcnt(0)
	v_mul_f32_e32 v7, v5, v2
	ds_store_b32 v6, v7
	s_cbranch_vccnz .LBB287_16
; %bb.18:                               ;   in Loop: Header=BB287_17 Depth=1
	v_ashrrev_i32_e32 v2, 31, v1
	s_delay_alu instid0(VALU_DEP_1) | instskip(NEXT) | instid1(VALU_DEP_1)
	v_lshlrev_b64 v[8:9], 1, v[1:2]
	v_add_co_u32 v8, vcc_lo, s6, v8
	s_delay_alu instid0(VALU_DEP_2) | instskip(SKIP_3) | instid1(VALU_DEP_1)
	v_add_co_ci_u32_e32 v9, vcc_lo, s7, v9, vcc_lo
	global_load_u16 v2, v[8:9], off
	s_waitcnt vmcnt(0)
	v_lshlrev_b32_e32 v2, 16, v2
	v_add_f32_e32 v2, v7, v2
	ds_store_b32 v6, v2
	s_branch .LBB287_16
.LBB287_19:
	s_set_inst_prefetch_distance 0x2
	s_or_b32 exec_lo, exec_lo, s3
	v_mov_b32_e32 v2, 0
	s_cmp_lt_i32 s13, 1
	s_waitcnt lgkmcnt(0)
	s_barrier
	buffer_gl0_inv
	s_cbranch_scc1 .LBB287_28
; %bb.20:
	s_add_u32 s4, s0, 56
	s_addc_u32 s5, s1, 0
	v_dual_mov_b32 v2, 0 :: v_dual_mov_b32 v7, 0xff800000
	v_dual_mov_b32 v6, 0 :: v_dual_mov_b32 v1, 0
	v_mov_b32_e32 v5, 0
	s_cmp_lg_u64 s[6:7], 0
	s_mov_b32 s18, 0
	s_cselect_b32 s12, -1, 0
	s_mov_b32 s19, 0x76543210
	s_branch .LBB287_22
.LBB287_21:                             ;   in Loop: Header=BB287_22 Depth=1
	v_cmp_eq_u32_e32 vcc_lo, s18, v0
	s_delay_alu instid0(VALU_DEP_2)
	s_lshl_b32 s3, s16, 2
	s_add_i32 s18, s18, 1
	s_add_i32 s3, s3, 0
	v_add_f32_e32 v5, v5, v10
	v_cndmask_b32_e64 v1, v1, s16, vcc_lo
	v_mov_b32_e32 v8, s3
	v_cndmask_b32_e32 v2, v2, v10, vcc_lo
	s_cmp_eq_u32 s18, s13
	ds_store_b32 v8, v7
	s_cbranch_scc1 .LBB287_29
.LBB287_22:                             ; =>This Loop Header: Depth=1
                                        ;     Child Loop BB287_24 Depth 2
	v_dual_mov_b32 v8, s18 :: v_dual_mov_b32 v9, 0xff800000
	s_and_saveexec_b32 s16, s2
	s_cbranch_execz .LBB287_26
; %bb.23:                               ;   in Loop: Header=BB287_22 Depth=1
	s_load_b32 s3, s[4:5], 0xc
	v_dual_mov_b32 v8, s18 :: v_dual_mov_b32 v9, 0xff800000
	v_dual_mov_b32 v10, v3 :: v_dual_mov_b32 v11, v4
	v_mov_b32_e32 v12, v0
	s_mov_b32 s21, 0
	s_waitcnt lgkmcnt(0)
	s_and_b32 s17, s3, 0xffff
	s_delay_alu instid0(SALU_CYCLE_1)
	s_lshl_b32 s20, s17, 2
	s_lshl_b32 s22, s17, 4
	.p2align	6
.LBB287_24:                             ;   Parent Loop BB287_22 Depth=1
                                        ; =>  This Inner Loop Header: Depth=2
	ds_load_b128 v[13:16], v10
	v_add_nc_u32_e32 v12, s17, v12
	s_delay_alu instid0(VALU_DEP_1) | instskip(NEXT) | instid1(VALU_DEP_1)
	v_cmp_le_i32_e64 s3, s14, v12
	s_or_b32 s21, s3, s21
	s_waitcnt lgkmcnt(0)
	v_cmp_gt_f32_e32 vcc_lo, v13, v9
	v_dual_cndmask_b32 v9, v9, v13 :: v_dual_cndmask_b32 v8, v8, v11
	s_delay_alu instid0(VALU_DEP_1) | instskip(SKIP_2) | instid1(VALU_DEP_1)
	v_cmp_gt_f32_e32 vcc_lo, v14, v9
	v_dual_cndmask_b32 v9, v9, v14 :: v_dual_add_nc_u32 v14, 2, v11
	v_add_nc_u32_e32 v13, 1, v11
	v_cndmask_b32_e32 v8, v8, v13, vcc_lo
	s_delay_alu instid0(VALU_DEP_3) | instskip(SKIP_1) | instid1(VALU_DEP_3)
	v_cmp_gt_f32_e32 vcc_lo, v15, v9
	v_add_nc_u32_e32 v13, 3, v11
	v_dual_cndmask_b32 v9, v9, v15 :: v_dual_cndmask_b32 v8, v8, v14
	s_delay_alu instid0(VALU_DEP_1) | instskip(SKIP_1) | instid1(VALU_DEP_3)
	v_cmp_gt_f32_e32 vcc_lo, v16, v9
	v_add_nc_u32_e32 v10, s22, v10
	v_dual_cndmask_b32 v8, v8, v13 :: v_dual_add_nc_u32 v11, s20, v11
	v_cndmask_b32_e32 v9, v9, v16, vcc_lo
	s_and_not1_b32 exec_lo, exec_lo, s21
	s_cbranch_execnz .LBB287_24
; %bb.25:                               ;   in Loop: Header=BB287_22 Depth=1
	s_or_b32 exec_lo, exec_lo, s21
.LBB287_26:                             ;   in Loop: Header=BB287_22 Depth=1
	s_delay_alu instid0(SALU_CYCLE_1)
	s_or_b32 exec_lo, exec_lo, s16
	;;#ASMSTART
	v_max_f32 v10, v9, v9 quad_perm:[1,0,3,2] row_mask:0xf bank_mask:0xf bound_ctrl:1
	;;#ASMEND
	;;#ASMSTART
	v_max_f32 v11, v10, v10 quad_perm:[2,3,0,1] row_mask:0xf bank_mask:0xf bound_ctrl:1
	;;#ASMEND
	;;#ASMSTART
	v_max_f32 v10, v11, v11 row_half_mirror row_mask:0xf bank_mask:0xf bound_ctrl:1
	;;#ASMEND
	;;#ASMSTART
	v_max_f32 v11, v10, v10 row_mirror row_mask:0xf bank_mask:0xf bound_ctrl:1
	;;#ASMEND
	v_permlanex16_b32 v10, v11, s19, 0xfedcba98 op_sel:[1,1]
	s_delay_alu instid0(VALU_DEP_1) | instskip(NEXT) | instid1(VALU_DEP_1)
	v_dual_max_f32 v11, v11, v11 :: v_dual_max_f32 v10, v10, v10
	v_max_f32_e32 v10, v11, v10
	s_delay_alu instid0(VALU_DEP_1)
	v_cmp_eq_f32_e32 vcc_lo, v9, v10
	s_ctz_i32_b32 s3, vcc_lo
	s_cmp_lg_u32 vcc_lo, 0
	s_cselect_b32 s3, s3, 0
	s_and_b32 vcc_lo, exec_lo, s12
	v_readlane_b32 s16, v8, s3
	s_cbranch_vccz .LBB287_21
; %bb.27:                               ;   in Loop: Header=BB287_22 Depth=1
	s_delay_alu instid0(VALU_DEP_1) | instskip(NEXT) | instid1(SALU_CYCLE_1)
	s_ashr_i32 s17, s16, 31
	s_lshl_b64 s[20:21], s[16:17], 1
	s_delay_alu instid0(SALU_CYCLE_1) | instskip(SKIP_4) | instid1(VALU_DEP_1)
	s_add_u32 s20, s6, s20
	s_addc_u32 s21, s7, s21
	global_load_u16 v8, v6, s[20:21]
	s_waitcnt vmcnt(0)
	v_lshlrev_b32_e32 v8, 16, v8
	v_sub_f32_e32 v10, v10, v8
	s_branch .LBB287_21
.LBB287_28:
	v_mov_b32_e32 v1, 0
	v_mov_b32_e32 v5, 0
.LBB287_29:
	s_mov_b32 s2, exec_lo
	v_cmpx_gt_i32_e64 s13, v0
	s_cbranch_execz .LBB287_32
; %bb.30:
	s_clause 0x1
	s_load_b32 s2, s[0:1], 0x34
	s_load_b32 s3, s[0:1], 0x44
	v_max_f32_e32 v3, v5, v5
	s_load_b64 s[0:1], s[0:1], 0x20
	s_ashr_i32 s4, s15, 31
	s_delay_alu instid0(VALU_DEP_1) | instskip(SKIP_1) | instid1(VALU_DEP_1)
	v_max_f32_e32 v3, 0x1e3ce508, v3
	s_waitcnt lgkmcnt(0)
	v_div_scale_f32 v4, null, v3, v3, s2
	v_div_scale_f32 v7, vcc_lo, s2, v3, s2
	s_mul_i32 s1, s15, s1
	s_delay_alu instid0(VALU_DEP_2) | instskip(SKIP_4) | instid1(VALU_DEP_1)
	v_rcp_f32_e32 v5, v4
	s_mul_i32 s4, s4, s0
	s_and_b32 s3, s3, 0xffff
	s_waitcnt_depctr 0xfff
	v_fma_f32 v6, -v4, v5, 1.0
	v_fmac_f32_e32 v5, v6, v5
	s_delay_alu instid0(VALU_DEP_1) | instskip(NEXT) | instid1(VALU_DEP_1)
	v_mul_f32_e32 v6, v7, v5
	v_fma_f32 v8, -v4, v6, v7
	s_delay_alu instid0(VALU_DEP_1) | instskip(NEXT) | instid1(VALU_DEP_1)
	v_fmac_f32_e32 v6, v8, v5
	v_fma_f32 v4, -v4, v6, v7
	s_delay_alu instid0(VALU_DEP_1) | instskip(NEXT) | instid1(VALU_DEP_1)
	v_div_fmas_f32 v4, v4, v5, v6
	v_div_fixup_f32 v3, v4, v3, s2
	s_mul_hi_u32 s2, s15, s0
	s_delay_alu instid0(SALU_CYCLE_1) | instskip(SKIP_1) | instid1(VALU_DEP_1)
	s_add_i32 s1, s2, s1
	s_mul_i32 s2, s15, s0
	v_mul_f32_e32 v2, v2, v3
	s_add_i32 s1, s1, s4
	s_mov_b32 s4, 0
	.p2align	6
.LBB287_31:                             ; =>This Inner Loop Header: Depth=1
	v_ashrrev_i32_e32 v4, 31, v0
	v_add_co_u32 v3, vcc_lo, s2, v0
	v_add_nc_u32_e32 v0, s3, v0
	s_delay_alu instid0(VALU_DEP_3) | instskip(NEXT) | instid1(VALU_DEP_2)
	v_add_co_ci_u32_e32 v4, vcc_lo, s1, v4, vcc_lo
	v_cmp_le_i32_e32 vcc_lo, s13, v0
	s_delay_alu instid0(VALU_DEP_2) | instskip(SKIP_1) | instid1(VALU_DEP_1)
	v_lshlrev_b64 v[3:4], 2, v[3:4]
	s_or_b32 s4, vcc_lo, s4
	v_add_co_u32 v5, s0, s8, v3
	s_delay_alu instid0(VALU_DEP_1) | instskip(SKIP_1) | instid1(VALU_DEP_1)
	v_add_co_ci_u32_e64 v6, s0, s9, v4, s0
	v_add_co_u32 v3, s0, s10, v3
	v_add_co_ci_u32_e64 v4, s0, s11, v4, s0
	global_store_b32 v[5:6], v2, off
	global_store_b32 v[3:4], v1, off
	s_and_not1_b32 exec_lo, exec_lo, s4
	s_cbranch_execnz .LBB287_31
.LBB287_32:
	s_nop 0
	s_sendmsg sendmsg(MSG_DEALLOC_VGPRS)
	s_endpgm
	.section	.rodata,"a",@progbits
	.p2align	6, 0x0
	.amdhsa_kernel _ZN5aiter20topk_softplus_kernelI12hip_bfloat16S1_Dv4_fLb1ELi2EEEvPKT_PKT0_PfPimiiif
		.amdhsa_group_segment_fixed_size 0
		.amdhsa_private_segment_fixed_size 0
		.amdhsa_kernarg_size 312
		.amdhsa_user_sgpr_count 15
		.amdhsa_user_sgpr_dispatch_ptr 0
		.amdhsa_user_sgpr_queue_ptr 0
		.amdhsa_user_sgpr_kernarg_segment_ptr 1
		.amdhsa_user_sgpr_dispatch_id 0
		.amdhsa_user_sgpr_private_segment_size 0
		.amdhsa_wavefront_size32 1
		.amdhsa_uses_dynamic_stack 0
		.amdhsa_enable_private_segment 0
		.amdhsa_system_sgpr_workgroup_id_x 1
		.amdhsa_system_sgpr_workgroup_id_y 0
		.amdhsa_system_sgpr_workgroup_id_z 0
		.amdhsa_system_sgpr_workgroup_info 0
		.amdhsa_system_vgpr_workitem_id 0
		.amdhsa_next_free_vgpr 17
		.amdhsa_next_free_sgpr 23
		.amdhsa_reserve_vcc 1
		.amdhsa_float_round_mode_32 0
		.amdhsa_float_round_mode_16_64 0
		.amdhsa_float_denorm_mode_32 3
		.amdhsa_float_denorm_mode_16_64 3
		.amdhsa_dx10_clamp 1
		.amdhsa_ieee_mode 1
		.amdhsa_fp16_overflow 0
		.amdhsa_workgroup_processor_mode 1
		.amdhsa_memory_ordered 1
		.amdhsa_forward_progress 0
		.amdhsa_shared_vgpr_count 0
		.amdhsa_exception_fp_ieee_invalid_op 0
		.amdhsa_exception_fp_denorm_src 0
		.amdhsa_exception_fp_ieee_div_zero 0
		.amdhsa_exception_fp_ieee_overflow 0
		.amdhsa_exception_fp_ieee_underflow 0
		.amdhsa_exception_fp_ieee_inexact 0
		.amdhsa_exception_int_div_zero 0
	.end_amdhsa_kernel
	.section	.text._ZN5aiter20topk_softplus_kernelI12hip_bfloat16S1_Dv4_fLb1ELi2EEEvPKT_PKT0_PfPimiiif,"axG",@progbits,_ZN5aiter20topk_softplus_kernelI12hip_bfloat16S1_Dv4_fLb1ELi2EEEvPKT_PKT0_PfPimiiif,comdat
.Lfunc_end287:
	.size	_ZN5aiter20topk_softplus_kernelI12hip_bfloat16S1_Dv4_fLb1ELi2EEEvPKT_PKT0_PfPimiiif, .Lfunc_end287-_ZN5aiter20topk_softplus_kernelI12hip_bfloat16S1_Dv4_fLb1ELi2EEEvPKT_PKT0_PfPimiiif
                                        ; -- End function
	.section	.AMDGPU.csdata,"",@progbits
; Kernel info:
; codeLenInByte = 2104
; NumSgprs: 25
; NumVgprs: 17
; ScratchSize: 0
; MemoryBound: 0
; FloatMode: 240
; IeeeMode: 1
; LDSByteSize: 0 bytes/workgroup (compile time only)
; SGPRBlocks: 3
; VGPRBlocks: 2
; NumSGPRsForWavesPerEU: 25
; NumVGPRsForWavesPerEU: 17
; Occupancy: 16
; WaveLimiterHint : 0
; COMPUTE_PGM_RSRC2:SCRATCH_EN: 0
; COMPUTE_PGM_RSRC2:USER_SGPR: 15
; COMPUTE_PGM_RSRC2:TRAP_HANDLER: 0
; COMPUTE_PGM_RSRC2:TGID_X_EN: 1
; COMPUTE_PGM_RSRC2:TGID_Y_EN: 0
; COMPUTE_PGM_RSRC2:TGID_Z_EN: 0
; COMPUTE_PGM_RSRC2:TIDIG_COMP_CNT: 0
	.section	.text._ZN5aiter20topk_softplus_kernelI12hip_bfloat16S1_Dv4_fLb0ELi2EEEvPKT_PKT0_PfPimiiif,"axG",@progbits,_ZN5aiter20topk_softplus_kernelI12hip_bfloat16S1_Dv4_fLb0ELi2EEEvPKT_PKT0_PfPimiiif,comdat
	.protected	_ZN5aiter20topk_softplus_kernelI12hip_bfloat16S1_Dv4_fLb0ELi2EEEvPKT_PKT0_PfPimiiif ; -- Begin function _ZN5aiter20topk_softplus_kernelI12hip_bfloat16S1_Dv4_fLb0ELi2EEEvPKT_PKT0_PfPimiiif
	.globl	_ZN5aiter20topk_softplus_kernelI12hip_bfloat16S1_Dv4_fLb0ELi2EEEvPKT_PKT0_PfPimiiif
	.p2align	8
	.type	_ZN5aiter20topk_softplus_kernelI12hip_bfloat16S1_Dv4_fLb0ELi2EEEvPKT_PKT0_PfPimiiif,@function
_ZN5aiter20topk_softplus_kernelI12hip_bfloat16S1_Dv4_fLb0ELi2EEEvPKT_PKT0_PfPimiiif: ; @_ZN5aiter20topk_softplus_kernelI12hip_bfloat16S1_Dv4_fLb0ELi2EEEvPKT_PKT0_PfPimiiif
; %bb.0:
	s_clause 0x1
	s_load_b64 s[12:13], s[0:1], 0x28
	s_load_b256 s[4:11], s[0:1], 0x0
	v_lshl_add_u32 v3, v0, 4, 0
	s_waitcnt lgkmcnt(0)
	s_ashr_i32 s2, s12, 31
	s_mul_i32 s16, s15, s12
	s_lshr_b32 s2, s2, 30
	s_ashr_i32 s17, s16, 31
	s_add_i32 s2, s12, s2
	s_delay_alu instid0(SALU_CYCLE_1) | instskip(NEXT) | instid1(SALU_CYCLE_1)
	s_ashr_i32 s14, s2, 2
	v_cmp_gt_i32_e64 s2, s14, v0
	s_delay_alu instid0(VALU_DEP_1)
	s_and_saveexec_b32 s18, s2
	s_cbranch_execz .LBB288_3
; %bb.1:
	s_load_b32 s3, s[0:1], 0x44
	v_lshlrev_b32_e32 v1, 3, v0
	s_lshl_b64 s[20:21], s[16:17], 1
	v_lshl_add_u32 v4, v0, 4, 0
	v_mov_b32_e32 v5, v0
	s_waitcnt lgkmcnt(0)
	s_and_b32 s19, s3, 0xffff
	s_add_u32 s3, s4, s20
	s_addc_u32 s20, s5, s21
	v_add_co_u32 v1, s3, s3, v1
	s_delay_alu instid0(VALU_DEP_1)
	v_add_co_ci_u32_e64 v2, null, s20, 0, s3
	s_mov_b32 s20, 0
	s_lshl_b32 s21, s19, 3
	s_lshl_b32 s22, s19, 4
	.p2align	6
.LBB288_2:                              ; =>This Inner Loop Header: Depth=1
	global_load_b64 v[6:7], v[1:2], off
	v_add_nc_u32_e32 v5, s19, v5
	v_add_co_u32 v1, vcc_lo, v1, s21
	v_add_co_ci_u32_e32 v2, vcc_lo, 0, v2, vcc_lo
	s_delay_alu instid0(VALU_DEP_3) | instskip(NEXT) | instid1(VALU_DEP_1)
	v_cmp_le_i32_e64 s3, s14, v5
	s_or_b32 s20, s3, s20
	s_waitcnt vmcnt(0)
	v_lshrrev_b32_e32 v8, 16, v6
	v_and_b32_e32 v6, 0xffff, v6
	v_lshrrev_b32_e32 v9, 16, v7
	v_and_b32_e32 v10, 0xffff, v7
	s_delay_alu instid0(VALU_DEP_4) | instskip(NEXT) | instid1(VALU_DEP_4)
	v_cvt_f32_u32_e32 v7, v8
	v_cvt_f32_u32_e32 v6, v6
	s_delay_alu instid0(VALU_DEP_4) | instskip(NEXT) | instid1(VALU_DEP_4)
	v_cvt_f32_u32_e32 v9, v9
	v_cvt_f32_u32_e32 v8, v10
	ds_store_b128 v4, v[6:9]
	v_add_nc_u32_e32 v4, s22, v4
	s_and_not1_b32 exec_lo, exec_lo, s20
	s_cbranch_execnz .LBB288_2
.LBB288_3:
	s_or_b32 exec_lo, exec_lo, s18
	v_lshl_add_u32 v1, s14, 2, v0
	v_lshlrev_b32_e32 v4, 2, v0
	s_mov_b32 s3, exec_lo
	s_delay_alu instid0(VALU_DEP_2)
	v_cmpx_gt_i32_e64 s12, v1
	s_cbranch_execz .LBB288_6
; %bb.4:
	s_load_b32 s18, s[0:1], 0x44
	s_lshl_b64 s[16:17], s[16:17], 1
	v_lshlrev_b32_e32 v2, 2, v0
	s_add_u32 s4, s4, s16
	s_addc_u32 s5, s5, s17
	s_lshl_b32 s16, s14, 4
	s_mov_b32 s17, 0
	v_add3_u32 v5, 0, s16, v2
	s_waitcnt lgkmcnt(0)
	s_and_b32 s16, s18, 0xffff
	s_delay_alu instid0(SALU_CYCLE_1)
	s_lshl_b32 s18, s16, 2
	.p2align	6
.LBB288_5:                              ; =>This Inner Loop Header: Depth=1
	v_ashrrev_i32_e32 v2, 31, v1
	s_delay_alu instid0(VALU_DEP_1) | instskip(SKIP_1) | instid1(VALU_DEP_2)
	v_lshlrev_b64 v[6:7], 1, v[1:2]
	v_add_nc_u32_e32 v1, s16, v1
	v_add_co_u32 v6, vcc_lo, s4, v6
	s_delay_alu instid0(VALU_DEP_3) | instskip(NEXT) | instid1(VALU_DEP_3)
	v_add_co_ci_u32_e32 v7, vcc_lo, s5, v7, vcc_lo
	v_cmp_le_i32_e32 vcc_lo, s12, v1
	global_load_u16 v2, v[6:7], off
	s_or_b32 s17, vcc_lo, s17
	s_waitcnt vmcnt(0)
	v_lshlrev_b32_e32 v2, 16, v2
	ds_store_b32 v5, v2
	v_add_nc_u32_e32 v5, s18, v5
	s_and_not1_b32 exec_lo, exec_lo, s17
	s_cbranch_execnz .LBB288_5
.LBB288_6:
	s_or_b32 exec_lo, exec_lo, s3
	v_cmp_gt_i32_e32 vcc_lo, s12, v0
	v_mov_b32_e32 v2, 0xff800000
	s_waitcnt lgkmcnt(0)
	s_barrier
	buffer_gl0_inv
	s_and_saveexec_b32 s4, vcc_lo
	s_cbranch_execz .LBB288_10
; %bb.7:
	s_load_b32 s3, s[0:1], 0x44
	v_lshl_add_u32 v1, v0, 2, 0
	v_dual_mov_b32 v2, 0xff800000 :: v_dual_mov_b32 v5, v0
	s_mov_b32 s5, 0
	s_waitcnt lgkmcnt(0)
	s_and_b32 s16, s3, 0xffff
	s_delay_alu instid0(SALU_CYCLE_1)
	s_lshl_b32 s17, s16, 2
.LBB288_8:                              ; =>This Inner Loop Header: Depth=1
	ds_load_b32 v6, v1
	v_dual_max_f32 v2, v2, v2 :: v_dual_add_nc_u32 v5, s16, v5
	v_add_nc_u32_e32 v1, s17, v1
	s_delay_alu instid0(VALU_DEP_2) | instskip(NEXT) | instid1(VALU_DEP_1)
	v_cmp_le_i32_e64 s3, s12, v5
	s_or_b32 s5, s3, s5
	s_waitcnt lgkmcnt(0)
	v_max_f32_e32 v6, v6, v6
	s_delay_alu instid0(VALU_DEP_1)
	v_max_f32_e32 v2, v2, v6
	s_and_not1_b32 exec_lo, exec_lo, s5
	s_cbranch_execnz .LBB288_8
; %bb.9:
	s_or_b32 exec_lo, exec_lo, s5
.LBB288_10:
	s_delay_alu instid0(SALU_CYCLE_1)
	s_or_b32 exec_lo, exec_lo, s4
	v_mov_b32_e32 v1, 0
	;;#ASMSTART
	v_max_f32 v5, v2, v2 quad_perm:[1,0,3,2] row_mask:0xf bank_mask:0xf bound_ctrl:1
	;;#ASMEND
	;;#ASMSTART
	v_max_f32 v2, v5, v5 quad_perm:[2,3,0,1] row_mask:0xf bank_mask:0xf bound_ctrl:1
	;;#ASMEND
	;;#ASMSTART
	v_max_f32 v5, v2, v2 row_half_mirror row_mask:0xf bank_mask:0xf bound_ctrl:1
	;;#ASMEND
	;;#ASMSTART
	v_max_f32 v2, v5, v5 row_mirror row_mask:0xf bank_mask:0xf bound_ctrl:1
	;;#ASMEND
	s_and_saveexec_b32 s4, vcc_lo
	s_cbranch_execz .LBB288_14
; %bb.11:
	s_load_b32 s3, s[0:1], 0x44
	s_mov_b32 s5, 0x76543210
	v_lshl_add_u32 v5, v0, 2, 0
	v_permlanex16_b32 v1, v2, s5, 0xfedcba98 op_sel:[1,1]
	v_mov_b32_e32 v6, v0
	s_mov_b32 s5, 0
	s_delay_alu instid0(VALU_DEP_2) | instskip(NEXT) | instid1(VALU_DEP_1)
	v_dual_max_f32 v2, v2, v2 :: v_dual_max_f32 v1, v1, v1
	v_dual_max_f32 v2, v2, v1 :: v_dual_mov_b32 v1, 0
	s_waitcnt lgkmcnt(0)
	s_and_b32 s16, s3, 0xffff
	s_delay_alu instid0(SALU_CYCLE_1)
	s_lshl_b32 s17, s16, 2
	.p2align	6
.LBB288_12:                             ; =>This Inner Loop Header: Depth=1
	ds_load_b32 v7, v5
	s_waitcnt lgkmcnt(0)
	v_sub_f32_e32 v7, v7, v2
	s_delay_alu instid0(VALU_DEP_1) | instskip(NEXT) | instid1(VALU_DEP_1)
	v_mul_f32_e32 v8, 0x3fb8aa3b, v7
	v_cmp_gt_f32_e64 s3, 0xc2fc0000, v8
	s_delay_alu instid0(VALU_DEP_1) | instskip(NEXT) | instid1(VALU_DEP_1)
	v_cndmask_b32_e64 v8, 0, 0x42800000, s3
	v_fmac_f32_e32 v8, 0x3fb8aa3b, v7
	s_delay_alu instid0(VALU_DEP_1) | instskip(SKIP_3) | instid1(VALU_DEP_1)
	v_exp_f32_e32 v7, v8
	v_cndmask_b32_e64 v8, 1.0, 0x1f800000, s3
	s_waitcnt_depctr 0xfff
	v_dual_mul_f32 v9, v7, v8 :: v_dual_add_nc_u32 v6, s16, v6
	v_cmp_le_i32_e64 s3, s12, v6
	v_fmac_f32_e32 v1, v7, v8
	ds_store_b32 v5, v9
	v_add_nc_u32_e32 v5, s17, v5
	s_or_b32 s5, s3, s5
	s_delay_alu instid0(SALU_CYCLE_1)
	s_and_not1_b32 exec_lo, exec_lo, s5
	s_cbranch_execnz .LBB288_12
; %bb.13:
	s_or_b32 exec_lo, exec_lo, s5
.LBB288_14:
	s_delay_alu instid0(SALU_CYCLE_1) | instskip(SKIP_1) | instid1(VALU_DEP_1)
	s_or_b32 exec_lo, exec_lo, s4
	v_mov_b32_dpp v2, v1 quad_perm:[1,0,3,2] row_mask:0xf bank_mask:0xf
	v_add_f32_e32 v1, v1, v2
	s_delay_alu instid0(VALU_DEP_1) | instskip(NEXT) | instid1(VALU_DEP_1)
	v_mov_b32_dpp v2, v1 quad_perm:[2,3,0,1] row_mask:0xf bank_mask:0xf
	v_add_f32_e32 v1, v1, v2
	s_delay_alu instid0(VALU_DEP_1) | instskip(NEXT) | instid1(VALU_DEP_1)
	v_mov_b32_dpp v2, v1 row_xmask:7 row_mask:0xf bank_mask:0xf
	v_add_f32_e32 v1, v1, v2
	s_delay_alu instid0(VALU_DEP_1)
	v_mov_b32_dpp v2, v1 row_xmask:15 row_mask:0xf bank_mask:0xf
	s_and_saveexec_b32 s3, vcc_lo
	s_cbranch_execz .LBB288_19
; %bb.15:
	s_delay_alu instid0(VALU_DEP_1)
	v_add_f32_e32 v1, v1, v2
	s_load_b32 s5, s[0:1], 0x44
	s_mov_b32 s4, 0x76543210
	s_cmp_lg_u64 s[6:7], 0
	v_lshl_add_u32 v6, v0, 2, 0
	v_permlanex16_b32 v2, v1, s4, 0xfedcba98 op_sel:[1,1]
	s_cselect_b32 s4, -1, 0
	s_mov_b32 s16, 0
	s_delay_alu instid0(VALU_DEP_1) | instskip(NEXT) | instid1(VALU_DEP_1)
	v_add_f32_e32 v1, v1, v2
	v_rcp_f32_e32 v5, v1
	v_mov_b32_e32 v1, v0
	s_waitcnt lgkmcnt(0)
	s_and_b32 s5, s5, 0xffff
	s_delay_alu instid0(SALU_CYCLE_1)
	s_lshl_b32 s17, s5, 2
	s_set_inst_prefetch_distance 0x1
	s_branch .LBB288_17
	.p2align	6
.LBB288_16:                             ;   in Loop: Header=BB288_17 Depth=1
	v_add_nc_u32_e32 v1, s5, v1
	v_add_nc_u32_e32 v6, s17, v6
	s_delay_alu instid0(VALU_DEP_2) | instskip(SKIP_1) | instid1(SALU_CYCLE_1)
	v_cmp_le_i32_e32 vcc_lo, s12, v1
	s_or_b32 s16, vcc_lo, s16
	s_and_not1_b32 exec_lo, exec_lo, s16
	s_cbranch_execz .LBB288_19
.LBB288_17:                             ; =>This Inner Loop Header: Depth=1
	ds_load_b32 v2, v6
	s_and_not1_b32 vcc_lo, exec_lo, s4
	s_waitcnt lgkmcnt(0)
	v_mul_f32_e32 v7, v5, v2
	ds_store_b32 v6, v7
	s_cbranch_vccnz .LBB288_16
; %bb.18:                               ;   in Loop: Header=BB288_17 Depth=1
	v_ashrrev_i32_e32 v2, 31, v1
	s_delay_alu instid0(VALU_DEP_1) | instskip(NEXT) | instid1(VALU_DEP_1)
	v_lshlrev_b64 v[8:9], 1, v[1:2]
	v_add_co_u32 v8, vcc_lo, s6, v8
	s_delay_alu instid0(VALU_DEP_2) | instskip(SKIP_3) | instid1(VALU_DEP_1)
	v_add_co_ci_u32_e32 v9, vcc_lo, s7, v9, vcc_lo
	global_load_u16 v2, v[8:9], off
	s_waitcnt vmcnt(0)
	v_lshlrev_b32_e32 v2, 16, v2
	v_add_f32_e32 v2, v7, v2
	ds_store_b32 v6, v2
	s_branch .LBB288_16
.LBB288_19:
	s_set_inst_prefetch_distance 0x2
	s_or_b32 exec_lo, exec_lo, s3
	s_cmp_lt_i32 s13, 1
	s_waitcnt lgkmcnt(0)
	s_barrier
	buffer_gl0_inv
	s_cbranch_scc1 .LBB288_28
; %bb.20:
	s_add_u32 s4, s0, 56
	s_addc_u32 s5, s1, 0
	v_dual_mov_b32 v5, 0 :: v_dual_mov_b32 v6, 0xff800000
	v_dual_mov_b32 v1, 0 :: v_dual_mov_b32 v2, 0
	s_cmp_lg_u64 s[6:7], 0
	s_mov_b32 s18, 0
	s_cselect_b32 s12, -1, 0
	s_mov_b32 s19, 0x76543210
	s_branch .LBB288_22
.LBB288_21:                             ;   in Loop: Header=BB288_22 Depth=1
	v_cmp_eq_u32_e32 vcc_lo, s18, v0
	s_delay_alu instid0(VALU_DEP_2)
	s_lshl_b32 s3, s16, 2
	s_add_i32 s18, s18, 1
	s_add_i32 s3, s3, 0
	s_cmp_eq_u32 s18, s13
	v_cndmask_b32_e64 v1, v1, s16, vcc_lo
	v_dual_mov_b32 v7, s3 :: v_dual_cndmask_b32 v2, v2, v9
	ds_store_b32 v7, v6
	s_cbranch_scc1 .LBB288_29
.LBB288_22:                             ; =>This Loop Header: Depth=1
                                        ;     Child Loop BB288_24 Depth 2
	v_dual_mov_b32 v7, s18 :: v_dual_mov_b32 v8, 0xff800000
	s_and_saveexec_b32 s16, s2
	s_cbranch_execz .LBB288_26
; %bb.23:                               ;   in Loop: Header=BB288_22 Depth=1
	s_load_b32 s3, s[4:5], 0xc
	v_dual_mov_b32 v7, s18 :: v_dual_mov_b32 v8, 0xff800000
	v_dual_mov_b32 v9, v3 :: v_dual_mov_b32 v10, v4
	v_mov_b32_e32 v11, v0
	s_mov_b32 s21, 0
	s_waitcnt lgkmcnt(0)
	s_and_b32 s17, s3, 0xffff
	s_delay_alu instid0(SALU_CYCLE_1)
	s_lshl_b32 s20, s17, 2
	s_lshl_b32 s22, s17, 4
	.p2align	6
.LBB288_24:                             ;   Parent Loop BB288_22 Depth=1
                                        ; =>  This Inner Loop Header: Depth=2
	ds_load_b128 v[12:15], v9
	v_add_nc_u32_e32 v11, s17, v11
	s_delay_alu instid0(VALU_DEP_1) | instskip(NEXT) | instid1(VALU_DEP_1)
	v_cmp_le_i32_e64 s3, s14, v11
	s_or_b32 s21, s3, s21
	s_waitcnt lgkmcnt(0)
	v_cmp_gt_f32_e32 vcc_lo, v12, v8
	v_dual_cndmask_b32 v8, v8, v12 :: v_dual_cndmask_b32 v7, v7, v10
	s_delay_alu instid0(VALU_DEP_1) | instskip(SKIP_2) | instid1(VALU_DEP_1)
	v_cmp_gt_f32_e32 vcc_lo, v13, v8
	v_dual_cndmask_b32 v8, v8, v13 :: v_dual_add_nc_u32 v13, 2, v10
	v_add_nc_u32_e32 v12, 1, v10
	v_cndmask_b32_e32 v7, v7, v12, vcc_lo
	s_delay_alu instid0(VALU_DEP_3) | instskip(SKIP_1) | instid1(VALU_DEP_3)
	v_cmp_gt_f32_e32 vcc_lo, v14, v8
	v_add_nc_u32_e32 v12, 3, v10
	v_dual_cndmask_b32 v8, v8, v14 :: v_dual_cndmask_b32 v7, v7, v13
	s_delay_alu instid0(VALU_DEP_1) | instskip(SKIP_1) | instid1(VALU_DEP_3)
	v_cmp_gt_f32_e32 vcc_lo, v15, v8
	v_add_nc_u32_e32 v9, s22, v9
	v_dual_cndmask_b32 v7, v7, v12 :: v_dual_add_nc_u32 v10, s20, v10
	v_cndmask_b32_e32 v8, v8, v15, vcc_lo
	s_and_not1_b32 exec_lo, exec_lo, s21
	s_cbranch_execnz .LBB288_24
; %bb.25:                               ;   in Loop: Header=BB288_22 Depth=1
	s_or_b32 exec_lo, exec_lo, s21
.LBB288_26:                             ;   in Loop: Header=BB288_22 Depth=1
	s_delay_alu instid0(SALU_CYCLE_1)
	s_or_b32 exec_lo, exec_lo, s16
	;;#ASMSTART
	v_max_f32 v9, v8, v8 quad_perm:[1,0,3,2] row_mask:0xf bank_mask:0xf bound_ctrl:1
	;;#ASMEND
	;;#ASMSTART
	v_max_f32 v10, v9, v9 quad_perm:[2,3,0,1] row_mask:0xf bank_mask:0xf bound_ctrl:1
	;;#ASMEND
	;;#ASMSTART
	v_max_f32 v9, v10, v10 row_half_mirror row_mask:0xf bank_mask:0xf bound_ctrl:1
	;;#ASMEND
	;;#ASMSTART
	v_max_f32 v10, v9, v9 row_mirror row_mask:0xf bank_mask:0xf bound_ctrl:1
	;;#ASMEND
	v_permlanex16_b32 v9, v10, s19, 0xfedcba98 op_sel:[1,1]
	s_delay_alu instid0(VALU_DEP_1) | instskip(NEXT) | instid1(VALU_DEP_1)
	v_dual_max_f32 v10, v10, v10 :: v_dual_max_f32 v9, v9, v9
	v_max_f32_e32 v9, v10, v9
	s_delay_alu instid0(VALU_DEP_1)
	v_cmp_eq_f32_e32 vcc_lo, v8, v9
	s_ctz_i32_b32 s3, vcc_lo
	s_cmp_lg_u32 vcc_lo, 0
	s_cselect_b32 s3, s3, 0
	s_and_b32 vcc_lo, exec_lo, s12
	v_readlane_b32 s16, v7, s3
	s_cbranch_vccz .LBB288_21
; %bb.27:                               ;   in Loop: Header=BB288_22 Depth=1
	s_delay_alu instid0(VALU_DEP_1) | instskip(NEXT) | instid1(SALU_CYCLE_1)
	s_ashr_i32 s17, s16, 31
	s_lshl_b64 s[20:21], s[16:17], 1
	s_delay_alu instid0(SALU_CYCLE_1) | instskip(SKIP_4) | instid1(VALU_DEP_1)
	s_add_u32 s20, s6, s20
	s_addc_u32 s21, s7, s21
	global_load_u16 v7, v5, s[20:21]
	s_waitcnt vmcnt(0)
	v_lshlrev_b32_e32 v7, 16, v7
	v_sub_f32_e32 v9, v9, v7
	s_branch .LBB288_21
.LBB288_28:
	v_dual_mov_b32 v2, 0 :: v_dual_mov_b32 v1, 0
.LBB288_29:
	s_mov_b32 s2, exec_lo
	v_cmpx_gt_i32_e64 s13, v0
	s_cbranch_execz .LBB288_32
; %bb.30:
	s_clause 0x2
	s_load_b32 s4, s[0:1], 0x34
	s_load_b64 s[2:3], s[0:1], 0x20
	s_load_b32 s0, s[0:1], 0x44
	s_ashr_i32 s1, s15, 31
	s_waitcnt lgkmcnt(0)
	v_mul_f32_e32 v2, s4, v2
	s_mul_i32 s3, s15, s3
	s_mul_hi_u32 s4, s15, s2
	s_mul_i32 s5, s1, s2
	s_add_i32 s3, s4, s3
	s_mul_i32 s1, s15, s2
	s_and_b32 s2, s0, 0xffff
	s_add_i32 s3, s3, s5
	s_mov_b32 s4, 0
	.p2align	6
.LBB288_31:                             ; =>This Inner Loop Header: Depth=1
	v_ashrrev_i32_e32 v4, 31, v0
	v_add_co_u32 v3, vcc_lo, s1, v0
	v_add_nc_u32_e32 v0, s2, v0
	s_delay_alu instid0(VALU_DEP_3) | instskip(NEXT) | instid1(VALU_DEP_2)
	v_add_co_ci_u32_e32 v4, vcc_lo, s3, v4, vcc_lo
	v_cmp_le_i32_e32 vcc_lo, s13, v0
	s_delay_alu instid0(VALU_DEP_2) | instskip(SKIP_1) | instid1(VALU_DEP_1)
	v_lshlrev_b64 v[3:4], 2, v[3:4]
	s_or_b32 s4, vcc_lo, s4
	v_add_co_u32 v5, s0, s8, v3
	s_delay_alu instid0(VALU_DEP_1) | instskip(SKIP_1) | instid1(VALU_DEP_1)
	v_add_co_ci_u32_e64 v6, s0, s9, v4, s0
	v_add_co_u32 v3, s0, s10, v3
	v_add_co_ci_u32_e64 v4, s0, s11, v4, s0
	global_store_b32 v[5:6], v2, off
	global_store_b32 v[3:4], v1, off
	s_and_not1_b32 exec_lo, exec_lo, s4
	s_cbranch_execnz .LBB288_31
.LBB288_32:
	s_nop 0
	s_sendmsg sendmsg(MSG_DEALLOC_VGPRS)
	s_endpgm
	.section	.rodata,"a",@progbits
	.p2align	6, 0x0
	.amdhsa_kernel _ZN5aiter20topk_softplus_kernelI12hip_bfloat16S1_Dv4_fLb0ELi2EEEvPKT_PKT0_PfPimiiif
		.amdhsa_group_segment_fixed_size 0
		.amdhsa_private_segment_fixed_size 0
		.amdhsa_kernarg_size 312
		.amdhsa_user_sgpr_count 15
		.amdhsa_user_sgpr_dispatch_ptr 0
		.amdhsa_user_sgpr_queue_ptr 0
		.amdhsa_user_sgpr_kernarg_segment_ptr 1
		.amdhsa_user_sgpr_dispatch_id 0
		.amdhsa_user_sgpr_private_segment_size 0
		.amdhsa_wavefront_size32 1
		.amdhsa_uses_dynamic_stack 0
		.amdhsa_enable_private_segment 0
		.amdhsa_system_sgpr_workgroup_id_x 1
		.amdhsa_system_sgpr_workgroup_id_y 0
		.amdhsa_system_sgpr_workgroup_id_z 0
		.amdhsa_system_sgpr_workgroup_info 0
		.amdhsa_system_vgpr_workitem_id 0
		.amdhsa_next_free_vgpr 16
		.amdhsa_next_free_sgpr 23
		.amdhsa_reserve_vcc 1
		.amdhsa_float_round_mode_32 0
		.amdhsa_float_round_mode_16_64 0
		.amdhsa_float_denorm_mode_32 3
		.amdhsa_float_denorm_mode_16_64 3
		.amdhsa_dx10_clamp 1
		.amdhsa_ieee_mode 1
		.amdhsa_fp16_overflow 0
		.amdhsa_workgroup_processor_mode 1
		.amdhsa_memory_ordered 1
		.amdhsa_forward_progress 0
		.amdhsa_shared_vgpr_count 0
		.amdhsa_exception_fp_ieee_invalid_op 0
		.amdhsa_exception_fp_denorm_src 0
		.amdhsa_exception_fp_ieee_div_zero 0
		.amdhsa_exception_fp_ieee_overflow 0
		.amdhsa_exception_fp_ieee_underflow 0
		.amdhsa_exception_fp_ieee_inexact 0
		.amdhsa_exception_int_div_zero 0
	.end_amdhsa_kernel
	.section	.text._ZN5aiter20topk_softplus_kernelI12hip_bfloat16S1_Dv4_fLb0ELi2EEEvPKT_PKT0_PfPimiiif,"axG",@progbits,_ZN5aiter20topk_softplus_kernelI12hip_bfloat16S1_Dv4_fLb0ELi2EEEvPKT_PKT0_PfPimiiif,comdat
.Lfunc_end288:
	.size	_ZN5aiter20topk_softplus_kernelI12hip_bfloat16S1_Dv4_fLb0ELi2EEEvPKT_PKT0_PfPimiiif, .Lfunc_end288-_ZN5aiter20topk_softplus_kernelI12hip_bfloat16S1_Dv4_fLb0ELi2EEEvPKT_PKT0_PfPimiiif
                                        ; -- End function
	.section	.AMDGPU.csdata,"",@progbits
; Kernel info:
; codeLenInByte = 1980
; NumSgprs: 25
; NumVgprs: 16
; ScratchSize: 0
; MemoryBound: 0
; FloatMode: 240
; IeeeMode: 1
; LDSByteSize: 0 bytes/workgroup (compile time only)
; SGPRBlocks: 3
; VGPRBlocks: 1
; NumSGPRsForWavesPerEU: 25
; NumVGPRsForWavesPerEU: 16
; Occupancy: 16
; WaveLimiterHint : 0
; COMPUTE_PGM_RSRC2:SCRATCH_EN: 0
; COMPUTE_PGM_RSRC2:USER_SGPR: 15
; COMPUTE_PGM_RSRC2:TRAP_HANDLER: 0
; COMPUTE_PGM_RSRC2:TGID_X_EN: 1
; COMPUTE_PGM_RSRC2:TGID_Y_EN: 0
; COMPUTE_PGM_RSRC2:TGID_Z_EN: 0
; COMPUTE_PGM_RSRC2:TIDIG_COMP_CNT: 0
	.section	.text._ZN5aiter20topk_softplus_kernelI12hip_bfloat16S1_Dv2_fLb1ELi2EEEvPKT_PKT0_PfPimiiif,"axG",@progbits,_ZN5aiter20topk_softplus_kernelI12hip_bfloat16S1_Dv2_fLb1ELi2EEEvPKT_PKT0_PfPimiiif,comdat
	.protected	_ZN5aiter20topk_softplus_kernelI12hip_bfloat16S1_Dv2_fLb1ELi2EEEvPKT_PKT0_PfPimiiif ; -- Begin function _ZN5aiter20topk_softplus_kernelI12hip_bfloat16S1_Dv2_fLb1ELi2EEEvPKT_PKT0_PfPimiiif
	.globl	_ZN5aiter20topk_softplus_kernelI12hip_bfloat16S1_Dv2_fLb1ELi2EEEvPKT_PKT0_PfPimiiif
	.p2align	8
	.type	_ZN5aiter20topk_softplus_kernelI12hip_bfloat16S1_Dv2_fLb1ELi2EEEvPKT_PKT0_PfPimiiif,@function
_ZN5aiter20topk_softplus_kernelI12hip_bfloat16S1_Dv2_fLb1ELi2EEEvPKT_PKT0_PfPimiiif: ; @_ZN5aiter20topk_softplus_kernelI12hip_bfloat16S1_Dv2_fLb1ELi2EEEvPKT_PKT0_PfPimiiif
; %bb.0:
	s_clause 0x1
	s_load_b64 s[12:13], s[0:1], 0x28
	s_load_b256 s[4:11], s[0:1], 0x0
	v_lshl_add_u32 v3, v0, 3, 0
	s_waitcnt lgkmcnt(0)
	s_lshr_b32 s2, s12, 31
	s_mul_i32 s16, s15, s12
	s_add_i32 s2, s12, s2
	s_ashr_i32 s17, s16, 31
	s_ashr_i32 s14, s2, 1
	s_delay_alu instid0(SALU_CYCLE_1) | instskip(NEXT) | instid1(VALU_DEP_1)
	v_cmp_gt_i32_e64 s2, s14, v0
	s_and_saveexec_b32 s18, s2
	s_cbranch_execz .LBB289_3
; %bb.1:
	s_load_b32 s3, s[0:1], 0x44
	v_lshlrev_b32_e32 v1, 2, v0
	s_lshl_b64 s[20:21], s[16:17], 1
	v_lshl_add_u32 v4, v0, 3, 0
	v_mov_b32_e32 v5, v0
	s_waitcnt lgkmcnt(0)
	s_and_b32 s19, s3, 0xffff
	s_add_u32 s3, s4, s20
	s_addc_u32 s20, s5, s21
	v_add_co_u32 v1, s3, s3, v1
	s_delay_alu instid0(VALU_DEP_1)
	v_add_co_ci_u32_e64 v2, null, s20, 0, s3
	s_mov_b32 s20, 0
	s_lshl_b32 s21, s19, 2
	s_lshl_b32 s22, s19, 3
	.p2align	6
.LBB289_2:                              ; =>This Inner Loop Header: Depth=1
	global_load_b32 v6, v[1:2], off
	v_add_nc_u32_e32 v5, s19, v5
	v_add_co_u32 v1, vcc_lo, v1, s21
	v_add_co_ci_u32_e32 v2, vcc_lo, 0, v2, vcc_lo
	s_delay_alu instid0(VALU_DEP_3) | instskip(NEXT) | instid1(VALU_DEP_1)
	v_cmp_le_i32_e64 s3, s14, v5
	s_or_b32 s20, s3, s20
	s_waitcnt vmcnt(0)
	v_lshrrev_b32_e32 v7, 16, v6
	v_and_b32_e32 v6, 0xffff, v6
	s_delay_alu instid0(VALU_DEP_2) | instskip(NEXT) | instid1(VALU_DEP_2)
	v_cvt_f32_u32_e32 v7, v7
	v_cvt_f32_u32_e32 v6, v6
	ds_store_b64 v4, v[6:7]
	v_add_nc_u32_e32 v4, s22, v4
	s_and_not1_b32 exec_lo, exec_lo, s20
	s_cbranch_execnz .LBB289_2
.LBB289_3:
	s_or_b32 exec_lo, exec_lo, s18
	v_lshl_add_u32 v1, s14, 1, v0
	s_mov_b32 s3, exec_lo
	s_delay_alu instid0(VALU_DEP_1)
	v_cmpx_gt_i32_e64 s12, v1
	s_cbranch_execz .LBB289_6
; %bb.4:
	s_load_b32 s18, s[0:1], 0x44
	s_lshl_b64 s[16:17], s[16:17], 1
	v_lshlrev_b32_e32 v2, 2, v0
	s_add_u32 s4, s4, s16
	s_addc_u32 s5, s5, s17
	s_lshl_b32 s16, s14, 3
	s_mov_b32 s17, 0
	v_add3_u32 v4, 0, s16, v2
	s_waitcnt lgkmcnt(0)
	s_and_b32 s16, s18, 0xffff
	s_delay_alu instid0(SALU_CYCLE_1)
	s_lshl_b32 s18, s16, 2
	.p2align	6
.LBB289_5:                              ; =>This Inner Loop Header: Depth=1
	v_ashrrev_i32_e32 v2, 31, v1
	s_delay_alu instid0(VALU_DEP_1) | instskip(SKIP_1) | instid1(VALU_DEP_2)
	v_lshlrev_b64 v[5:6], 1, v[1:2]
	v_add_nc_u32_e32 v1, s16, v1
	v_add_co_u32 v5, vcc_lo, s4, v5
	s_delay_alu instid0(VALU_DEP_3) | instskip(NEXT) | instid1(VALU_DEP_3)
	v_add_co_ci_u32_e32 v6, vcc_lo, s5, v6, vcc_lo
	v_cmp_le_i32_e32 vcc_lo, s12, v1
	global_load_u16 v2, v[5:6], off
	s_or_b32 s17, vcc_lo, s17
	s_waitcnt vmcnt(0)
	v_lshlrev_b32_e32 v2, 16, v2
	ds_store_b32 v4, v2
	v_add_nc_u32_e32 v4, s18, v4
	s_and_not1_b32 exec_lo, exec_lo, s17
	s_cbranch_execnz .LBB289_5
.LBB289_6:
	s_or_b32 exec_lo, exec_lo, s3
	v_cmp_gt_i32_e32 vcc_lo, s12, v0
	v_mov_b32_e32 v2, 0xff800000
	s_waitcnt lgkmcnt(0)
	s_barrier
	buffer_gl0_inv
	s_and_saveexec_b32 s4, vcc_lo
	s_cbranch_execz .LBB289_10
; %bb.7:
	s_load_b32 s3, s[0:1], 0x44
	v_lshl_add_u32 v1, v0, 2, 0
	v_mov_b32_e32 v2, 0xff800000
	v_mov_b32_e32 v4, v0
	s_mov_b32 s5, 0
	s_waitcnt lgkmcnt(0)
	s_and_b32 s16, s3, 0xffff
	s_delay_alu instid0(SALU_CYCLE_1)
	s_lshl_b32 s17, s16, 2
.LBB289_8:                              ; =>This Inner Loop Header: Depth=1
	ds_load_b32 v5, v1
	v_add_nc_u32_e32 v4, s16, v4
	v_dual_max_f32 v2, v2, v2 :: v_dual_add_nc_u32 v1, s17, v1
	s_waitcnt lgkmcnt(0)
	v_max_f32_e32 v5, v5, v5
	s_delay_alu instid0(VALU_DEP_3) | instskip(NEXT) | instid1(VALU_DEP_2)
	v_cmp_le_i32_e64 s3, s12, v4
	v_max_f32_e32 v2, v2, v5
	s_delay_alu instid0(VALU_DEP_2) | instskip(NEXT) | instid1(SALU_CYCLE_1)
	s_or_b32 s5, s3, s5
	s_and_not1_b32 exec_lo, exec_lo, s5
	s_cbranch_execnz .LBB289_8
; %bb.9:
	s_or_b32 exec_lo, exec_lo, s5
.LBB289_10:
	s_delay_alu instid0(SALU_CYCLE_1)
	s_or_b32 exec_lo, exec_lo, s4
	v_mov_b32_e32 v1, 0
	;;#ASMSTART
	v_max_f32 v4, v2, v2 quad_perm:[1,0,3,2] row_mask:0xf bank_mask:0xf bound_ctrl:1
	;;#ASMEND
	;;#ASMSTART
	v_max_f32 v2, v4, v4 quad_perm:[2,3,0,1] row_mask:0xf bank_mask:0xf bound_ctrl:1
	;;#ASMEND
	;;#ASMSTART
	v_max_f32 v4, v2, v2 row_half_mirror row_mask:0xf bank_mask:0xf bound_ctrl:1
	;;#ASMEND
	;;#ASMSTART
	v_max_f32 v2, v4, v4 row_mirror row_mask:0xf bank_mask:0xf bound_ctrl:1
	;;#ASMEND
	s_and_saveexec_b32 s4, vcc_lo
	s_cbranch_execz .LBB289_14
; %bb.11:
	s_load_b32 s3, s[0:1], 0x44
	s_mov_b32 s5, 0x76543210
	v_lshl_add_u32 v4, v0, 2, 0
	v_permlanex16_b32 v1, v2, s5, 0xfedcba98 op_sel:[1,1]
	v_mov_b32_e32 v5, v0
	s_mov_b32 s5, 0
	s_delay_alu instid0(VALU_DEP_2) | instskip(NEXT) | instid1(VALU_DEP_1)
	v_dual_max_f32 v2, v2, v2 :: v_dual_max_f32 v1, v1, v1
	v_dual_max_f32 v2, v2, v1 :: v_dual_mov_b32 v1, 0
	s_waitcnt lgkmcnt(0)
	s_and_b32 s16, s3, 0xffff
	s_delay_alu instid0(SALU_CYCLE_1)
	s_lshl_b32 s17, s16, 2
	.p2align	6
.LBB289_12:                             ; =>This Inner Loop Header: Depth=1
	ds_load_b32 v6, v4
	s_waitcnt lgkmcnt(0)
	v_dual_sub_f32 v6, v6, v2 :: v_dual_add_nc_u32 v5, s16, v5
	s_delay_alu instid0(VALU_DEP_1) | instskip(NEXT) | instid1(VALU_DEP_1)
	v_mul_f32_e32 v7, 0x3fb8aa3b, v6
	v_cmp_gt_f32_e64 s3, 0xc2fc0000, v7
	s_delay_alu instid0(VALU_DEP_1) | instskip(NEXT) | instid1(VALU_DEP_1)
	v_cndmask_b32_e64 v7, 0, 0x42800000, s3
	v_fmac_f32_e32 v7, 0x3fb8aa3b, v6
	s_delay_alu instid0(VALU_DEP_1) | instskip(SKIP_2) | instid1(VALU_DEP_1)
	v_exp_f32_e32 v6, v7
	v_cndmask_b32_e64 v7, 1.0, 0x1f800000, s3
	v_cmp_le_i32_e64 s3, s12, v5
	s_or_b32 s5, s3, s5
	s_waitcnt_depctr 0xfff
	v_mul_f32_e32 v8, v6, v7
	v_fmac_f32_e32 v1, v6, v7
	ds_store_b32 v4, v8
	v_add_nc_u32_e32 v4, s17, v4
	s_and_not1_b32 exec_lo, exec_lo, s5
	s_cbranch_execnz .LBB289_12
; %bb.13:
	s_or_b32 exec_lo, exec_lo, s5
.LBB289_14:
	s_delay_alu instid0(SALU_CYCLE_1) | instskip(SKIP_1) | instid1(VALU_DEP_1)
	s_or_b32 exec_lo, exec_lo, s4
	v_mov_b32_dpp v2, v1 quad_perm:[1,0,3,2] row_mask:0xf bank_mask:0xf
	v_add_f32_e32 v1, v1, v2
	s_delay_alu instid0(VALU_DEP_1) | instskip(NEXT) | instid1(VALU_DEP_1)
	v_mov_b32_dpp v2, v1 quad_perm:[2,3,0,1] row_mask:0xf bank_mask:0xf
	v_add_f32_e32 v1, v1, v2
	s_delay_alu instid0(VALU_DEP_1) | instskip(NEXT) | instid1(VALU_DEP_1)
	v_mov_b32_dpp v2, v1 row_xmask:7 row_mask:0xf bank_mask:0xf
	v_add_f32_e32 v1, v1, v2
	s_delay_alu instid0(VALU_DEP_1)
	v_mov_b32_dpp v2, v1 row_xmask:15 row_mask:0xf bank_mask:0xf
	s_and_saveexec_b32 s3, vcc_lo
	s_cbranch_execz .LBB289_19
; %bb.15:
	s_delay_alu instid0(VALU_DEP_1)
	v_add_f32_e32 v1, v1, v2
	s_load_b32 s5, s[0:1], 0x44
	s_mov_b32 s4, 0x76543210
	s_cmp_lg_u64 s[6:7], 0
	v_lshl_add_u32 v5, v0, 2, 0
	v_permlanex16_b32 v2, v1, s4, 0xfedcba98 op_sel:[1,1]
	s_cselect_b32 s4, -1, 0
	s_mov_b32 s16, 0
	s_delay_alu instid0(VALU_DEP_1) | instskip(NEXT) | instid1(VALU_DEP_1)
	v_add_f32_e32 v1, v1, v2
	v_rcp_f32_e32 v4, v1
	v_mov_b32_e32 v1, v0
	s_waitcnt lgkmcnt(0)
	s_and_b32 s5, s5, 0xffff
	s_delay_alu instid0(SALU_CYCLE_1)
	s_lshl_b32 s17, s5, 2
	s_set_inst_prefetch_distance 0x1
	s_branch .LBB289_17
	.p2align	6
.LBB289_16:                             ;   in Loop: Header=BB289_17 Depth=1
	v_add_nc_u32_e32 v1, s5, v1
	v_add_nc_u32_e32 v5, s17, v5
	s_delay_alu instid0(VALU_DEP_2) | instskip(SKIP_1) | instid1(SALU_CYCLE_1)
	v_cmp_le_i32_e32 vcc_lo, s12, v1
	s_or_b32 s16, vcc_lo, s16
	s_and_not1_b32 exec_lo, exec_lo, s16
	s_cbranch_execz .LBB289_19
.LBB289_17:                             ; =>This Inner Loop Header: Depth=1
	ds_load_b32 v2, v5
	s_and_not1_b32 vcc_lo, exec_lo, s4
	s_waitcnt lgkmcnt(0)
	v_mul_f32_e32 v6, v4, v2
	ds_store_b32 v5, v6
	s_cbranch_vccnz .LBB289_16
; %bb.18:                               ;   in Loop: Header=BB289_17 Depth=1
	v_ashrrev_i32_e32 v2, 31, v1
	s_delay_alu instid0(VALU_DEP_1) | instskip(NEXT) | instid1(VALU_DEP_1)
	v_lshlrev_b64 v[7:8], 1, v[1:2]
	v_add_co_u32 v7, vcc_lo, s6, v7
	s_delay_alu instid0(VALU_DEP_2) | instskip(SKIP_3) | instid1(VALU_DEP_1)
	v_add_co_ci_u32_e32 v8, vcc_lo, s7, v8, vcc_lo
	global_load_u16 v2, v[7:8], off
	s_waitcnt vmcnt(0)
	v_lshlrev_b32_e32 v2, 16, v2
	v_add_f32_e32 v2, v6, v2
	ds_store_b32 v5, v2
	s_branch .LBB289_16
.LBB289_19:
	s_set_inst_prefetch_distance 0x2
	s_or_b32 exec_lo, exec_lo, s3
	v_mov_b32_e32 v2, 0
	s_cmp_lt_i32 s13, 1
	s_waitcnt lgkmcnt(0)
	s_barrier
	buffer_gl0_inv
	s_cbranch_scc1 .LBB289_28
; %bb.20:
	s_add_u32 s4, s0, 56
	s_addc_u32 s5, s1, 0
	v_dual_mov_b32 v2, 0 :: v_dual_lshlrev_b32 v5, 1, v0
	v_dual_mov_b32 v6, 0 :: v_dual_mov_b32 v7, 0xff800000
	v_dual_mov_b32 v1, 0 :: v_dual_mov_b32 v4, 0
	s_cmp_lg_u64 s[6:7], 0
	s_mov_b32 s18, 0
	s_cselect_b32 s12, -1, 0
	s_mov_b32 s19, 0x76543210
	s_branch .LBB289_22
.LBB289_21:                             ;   in Loop: Header=BB289_22 Depth=1
	v_cmp_eq_u32_e32 vcc_lo, s18, v0
	s_delay_alu instid0(VALU_DEP_2) | instskip(NEXT) | instid1(VALU_DEP_2)
	s_lshl_b32 s3, s16, 2
	v_add_f32_e32 v4, v4, v10
	s_add_i32 s3, s3, 0
	s_add_i32 s18, s18, 1
	v_cndmask_b32_e64 v1, v1, s16, vcc_lo
	v_mov_b32_e32 v8, s3
	v_cndmask_b32_e32 v2, v2, v10, vcc_lo
	s_cmp_eq_u32 s18, s13
	ds_store_b32 v8, v7
	s_cbranch_scc1 .LBB289_29
.LBB289_22:                             ; =>This Loop Header: Depth=1
                                        ;     Child Loop BB289_24 Depth 2
	v_dual_mov_b32 v8, s18 :: v_dual_mov_b32 v9, 0xff800000
	s_and_saveexec_b32 s16, s2
	s_cbranch_execz .LBB289_26
; %bb.23:                               ;   in Loop: Header=BB289_22 Depth=1
	s_load_b32 s3, s[4:5], 0xc
	v_dual_mov_b32 v8, s18 :: v_dual_mov_b32 v9, 0xff800000
	v_dual_mov_b32 v10, v3 :: v_dual_mov_b32 v11, v5
	v_mov_b32_e32 v12, v0
	s_mov_b32 s21, 0
	s_waitcnt lgkmcnt(0)
	s_and_b32 s17, s3, 0xffff
	s_delay_alu instid0(SALU_CYCLE_1)
	s_lshl_b32 s20, s17, 1
	s_lshl_b32 s22, s17, 3
	.p2align	6
.LBB289_24:                             ;   Parent Loop BB289_22 Depth=1
                                        ; =>  This Inner Loop Header: Depth=2
	ds_load_b64 v[13:14], v10
	v_add_nc_u32_e32 v10, s22, v10
	v_add_nc_u32_e32 v12, s17, v12
	s_delay_alu instid0(VALU_DEP_1) | instskip(NEXT) | instid1(VALU_DEP_1)
	v_cmp_le_i32_e64 s3, s14, v12
	s_or_b32 s21, s3, s21
	s_waitcnt lgkmcnt(0)
	v_cmp_gt_f32_e32 vcc_lo, v13, v9
	v_cndmask_b32_e32 v9, v9, v13, vcc_lo
	v_add_nc_u32_e32 v13, 1, v11
	v_cndmask_b32_e32 v8, v8, v11, vcc_lo
	s_delay_alu instid0(VALU_DEP_3) | instskip(SKIP_1) | instid1(VALU_DEP_3)
	v_cmp_gt_f32_e32 vcc_lo, v14, v9
	v_cndmask_b32_e32 v9, v9, v14, vcc_lo
	v_dual_cndmask_b32 v8, v8, v13 :: v_dual_add_nc_u32 v11, s20, v11
	s_and_not1_b32 exec_lo, exec_lo, s21
	s_cbranch_execnz .LBB289_24
; %bb.25:                               ;   in Loop: Header=BB289_22 Depth=1
	s_or_b32 exec_lo, exec_lo, s21
.LBB289_26:                             ;   in Loop: Header=BB289_22 Depth=1
	s_delay_alu instid0(SALU_CYCLE_1)
	s_or_b32 exec_lo, exec_lo, s16
	;;#ASMSTART
	v_max_f32 v10, v9, v9 quad_perm:[1,0,3,2] row_mask:0xf bank_mask:0xf bound_ctrl:1
	;;#ASMEND
	;;#ASMSTART
	v_max_f32 v11, v10, v10 quad_perm:[2,3,0,1] row_mask:0xf bank_mask:0xf bound_ctrl:1
	;;#ASMEND
	;;#ASMSTART
	v_max_f32 v10, v11, v11 row_half_mirror row_mask:0xf bank_mask:0xf bound_ctrl:1
	;;#ASMEND
	;;#ASMSTART
	v_max_f32 v11, v10, v10 row_mirror row_mask:0xf bank_mask:0xf bound_ctrl:1
	;;#ASMEND
	v_permlanex16_b32 v10, v11, s19, 0xfedcba98 op_sel:[1,1]
	s_delay_alu instid0(VALU_DEP_1) | instskip(NEXT) | instid1(VALU_DEP_1)
	v_dual_max_f32 v11, v11, v11 :: v_dual_max_f32 v10, v10, v10
	v_max_f32_e32 v10, v11, v10
	s_delay_alu instid0(VALU_DEP_1)
	v_cmp_eq_f32_e32 vcc_lo, v9, v10
	s_ctz_i32_b32 s3, vcc_lo
	s_cmp_lg_u32 vcc_lo, 0
	s_cselect_b32 s3, s3, 0
	s_and_b32 vcc_lo, exec_lo, s12
	v_readlane_b32 s16, v8, s3
	s_cbranch_vccz .LBB289_21
; %bb.27:                               ;   in Loop: Header=BB289_22 Depth=1
	s_delay_alu instid0(VALU_DEP_1) | instskip(NEXT) | instid1(SALU_CYCLE_1)
	s_ashr_i32 s17, s16, 31
	s_lshl_b64 s[20:21], s[16:17], 1
	s_delay_alu instid0(SALU_CYCLE_1) | instskip(SKIP_4) | instid1(VALU_DEP_1)
	s_add_u32 s20, s6, s20
	s_addc_u32 s21, s7, s21
	global_load_u16 v8, v6, s[20:21]
	s_waitcnt vmcnt(0)
	v_lshlrev_b32_e32 v8, 16, v8
	v_sub_f32_e32 v10, v10, v8
	s_branch .LBB289_21
.LBB289_28:
	v_dual_mov_b32 v1, 0 :: v_dual_mov_b32 v4, 0
.LBB289_29:
	s_mov_b32 s2, exec_lo
	v_cmpx_gt_i32_e64 s13, v0
	s_cbranch_execz .LBB289_32
; %bb.30:
	s_clause 0x1
	s_load_b32 s2, s[0:1], 0x34
	s_load_b32 s3, s[0:1], 0x44
	v_max_f32_e32 v3, v4, v4
	s_load_b64 s[0:1], s[0:1], 0x20
	s_ashr_i32 s4, s15, 31
	s_delay_alu instid0(VALU_DEP_1) | instskip(SKIP_1) | instid1(VALU_DEP_1)
	v_max_f32_e32 v3, 0x1e3ce508, v3
	s_waitcnt lgkmcnt(0)
	v_div_scale_f32 v4, null, v3, v3, s2
	v_div_scale_f32 v7, vcc_lo, s2, v3, s2
	s_mul_i32 s1, s15, s1
	s_delay_alu instid0(VALU_DEP_2) | instskip(SKIP_4) | instid1(VALU_DEP_1)
	v_rcp_f32_e32 v5, v4
	s_mul_i32 s4, s4, s0
	s_and_b32 s3, s3, 0xffff
	s_waitcnt_depctr 0xfff
	v_fma_f32 v6, -v4, v5, 1.0
	v_fmac_f32_e32 v5, v6, v5
	s_delay_alu instid0(VALU_DEP_1) | instskip(NEXT) | instid1(VALU_DEP_1)
	v_mul_f32_e32 v6, v7, v5
	v_fma_f32 v8, -v4, v6, v7
	s_delay_alu instid0(VALU_DEP_1) | instskip(NEXT) | instid1(VALU_DEP_1)
	v_fmac_f32_e32 v6, v8, v5
	v_fma_f32 v4, -v4, v6, v7
	s_delay_alu instid0(VALU_DEP_1) | instskip(NEXT) | instid1(VALU_DEP_1)
	v_div_fmas_f32 v4, v4, v5, v6
	v_div_fixup_f32 v3, v4, v3, s2
	s_mul_hi_u32 s2, s15, s0
	s_delay_alu instid0(SALU_CYCLE_1) | instskip(SKIP_1) | instid1(VALU_DEP_1)
	s_add_i32 s1, s2, s1
	s_mul_i32 s2, s15, s0
	v_mul_f32_e32 v2, v2, v3
	s_add_i32 s1, s1, s4
	s_mov_b32 s4, 0
	.p2align	6
.LBB289_31:                             ; =>This Inner Loop Header: Depth=1
	v_ashrrev_i32_e32 v4, 31, v0
	v_add_co_u32 v3, vcc_lo, s2, v0
	v_add_nc_u32_e32 v0, s3, v0
	s_delay_alu instid0(VALU_DEP_3) | instskip(NEXT) | instid1(VALU_DEP_2)
	v_add_co_ci_u32_e32 v4, vcc_lo, s1, v4, vcc_lo
	v_cmp_le_i32_e32 vcc_lo, s13, v0
	s_delay_alu instid0(VALU_DEP_2) | instskip(SKIP_1) | instid1(VALU_DEP_1)
	v_lshlrev_b64 v[3:4], 2, v[3:4]
	s_or_b32 s4, vcc_lo, s4
	v_add_co_u32 v5, s0, s8, v3
	s_delay_alu instid0(VALU_DEP_1) | instskip(SKIP_1) | instid1(VALU_DEP_1)
	v_add_co_ci_u32_e64 v6, s0, s9, v4, s0
	v_add_co_u32 v3, s0, s10, v3
	v_add_co_ci_u32_e64 v4, s0, s11, v4, s0
	global_store_b32 v[5:6], v2, off
	global_store_b32 v[3:4], v1, off
	s_and_not1_b32 exec_lo, exec_lo, s4
	s_cbranch_execnz .LBB289_31
.LBB289_32:
	s_nop 0
	s_sendmsg sendmsg(MSG_DEALLOC_VGPRS)
	s_endpgm
	.section	.rodata,"a",@progbits
	.p2align	6, 0x0
	.amdhsa_kernel _ZN5aiter20topk_softplus_kernelI12hip_bfloat16S1_Dv2_fLb1ELi2EEEvPKT_PKT0_PfPimiiif
		.amdhsa_group_segment_fixed_size 0
		.amdhsa_private_segment_fixed_size 0
		.amdhsa_kernarg_size 312
		.amdhsa_user_sgpr_count 15
		.amdhsa_user_sgpr_dispatch_ptr 0
		.amdhsa_user_sgpr_queue_ptr 0
		.amdhsa_user_sgpr_kernarg_segment_ptr 1
		.amdhsa_user_sgpr_dispatch_id 0
		.amdhsa_user_sgpr_private_segment_size 0
		.amdhsa_wavefront_size32 1
		.amdhsa_uses_dynamic_stack 0
		.amdhsa_enable_private_segment 0
		.amdhsa_system_sgpr_workgroup_id_x 1
		.amdhsa_system_sgpr_workgroup_id_y 0
		.amdhsa_system_sgpr_workgroup_id_z 0
		.amdhsa_system_sgpr_workgroup_info 0
		.amdhsa_system_vgpr_workitem_id 0
		.amdhsa_next_free_vgpr 15
		.amdhsa_next_free_sgpr 23
		.amdhsa_reserve_vcc 1
		.amdhsa_float_round_mode_32 0
		.amdhsa_float_round_mode_16_64 0
		.amdhsa_float_denorm_mode_32 3
		.amdhsa_float_denorm_mode_16_64 3
		.amdhsa_dx10_clamp 1
		.amdhsa_ieee_mode 1
		.amdhsa_fp16_overflow 0
		.amdhsa_workgroup_processor_mode 1
		.amdhsa_memory_ordered 1
		.amdhsa_forward_progress 0
		.amdhsa_shared_vgpr_count 0
		.amdhsa_exception_fp_ieee_invalid_op 0
		.amdhsa_exception_fp_denorm_src 0
		.amdhsa_exception_fp_ieee_div_zero 0
		.amdhsa_exception_fp_ieee_overflow 0
		.amdhsa_exception_fp_ieee_underflow 0
		.amdhsa_exception_fp_ieee_inexact 0
		.amdhsa_exception_int_div_zero 0
	.end_amdhsa_kernel
	.section	.text._ZN5aiter20topk_softplus_kernelI12hip_bfloat16S1_Dv2_fLb1ELi2EEEvPKT_PKT0_PfPimiiif,"axG",@progbits,_ZN5aiter20topk_softplus_kernelI12hip_bfloat16S1_Dv2_fLb1ELi2EEEvPKT_PKT0_PfPimiiif,comdat
.Lfunc_end289:
	.size	_ZN5aiter20topk_softplus_kernelI12hip_bfloat16S1_Dv2_fLb1ELi2EEEvPKT_PKT0_PfPimiiif, .Lfunc_end289-_ZN5aiter20topk_softplus_kernelI12hip_bfloat16S1_Dv2_fLb1ELi2EEEvPKT_PKT0_PfPimiiif
                                        ; -- End function
	.section	.AMDGPU.csdata,"",@progbits
; Kernel info:
; codeLenInByte = 2028
; NumSgprs: 25
; NumVgprs: 15
; ScratchSize: 0
; MemoryBound: 0
; FloatMode: 240
; IeeeMode: 1
; LDSByteSize: 0 bytes/workgroup (compile time only)
; SGPRBlocks: 3
; VGPRBlocks: 1
; NumSGPRsForWavesPerEU: 25
; NumVGPRsForWavesPerEU: 15
; Occupancy: 16
; WaveLimiterHint : 0
; COMPUTE_PGM_RSRC2:SCRATCH_EN: 0
; COMPUTE_PGM_RSRC2:USER_SGPR: 15
; COMPUTE_PGM_RSRC2:TRAP_HANDLER: 0
; COMPUTE_PGM_RSRC2:TGID_X_EN: 1
; COMPUTE_PGM_RSRC2:TGID_Y_EN: 0
; COMPUTE_PGM_RSRC2:TGID_Z_EN: 0
; COMPUTE_PGM_RSRC2:TIDIG_COMP_CNT: 0
	.section	.text._ZN5aiter20topk_softplus_kernelI12hip_bfloat16S1_Dv2_fLb0ELi2EEEvPKT_PKT0_PfPimiiif,"axG",@progbits,_ZN5aiter20topk_softplus_kernelI12hip_bfloat16S1_Dv2_fLb0ELi2EEEvPKT_PKT0_PfPimiiif,comdat
	.protected	_ZN5aiter20topk_softplus_kernelI12hip_bfloat16S1_Dv2_fLb0ELi2EEEvPKT_PKT0_PfPimiiif ; -- Begin function _ZN5aiter20topk_softplus_kernelI12hip_bfloat16S1_Dv2_fLb0ELi2EEEvPKT_PKT0_PfPimiiif
	.globl	_ZN5aiter20topk_softplus_kernelI12hip_bfloat16S1_Dv2_fLb0ELi2EEEvPKT_PKT0_PfPimiiif
	.p2align	8
	.type	_ZN5aiter20topk_softplus_kernelI12hip_bfloat16S1_Dv2_fLb0ELi2EEEvPKT_PKT0_PfPimiiif,@function
_ZN5aiter20topk_softplus_kernelI12hip_bfloat16S1_Dv2_fLb0ELi2EEEvPKT_PKT0_PfPimiiif: ; @_ZN5aiter20topk_softplus_kernelI12hip_bfloat16S1_Dv2_fLb0ELi2EEEvPKT_PKT0_PfPimiiif
; %bb.0:
	s_clause 0x1
	s_load_b64 s[12:13], s[0:1], 0x28
	s_load_b256 s[4:11], s[0:1], 0x0
	v_lshl_add_u32 v3, v0, 3, 0
	s_waitcnt lgkmcnt(0)
	s_lshr_b32 s2, s12, 31
	s_mul_i32 s16, s15, s12
	s_add_i32 s2, s12, s2
	s_ashr_i32 s17, s16, 31
	s_ashr_i32 s14, s2, 1
	s_delay_alu instid0(SALU_CYCLE_1) | instskip(NEXT) | instid1(VALU_DEP_1)
	v_cmp_gt_i32_e64 s2, s14, v0
	s_and_saveexec_b32 s18, s2
	s_cbranch_execz .LBB290_3
; %bb.1:
	s_load_b32 s3, s[0:1], 0x44
	v_lshlrev_b32_e32 v1, 2, v0
	s_lshl_b64 s[20:21], s[16:17], 1
	v_lshl_add_u32 v4, v0, 3, 0
	v_mov_b32_e32 v5, v0
	s_waitcnt lgkmcnt(0)
	s_and_b32 s19, s3, 0xffff
	s_add_u32 s3, s4, s20
	s_addc_u32 s20, s5, s21
	v_add_co_u32 v1, s3, s3, v1
	s_delay_alu instid0(VALU_DEP_1)
	v_add_co_ci_u32_e64 v2, null, s20, 0, s3
	s_mov_b32 s20, 0
	s_lshl_b32 s21, s19, 2
	s_lshl_b32 s22, s19, 3
	.p2align	6
.LBB290_2:                              ; =>This Inner Loop Header: Depth=1
	global_load_b32 v6, v[1:2], off
	v_add_nc_u32_e32 v5, s19, v5
	v_add_co_u32 v1, vcc_lo, v1, s21
	v_add_co_ci_u32_e32 v2, vcc_lo, 0, v2, vcc_lo
	s_delay_alu instid0(VALU_DEP_3) | instskip(NEXT) | instid1(VALU_DEP_1)
	v_cmp_le_i32_e64 s3, s14, v5
	s_or_b32 s20, s3, s20
	s_waitcnt vmcnt(0)
	v_lshrrev_b32_e32 v7, 16, v6
	v_and_b32_e32 v6, 0xffff, v6
	s_delay_alu instid0(VALU_DEP_2) | instskip(NEXT) | instid1(VALU_DEP_2)
	v_cvt_f32_u32_e32 v7, v7
	v_cvt_f32_u32_e32 v6, v6
	ds_store_b64 v4, v[6:7]
	v_add_nc_u32_e32 v4, s22, v4
	s_and_not1_b32 exec_lo, exec_lo, s20
	s_cbranch_execnz .LBB290_2
.LBB290_3:
	s_or_b32 exec_lo, exec_lo, s18
	v_lshl_add_u32 v1, s14, 1, v0
	s_mov_b32 s3, exec_lo
	s_delay_alu instid0(VALU_DEP_1)
	v_cmpx_gt_i32_e64 s12, v1
	s_cbranch_execz .LBB290_6
; %bb.4:
	s_load_b32 s18, s[0:1], 0x44
	s_lshl_b64 s[16:17], s[16:17], 1
	v_lshlrev_b32_e32 v2, 2, v0
	s_add_u32 s4, s4, s16
	s_addc_u32 s5, s5, s17
	s_lshl_b32 s16, s14, 3
	s_mov_b32 s17, 0
	v_add3_u32 v4, 0, s16, v2
	s_waitcnt lgkmcnt(0)
	s_and_b32 s16, s18, 0xffff
	s_delay_alu instid0(SALU_CYCLE_1)
	s_lshl_b32 s18, s16, 2
	.p2align	6
.LBB290_5:                              ; =>This Inner Loop Header: Depth=1
	v_ashrrev_i32_e32 v2, 31, v1
	s_delay_alu instid0(VALU_DEP_1) | instskip(SKIP_1) | instid1(VALU_DEP_2)
	v_lshlrev_b64 v[5:6], 1, v[1:2]
	v_add_nc_u32_e32 v1, s16, v1
	v_add_co_u32 v5, vcc_lo, s4, v5
	s_delay_alu instid0(VALU_DEP_3) | instskip(NEXT) | instid1(VALU_DEP_3)
	v_add_co_ci_u32_e32 v6, vcc_lo, s5, v6, vcc_lo
	v_cmp_le_i32_e32 vcc_lo, s12, v1
	global_load_u16 v2, v[5:6], off
	s_or_b32 s17, vcc_lo, s17
	s_waitcnt vmcnt(0)
	v_lshlrev_b32_e32 v2, 16, v2
	ds_store_b32 v4, v2
	v_add_nc_u32_e32 v4, s18, v4
	s_and_not1_b32 exec_lo, exec_lo, s17
	s_cbranch_execnz .LBB290_5
.LBB290_6:
	s_or_b32 exec_lo, exec_lo, s3
	v_cmp_gt_i32_e32 vcc_lo, s12, v0
	v_mov_b32_e32 v2, 0xff800000
	s_waitcnt lgkmcnt(0)
	s_barrier
	buffer_gl0_inv
	s_and_saveexec_b32 s4, vcc_lo
	s_cbranch_execz .LBB290_10
; %bb.7:
	s_load_b32 s3, s[0:1], 0x44
	v_lshl_add_u32 v1, v0, 2, 0
	v_mov_b32_e32 v2, 0xff800000
	v_mov_b32_e32 v4, v0
	s_mov_b32 s5, 0
	s_waitcnt lgkmcnt(0)
	s_and_b32 s16, s3, 0xffff
	s_delay_alu instid0(SALU_CYCLE_1)
	s_lshl_b32 s17, s16, 2
.LBB290_8:                              ; =>This Inner Loop Header: Depth=1
	ds_load_b32 v5, v1
	v_add_nc_u32_e32 v4, s16, v4
	v_dual_max_f32 v2, v2, v2 :: v_dual_add_nc_u32 v1, s17, v1
	s_waitcnt lgkmcnt(0)
	v_max_f32_e32 v5, v5, v5
	s_delay_alu instid0(VALU_DEP_3) | instskip(NEXT) | instid1(VALU_DEP_2)
	v_cmp_le_i32_e64 s3, s12, v4
	v_max_f32_e32 v2, v2, v5
	s_delay_alu instid0(VALU_DEP_2) | instskip(NEXT) | instid1(SALU_CYCLE_1)
	s_or_b32 s5, s3, s5
	s_and_not1_b32 exec_lo, exec_lo, s5
	s_cbranch_execnz .LBB290_8
; %bb.9:
	s_or_b32 exec_lo, exec_lo, s5
.LBB290_10:
	s_delay_alu instid0(SALU_CYCLE_1)
	s_or_b32 exec_lo, exec_lo, s4
	v_mov_b32_e32 v1, 0
	;;#ASMSTART
	v_max_f32 v4, v2, v2 quad_perm:[1,0,3,2] row_mask:0xf bank_mask:0xf bound_ctrl:1
	;;#ASMEND
	;;#ASMSTART
	v_max_f32 v2, v4, v4 quad_perm:[2,3,0,1] row_mask:0xf bank_mask:0xf bound_ctrl:1
	;;#ASMEND
	;;#ASMSTART
	v_max_f32 v4, v2, v2 row_half_mirror row_mask:0xf bank_mask:0xf bound_ctrl:1
	;;#ASMEND
	;;#ASMSTART
	v_max_f32 v2, v4, v4 row_mirror row_mask:0xf bank_mask:0xf bound_ctrl:1
	;;#ASMEND
	s_and_saveexec_b32 s4, vcc_lo
	s_cbranch_execz .LBB290_14
; %bb.11:
	s_load_b32 s3, s[0:1], 0x44
	s_mov_b32 s5, 0x76543210
	v_lshl_add_u32 v4, v0, 2, 0
	v_permlanex16_b32 v1, v2, s5, 0xfedcba98 op_sel:[1,1]
	v_mov_b32_e32 v5, v0
	s_mov_b32 s5, 0
	s_delay_alu instid0(VALU_DEP_2) | instskip(NEXT) | instid1(VALU_DEP_1)
	v_dual_max_f32 v2, v2, v2 :: v_dual_max_f32 v1, v1, v1
	v_dual_max_f32 v2, v2, v1 :: v_dual_mov_b32 v1, 0
	s_waitcnt lgkmcnt(0)
	s_and_b32 s16, s3, 0xffff
	s_delay_alu instid0(SALU_CYCLE_1)
	s_lshl_b32 s17, s16, 2
	.p2align	6
.LBB290_12:                             ; =>This Inner Loop Header: Depth=1
	ds_load_b32 v6, v4
	s_waitcnt lgkmcnt(0)
	v_dual_sub_f32 v6, v6, v2 :: v_dual_add_nc_u32 v5, s16, v5
	s_delay_alu instid0(VALU_DEP_1) | instskip(NEXT) | instid1(VALU_DEP_1)
	v_mul_f32_e32 v7, 0x3fb8aa3b, v6
	v_cmp_gt_f32_e64 s3, 0xc2fc0000, v7
	s_delay_alu instid0(VALU_DEP_1) | instskip(NEXT) | instid1(VALU_DEP_1)
	v_cndmask_b32_e64 v7, 0, 0x42800000, s3
	v_fmac_f32_e32 v7, 0x3fb8aa3b, v6
	s_delay_alu instid0(VALU_DEP_1) | instskip(SKIP_2) | instid1(VALU_DEP_1)
	v_exp_f32_e32 v6, v7
	v_cndmask_b32_e64 v7, 1.0, 0x1f800000, s3
	v_cmp_le_i32_e64 s3, s12, v5
	s_or_b32 s5, s3, s5
	s_waitcnt_depctr 0xfff
	v_mul_f32_e32 v8, v6, v7
	v_fmac_f32_e32 v1, v6, v7
	ds_store_b32 v4, v8
	v_add_nc_u32_e32 v4, s17, v4
	s_and_not1_b32 exec_lo, exec_lo, s5
	s_cbranch_execnz .LBB290_12
; %bb.13:
	s_or_b32 exec_lo, exec_lo, s5
.LBB290_14:
	s_delay_alu instid0(SALU_CYCLE_1) | instskip(SKIP_1) | instid1(VALU_DEP_1)
	s_or_b32 exec_lo, exec_lo, s4
	v_mov_b32_dpp v2, v1 quad_perm:[1,0,3,2] row_mask:0xf bank_mask:0xf
	v_add_f32_e32 v1, v1, v2
	s_delay_alu instid0(VALU_DEP_1) | instskip(NEXT) | instid1(VALU_DEP_1)
	v_mov_b32_dpp v2, v1 quad_perm:[2,3,0,1] row_mask:0xf bank_mask:0xf
	v_add_f32_e32 v1, v1, v2
	s_delay_alu instid0(VALU_DEP_1) | instskip(NEXT) | instid1(VALU_DEP_1)
	v_mov_b32_dpp v2, v1 row_xmask:7 row_mask:0xf bank_mask:0xf
	v_add_f32_e32 v1, v1, v2
	s_delay_alu instid0(VALU_DEP_1)
	v_mov_b32_dpp v2, v1 row_xmask:15 row_mask:0xf bank_mask:0xf
	s_and_saveexec_b32 s3, vcc_lo
	s_cbranch_execz .LBB290_19
; %bb.15:
	s_delay_alu instid0(VALU_DEP_1)
	v_add_f32_e32 v1, v1, v2
	s_load_b32 s5, s[0:1], 0x44
	s_mov_b32 s4, 0x76543210
	s_cmp_lg_u64 s[6:7], 0
	v_lshl_add_u32 v5, v0, 2, 0
	v_permlanex16_b32 v2, v1, s4, 0xfedcba98 op_sel:[1,1]
	s_cselect_b32 s4, -1, 0
	s_mov_b32 s16, 0
	s_delay_alu instid0(VALU_DEP_1) | instskip(NEXT) | instid1(VALU_DEP_1)
	v_add_f32_e32 v1, v1, v2
	v_rcp_f32_e32 v4, v1
	v_mov_b32_e32 v1, v0
	s_waitcnt lgkmcnt(0)
	s_and_b32 s5, s5, 0xffff
	s_delay_alu instid0(SALU_CYCLE_1)
	s_lshl_b32 s17, s5, 2
	s_set_inst_prefetch_distance 0x1
	s_branch .LBB290_17
	.p2align	6
.LBB290_16:                             ;   in Loop: Header=BB290_17 Depth=1
	v_add_nc_u32_e32 v1, s5, v1
	v_add_nc_u32_e32 v5, s17, v5
	s_delay_alu instid0(VALU_DEP_2) | instskip(SKIP_1) | instid1(SALU_CYCLE_1)
	v_cmp_le_i32_e32 vcc_lo, s12, v1
	s_or_b32 s16, vcc_lo, s16
	s_and_not1_b32 exec_lo, exec_lo, s16
	s_cbranch_execz .LBB290_19
.LBB290_17:                             ; =>This Inner Loop Header: Depth=1
	ds_load_b32 v2, v5
	s_and_not1_b32 vcc_lo, exec_lo, s4
	s_waitcnt lgkmcnt(0)
	v_mul_f32_e32 v6, v4, v2
	ds_store_b32 v5, v6
	s_cbranch_vccnz .LBB290_16
; %bb.18:                               ;   in Loop: Header=BB290_17 Depth=1
	v_ashrrev_i32_e32 v2, 31, v1
	s_delay_alu instid0(VALU_DEP_1) | instskip(NEXT) | instid1(VALU_DEP_1)
	v_lshlrev_b64 v[7:8], 1, v[1:2]
	v_add_co_u32 v7, vcc_lo, s6, v7
	s_delay_alu instid0(VALU_DEP_2) | instskip(SKIP_3) | instid1(VALU_DEP_1)
	v_add_co_ci_u32_e32 v8, vcc_lo, s7, v8, vcc_lo
	global_load_u16 v2, v[7:8], off
	s_waitcnt vmcnt(0)
	v_lshlrev_b32_e32 v2, 16, v2
	v_add_f32_e32 v2, v6, v2
	ds_store_b32 v5, v2
	s_branch .LBB290_16
.LBB290_19:
	s_set_inst_prefetch_distance 0x2
	s_or_b32 exec_lo, exec_lo, s3
	s_cmp_lt_i32 s13, 1
	s_waitcnt lgkmcnt(0)
	s_barrier
	buffer_gl0_inv
	s_cbranch_scc1 .LBB290_28
; %bb.20:
	s_add_u32 s4, s0, 56
	s_addc_u32 s5, s1, 0
	v_dual_mov_b32 v5, 0 :: v_dual_lshlrev_b32 v4, 1, v0
	v_dual_mov_b32 v1, 0 :: v_dual_mov_b32 v6, 0xff800000
	v_mov_b32_e32 v2, 0
	s_cmp_lg_u64 s[6:7], 0
	s_mov_b32 s18, 0
	s_cselect_b32 s12, -1, 0
	s_mov_b32 s19, 0x76543210
	s_branch .LBB290_22
.LBB290_21:                             ;   in Loop: Header=BB290_22 Depth=1
	v_cmp_eq_u32_e32 vcc_lo, s18, v0
	s_delay_alu instid0(VALU_DEP_2)
	s_lshl_b32 s3, s16, 2
	s_add_i32 s18, s18, 1
	s_add_i32 s3, s3, 0
	s_cmp_eq_u32 s18, s13
	v_cndmask_b32_e64 v1, v1, s16, vcc_lo
	v_dual_mov_b32 v7, s3 :: v_dual_cndmask_b32 v2, v2, v9
	ds_store_b32 v7, v6
	s_cbranch_scc1 .LBB290_29
.LBB290_22:                             ; =>This Loop Header: Depth=1
                                        ;     Child Loop BB290_24 Depth 2
	v_dual_mov_b32 v7, s18 :: v_dual_mov_b32 v8, 0xff800000
	s_and_saveexec_b32 s16, s2
	s_cbranch_execz .LBB290_26
; %bb.23:                               ;   in Loop: Header=BB290_22 Depth=1
	s_load_b32 s3, s[4:5], 0xc
	v_dual_mov_b32 v7, s18 :: v_dual_mov_b32 v8, 0xff800000
	v_dual_mov_b32 v9, v3 :: v_dual_mov_b32 v10, v4
	v_mov_b32_e32 v11, v0
	s_mov_b32 s21, 0
	s_waitcnt lgkmcnt(0)
	s_and_b32 s17, s3, 0xffff
	s_delay_alu instid0(SALU_CYCLE_1)
	s_lshl_b32 s20, s17, 1
	s_lshl_b32 s22, s17, 3
	.p2align	6
.LBB290_24:                             ;   Parent Loop BB290_22 Depth=1
                                        ; =>  This Inner Loop Header: Depth=2
	ds_load_b64 v[12:13], v9
	v_add_nc_u32_e32 v9, s22, v9
	v_add_nc_u32_e32 v11, s17, v11
	s_delay_alu instid0(VALU_DEP_1) | instskip(NEXT) | instid1(VALU_DEP_1)
	v_cmp_le_i32_e64 s3, s14, v11
	s_or_b32 s21, s3, s21
	s_waitcnt lgkmcnt(0)
	v_cmp_gt_f32_e32 vcc_lo, v12, v8
	v_cndmask_b32_e32 v8, v8, v12, vcc_lo
	v_add_nc_u32_e32 v12, 1, v10
	v_cndmask_b32_e32 v7, v7, v10, vcc_lo
	s_delay_alu instid0(VALU_DEP_3) | instskip(SKIP_1) | instid1(VALU_DEP_3)
	v_cmp_gt_f32_e32 vcc_lo, v13, v8
	v_cndmask_b32_e32 v8, v8, v13, vcc_lo
	v_dual_cndmask_b32 v7, v7, v12 :: v_dual_add_nc_u32 v10, s20, v10
	s_and_not1_b32 exec_lo, exec_lo, s21
	s_cbranch_execnz .LBB290_24
; %bb.25:                               ;   in Loop: Header=BB290_22 Depth=1
	s_or_b32 exec_lo, exec_lo, s21
.LBB290_26:                             ;   in Loop: Header=BB290_22 Depth=1
	s_delay_alu instid0(SALU_CYCLE_1)
	s_or_b32 exec_lo, exec_lo, s16
	;;#ASMSTART
	v_max_f32 v9, v8, v8 quad_perm:[1,0,3,2] row_mask:0xf bank_mask:0xf bound_ctrl:1
	;;#ASMEND
	;;#ASMSTART
	v_max_f32 v10, v9, v9 quad_perm:[2,3,0,1] row_mask:0xf bank_mask:0xf bound_ctrl:1
	;;#ASMEND
	;;#ASMSTART
	v_max_f32 v9, v10, v10 row_half_mirror row_mask:0xf bank_mask:0xf bound_ctrl:1
	;;#ASMEND
	;;#ASMSTART
	v_max_f32 v10, v9, v9 row_mirror row_mask:0xf bank_mask:0xf bound_ctrl:1
	;;#ASMEND
	v_permlanex16_b32 v9, v10, s19, 0xfedcba98 op_sel:[1,1]
	s_delay_alu instid0(VALU_DEP_1) | instskip(NEXT) | instid1(VALU_DEP_1)
	v_dual_max_f32 v10, v10, v10 :: v_dual_max_f32 v9, v9, v9
	v_max_f32_e32 v9, v10, v9
	s_delay_alu instid0(VALU_DEP_1)
	v_cmp_eq_f32_e32 vcc_lo, v8, v9
	s_ctz_i32_b32 s3, vcc_lo
	s_cmp_lg_u32 vcc_lo, 0
	s_cselect_b32 s3, s3, 0
	s_and_b32 vcc_lo, exec_lo, s12
	v_readlane_b32 s16, v7, s3
	s_cbranch_vccz .LBB290_21
; %bb.27:                               ;   in Loop: Header=BB290_22 Depth=1
	s_delay_alu instid0(VALU_DEP_1) | instskip(NEXT) | instid1(SALU_CYCLE_1)
	s_ashr_i32 s17, s16, 31
	s_lshl_b64 s[20:21], s[16:17], 1
	s_delay_alu instid0(SALU_CYCLE_1) | instskip(SKIP_4) | instid1(VALU_DEP_1)
	s_add_u32 s20, s6, s20
	s_addc_u32 s21, s7, s21
	global_load_u16 v7, v5, s[20:21]
	s_waitcnt vmcnt(0)
	v_lshlrev_b32_e32 v7, 16, v7
	v_sub_f32_e32 v9, v9, v7
	s_branch .LBB290_21
.LBB290_28:
	v_dual_mov_b32 v2, 0 :: v_dual_mov_b32 v1, 0
.LBB290_29:
	s_mov_b32 s2, exec_lo
	v_cmpx_gt_i32_e64 s13, v0
	s_cbranch_execz .LBB290_32
; %bb.30:
	s_clause 0x2
	s_load_b32 s4, s[0:1], 0x34
	s_load_b64 s[2:3], s[0:1], 0x20
	s_load_b32 s0, s[0:1], 0x44
	s_ashr_i32 s1, s15, 31
	s_waitcnt lgkmcnt(0)
	v_mul_f32_e32 v2, s4, v2
	s_mul_i32 s3, s15, s3
	s_mul_hi_u32 s4, s15, s2
	s_mul_i32 s5, s1, s2
	s_add_i32 s3, s4, s3
	s_mul_i32 s1, s15, s2
	s_and_b32 s2, s0, 0xffff
	s_add_i32 s3, s3, s5
	s_mov_b32 s4, 0
	.p2align	6
.LBB290_31:                             ; =>This Inner Loop Header: Depth=1
	v_ashrrev_i32_e32 v4, 31, v0
	v_add_co_u32 v3, vcc_lo, s1, v0
	v_add_nc_u32_e32 v0, s2, v0
	s_delay_alu instid0(VALU_DEP_3) | instskip(NEXT) | instid1(VALU_DEP_2)
	v_add_co_ci_u32_e32 v4, vcc_lo, s3, v4, vcc_lo
	v_cmp_le_i32_e32 vcc_lo, s13, v0
	s_delay_alu instid0(VALU_DEP_2) | instskip(SKIP_1) | instid1(VALU_DEP_1)
	v_lshlrev_b64 v[3:4], 2, v[3:4]
	s_or_b32 s4, vcc_lo, s4
	v_add_co_u32 v5, s0, s8, v3
	s_delay_alu instid0(VALU_DEP_1) | instskip(SKIP_1) | instid1(VALU_DEP_1)
	v_add_co_ci_u32_e64 v6, s0, s9, v4, s0
	v_add_co_u32 v3, s0, s10, v3
	v_add_co_ci_u32_e64 v4, s0, s11, v4, s0
	global_store_b32 v[5:6], v2, off
	global_store_b32 v[3:4], v1, off
	s_and_not1_b32 exec_lo, exec_lo, s4
	s_cbranch_execnz .LBB290_31
.LBB290_32:
	s_nop 0
	s_sendmsg sendmsg(MSG_DEALLOC_VGPRS)
	s_endpgm
	.section	.rodata,"a",@progbits
	.p2align	6, 0x0
	.amdhsa_kernel _ZN5aiter20topk_softplus_kernelI12hip_bfloat16S1_Dv2_fLb0ELi2EEEvPKT_PKT0_PfPimiiif
		.amdhsa_group_segment_fixed_size 0
		.amdhsa_private_segment_fixed_size 0
		.amdhsa_kernarg_size 312
		.amdhsa_user_sgpr_count 15
		.amdhsa_user_sgpr_dispatch_ptr 0
		.amdhsa_user_sgpr_queue_ptr 0
		.amdhsa_user_sgpr_kernarg_segment_ptr 1
		.amdhsa_user_sgpr_dispatch_id 0
		.amdhsa_user_sgpr_private_segment_size 0
		.amdhsa_wavefront_size32 1
		.amdhsa_uses_dynamic_stack 0
		.amdhsa_enable_private_segment 0
		.amdhsa_system_sgpr_workgroup_id_x 1
		.amdhsa_system_sgpr_workgroup_id_y 0
		.amdhsa_system_sgpr_workgroup_id_z 0
		.amdhsa_system_sgpr_workgroup_info 0
		.amdhsa_system_vgpr_workitem_id 0
		.amdhsa_next_free_vgpr 14
		.amdhsa_next_free_sgpr 23
		.amdhsa_reserve_vcc 1
		.amdhsa_float_round_mode_32 0
		.amdhsa_float_round_mode_16_64 0
		.amdhsa_float_denorm_mode_32 3
		.amdhsa_float_denorm_mode_16_64 3
		.amdhsa_dx10_clamp 1
		.amdhsa_ieee_mode 1
		.amdhsa_fp16_overflow 0
		.amdhsa_workgroup_processor_mode 1
		.amdhsa_memory_ordered 1
		.amdhsa_forward_progress 0
		.amdhsa_shared_vgpr_count 0
		.amdhsa_exception_fp_ieee_invalid_op 0
		.amdhsa_exception_fp_denorm_src 0
		.amdhsa_exception_fp_ieee_div_zero 0
		.amdhsa_exception_fp_ieee_overflow 0
		.amdhsa_exception_fp_ieee_underflow 0
		.amdhsa_exception_fp_ieee_inexact 0
		.amdhsa_exception_int_div_zero 0
	.end_amdhsa_kernel
	.section	.text._ZN5aiter20topk_softplus_kernelI12hip_bfloat16S1_Dv2_fLb0ELi2EEEvPKT_PKT0_PfPimiiif,"axG",@progbits,_ZN5aiter20topk_softplus_kernelI12hip_bfloat16S1_Dv2_fLb0ELi2EEEvPKT_PKT0_PfPimiiif,comdat
.Lfunc_end290:
	.size	_ZN5aiter20topk_softplus_kernelI12hip_bfloat16S1_Dv2_fLb0ELi2EEEvPKT_PKT0_PfPimiiif, .Lfunc_end290-_ZN5aiter20topk_softplus_kernelI12hip_bfloat16S1_Dv2_fLb0ELi2EEEvPKT_PKT0_PfPimiiif
                                        ; -- End function
	.section	.AMDGPU.csdata,"",@progbits
; Kernel info:
; codeLenInByte = 1904
; NumSgprs: 25
; NumVgprs: 14
; ScratchSize: 0
; MemoryBound: 0
; FloatMode: 240
; IeeeMode: 1
; LDSByteSize: 0 bytes/workgroup (compile time only)
; SGPRBlocks: 3
; VGPRBlocks: 1
; NumSGPRsForWavesPerEU: 25
; NumVGPRsForWavesPerEU: 14
; Occupancy: 16
; WaveLimiterHint : 0
; COMPUTE_PGM_RSRC2:SCRATCH_EN: 0
; COMPUTE_PGM_RSRC2:USER_SGPR: 15
; COMPUTE_PGM_RSRC2:TRAP_HANDLER: 0
; COMPUTE_PGM_RSRC2:TGID_X_EN: 1
; COMPUTE_PGM_RSRC2:TGID_Y_EN: 0
; COMPUTE_PGM_RSRC2:TGID_Z_EN: 0
; COMPUTE_PGM_RSRC2:TIDIG_COMP_CNT: 0
	.section	.text._ZN5aiter20topk_softplus_kernelI12hip_bfloat16S1_Dv1_fLb1ELi2EEEvPKT_PKT0_PfPimiiif,"axG",@progbits,_ZN5aiter20topk_softplus_kernelI12hip_bfloat16S1_Dv1_fLb1ELi2EEEvPKT_PKT0_PfPimiiif,comdat
	.protected	_ZN5aiter20topk_softplus_kernelI12hip_bfloat16S1_Dv1_fLb1ELi2EEEvPKT_PKT0_PfPimiiif ; -- Begin function _ZN5aiter20topk_softplus_kernelI12hip_bfloat16S1_Dv1_fLb1ELi2EEEvPKT_PKT0_PfPimiiif
	.globl	_ZN5aiter20topk_softplus_kernelI12hip_bfloat16S1_Dv1_fLb1ELi2EEEvPKT_PKT0_PfPimiiif
	.p2align	8
	.type	_ZN5aiter20topk_softplus_kernelI12hip_bfloat16S1_Dv1_fLb1ELi2EEEvPKT_PKT0_PfPimiiif,@function
_ZN5aiter20topk_softplus_kernelI12hip_bfloat16S1_Dv1_fLb1ELi2EEEvPKT_PKT0_PfPimiiif: ; @_ZN5aiter20topk_softplus_kernelI12hip_bfloat16S1_Dv1_fLb1ELi2EEEvPKT_PKT0_PfPimiiif
; %bb.0:
	s_clause 0x1
	s_load_b64 s[12:13], s[0:1], 0x28
	s_load_b256 s[4:11], s[0:1], 0x0
	v_lshl_add_u32 v3, v0, 2, 0
	s_waitcnt lgkmcnt(0)
	s_mul_i32 s16, s15, s12
	v_cmp_gt_i32_e64 s2, s12, v0
	s_ashr_i32 s17, s16, 31
	s_delay_alu instid0(SALU_CYCLE_1) | instskip(NEXT) | instid1(SALU_CYCLE_1)
	s_lshl_b64 s[16:17], s[16:17], 1
	s_add_u32 s3, s4, s16
	s_addc_u32 s4, s5, s17
	s_and_saveexec_b32 s5, s2
	s_cbranch_execz .LBB291_3
; %bb.1:
	s_load_b32 s14, s[0:1], 0x44
	v_lshl_add_u32 v4, v0, 2, 0
	v_mov_b32_e32 v1, v0
	s_mov_b32 s16, 0
	s_waitcnt lgkmcnt(0)
	s_and_b32 s14, s14, 0xffff
	s_delay_alu instid0(SALU_CYCLE_1)
	s_lshl_b32 s17, s14, 2
	.p2align	6
.LBB291_2:                              ; =>This Inner Loop Header: Depth=1
	v_ashrrev_i32_e32 v2, 31, v1
	s_delay_alu instid0(VALU_DEP_1) | instskip(SKIP_1) | instid1(VALU_DEP_2)
	v_lshlrev_b64 v[5:6], 1, v[1:2]
	v_add_nc_u32_e32 v1, s14, v1
	v_add_co_u32 v5, vcc_lo, s3, v5
	s_delay_alu instid0(VALU_DEP_3) | instskip(NEXT) | instid1(VALU_DEP_3)
	v_add_co_ci_u32_e32 v6, vcc_lo, s4, v6, vcc_lo
	v_cmp_le_i32_e32 vcc_lo, s12, v1
	global_load_u16 v2, v[5:6], off
	s_or_b32 s16, vcc_lo, s16
	s_waitcnt vmcnt(0)
	v_cvt_f32_u32_e32 v2, v2
	ds_store_b32 v4, v2
	v_add_nc_u32_e32 v4, s17, v4
	s_and_not1_b32 exec_lo, exec_lo, s16
	s_cbranch_execnz .LBB291_2
.LBB291_3:
	s_or_b32 exec_lo, exec_lo, s5
	v_add_nc_u32_e32 v1, s12, v0
	s_mov_b32 s5, exec_lo
	s_delay_alu instid0(VALU_DEP_1)
	v_cmpx_gt_i32_e64 s12, v1
	s_cbranch_execz .LBB291_6
; %bb.4:
	s_load_b32 s14, s[0:1], 0x44
	v_lshl_add_u32 v4, v1, 2, 0
	s_mov_b32 s16, 0
	s_waitcnt lgkmcnt(0)
	s_and_b32 s14, s14, 0xffff
	s_delay_alu instid0(SALU_CYCLE_1)
	s_lshl_b32 s17, s14, 2
	.p2align	6
.LBB291_5:                              ; =>This Inner Loop Header: Depth=1
	v_ashrrev_i32_e32 v2, 31, v1
	s_delay_alu instid0(VALU_DEP_1) | instskip(SKIP_1) | instid1(VALU_DEP_2)
	v_lshlrev_b64 v[5:6], 1, v[1:2]
	v_add_nc_u32_e32 v1, s14, v1
	v_add_co_u32 v5, vcc_lo, s3, v5
	s_delay_alu instid0(VALU_DEP_3) | instskip(NEXT) | instid1(VALU_DEP_3)
	v_add_co_ci_u32_e32 v6, vcc_lo, s4, v6, vcc_lo
	v_cmp_le_i32_e32 vcc_lo, s12, v1
	global_load_u16 v2, v[5:6], off
	s_or_b32 s16, vcc_lo, s16
	s_waitcnt vmcnt(0)
	v_lshlrev_b32_e32 v2, 16, v2
	ds_store_b32 v4, v2
	v_add_nc_u32_e32 v4, s17, v4
	s_and_not1_b32 exec_lo, exec_lo, s16
	s_cbranch_execnz .LBB291_5
.LBB291_6:
	s_or_b32 exec_lo, exec_lo, s5
	v_mov_b32_e32 v2, 0xff800000
	s_waitcnt lgkmcnt(0)
	s_barrier
	buffer_gl0_inv
	s_and_saveexec_b32 s3, s2
	s_cbranch_execz .LBB291_10
; %bb.7:
	s_load_b32 s4, s[0:1], 0x44
	v_lshl_add_u32 v1, v0, 2, 0
	v_mov_b32_e32 v2, 0xff800000
	v_mov_b32_e32 v4, v0
	s_waitcnt lgkmcnt(0)
	s_and_b32 s5, s4, 0xffff
	s_mov_b32 s4, 0
	s_lshl_b32 s14, s5, 2
.LBB291_8:                              ; =>This Inner Loop Header: Depth=1
	ds_load_b32 v5, v1
	v_add_nc_u32_e32 v4, s5, v4
	v_dual_max_f32 v2, v2, v2 :: v_dual_add_nc_u32 v1, s14, v1
	s_waitcnt lgkmcnt(0)
	v_max_f32_e32 v5, v5, v5
	s_delay_alu instid0(VALU_DEP_3) | instskip(NEXT) | instid1(VALU_DEP_2)
	v_cmp_le_i32_e32 vcc_lo, s12, v4
	v_max_f32_e32 v2, v2, v5
	s_or_b32 s4, vcc_lo, s4
	s_delay_alu instid0(SALU_CYCLE_1)
	s_and_not1_b32 exec_lo, exec_lo, s4
	s_cbranch_execnz .LBB291_8
; %bb.9:
	s_or_b32 exec_lo, exec_lo, s4
.LBB291_10:
	s_delay_alu instid0(SALU_CYCLE_1)
	s_or_b32 exec_lo, exec_lo, s3
	v_mov_b32_e32 v1, 0
	;;#ASMSTART
	v_max_f32 v4, v2, v2 quad_perm:[1,0,3,2] row_mask:0xf bank_mask:0xf bound_ctrl:1
	;;#ASMEND
	;;#ASMSTART
	v_max_f32 v2, v4, v4 quad_perm:[2,3,0,1] row_mask:0xf bank_mask:0xf bound_ctrl:1
	;;#ASMEND
	;;#ASMSTART
	v_max_f32 v4, v2, v2 row_half_mirror row_mask:0xf bank_mask:0xf bound_ctrl:1
	;;#ASMEND
	;;#ASMSTART
	v_max_f32 v2, v4, v4 row_mirror row_mask:0xf bank_mask:0xf bound_ctrl:1
	;;#ASMEND
	s_and_saveexec_b32 s3, s2
	s_cbranch_execz .LBB291_14
; %bb.11:
	s_load_b32 s4, s[0:1], 0x44
	s_mov_b32 s5, 0x76543210
	v_lshl_add_u32 v4, v0, 2, 0
	v_permlanex16_b32 v1, v2, s5, 0xfedcba98 op_sel:[1,1]
	v_dual_mov_b32 v5, v0 :: v_dual_max_f32 v2, v2, v2
	s_delay_alu instid0(VALU_DEP_2) | instskip(NEXT) | instid1(VALU_DEP_1)
	v_max_f32_e32 v1, v1, v1
	v_dual_max_f32 v2, v2, v1 :: v_dual_mov_b32 v1, 0
	s_waitcnt lgkmcnt(0)
	s_and_b32 s5, s4, 0xffff
	s_mov_b32 s4, 0
	s_lshl_b32 s14, s5, 2
	.p2align	6
.LBB291_12:                             ; =>This Inner Loop Header: Depth=1
	ds_load_b32 v6, v4
	s_waitcnt lgkmcnt(0)
	v_dual_sub_f32 v6, v6, v2 :: v_dual_add_nc_u32 v5, s5, v5
	s_delay_alu instid0(VALU_DEP_1) | instskip(NEXT) | instid1(VALU_DEP_1)
	v_mul_f32_e32 v7, 0x3fb8aa3b, v6
	v_cmp_gt_f32_e32 vcc_lo, 0xc2fc0000, v7
	v_cndmask_b32_e64 v7, 0, 0x42800000, vcc_lo
	s_delay_alu instid0(VALU_DEP_1) | instskip(NEXT) | instid1(VALU_DEP_1)
	v_fmac_f32_e32 v7, 0x3fb8aa3b, v6
	v_exp_f32_e32 v6, v7
	v_cndmask_b32_e64 v7, 1.0, 0x1f800000, vcc_lo
	v_cmp_le_i32_e32 vcc_lo, s12, v5
	s_or_b32 s4, vcc_lo, s4
	s_waitcnt_depctr 0xfff
	v_mul_f32_e32 v8, v6, v7
	v_fmac_f32_e32 v1, v6, v7
	ds_store_b32 v4, v8
	v_add_nc_u32_e32 v4, s14, v4
	s_and_not1_b32 exec_lo, exec_lo, s4
	s_cbranch_execnz .LBB291_12
; %bb.13:
	s_or_b32 exec_lo, exec_lo, s4
.LBB291_14:
	s_delay_alu instid0(SALU_CYCLE_1) | instskip(SKIP_1) | instid1(VALU_DEP_1)
	s_or_b32 exec_lo, exec_lo, s3
	v_mov_b32_dpp v2, v1 quad_perm:[1,0,3,2] row_mask:0xf bank_mask:0xf
	v_add_f32_e32 v1, v1, v2
	s_delay_alu instid0(VALU_DEP_1) | instskip(NEXT) | instid1(VALU_DEP_1)
	v_mov_b32_dpp v2, v1 quad_perm:[2,3,0,1] row_mask:0xf bank_mask:0xf
	v_add_f32_e32 v1, v1, v2
	s_delay_alu instid0(VALU_DEP_1) | instskip(NEXT) | instid1(VALU_DEP_1)
	v_mov_b32_dpp v2, v1 row_xmask:7 row_mask:0xf bank_mask:0xf
	v_add_f32_e32 v1, v1, v2
	s_delay_alu instid0(VALU_DEP_1)
	v_mov_b32_dpp v2, v1 row_xmask:15 row_mask:0xf bank_mask:0xf
	s_and_saveexec_b32 s3, s2
	s_cbranch_execz .LBB291_19
; %bb.15:
	s_delay_alu instid0(VALU_DEP_1)
	v_add_f32_e32 v1, v1, v2
	s_load_b32 s5, s[0:1], 0x44
	s_mov_b32 s4, 0x76543210
	s_cmp_lg_u64 s[6:7], 0
	v_lshl_add_u32 v5, v0, 2, 0
	v_permlanex16_b32 v2, v1, s4, 0xfedcba98 op_sel:[1,1]
	s_cselect_b32 s4, -1, 0
	s_mov_b32 s14, 0
	s_delay_alu instid0(VALU_DEP_1) | instskip(NEXT) | instid1(VALU_DEP_1)
	v_add_f32_e32 v1, v1, v2
	v_rcp_f32_e32 v4, v1
	v_mov_b32_e32 v1, v0
	s_waitcnt lgkmcnt(0)
	s_and_b32 s5, s5, 0xffff
	s_delay_alu instid0(SALU_CYCLE_1)
	s_lshl_b32 s16, s5, 2
	s_set_inst_prefetch_distance 0x1
	s_branch .LBB291_17
	.p2align	6
.LBB291_16:                             ;   in Loop: Header=BB291_17 Depth=1
	v_add_nc_u32_e32 v1, s5, v1
	v_add_nc_u32_e32 v5, s16, v5
	s_delay_alu instid0(VALU_DEP_2) | instskip(SKIP_1) | instid1(SALU_CYCLE_1)
	v_cmp_le_i32_e32 vcc_lo, s12, v1
	s_or_b32 s14, vcc_lo, s14
	s_and_not1_b32 exec_lo, exec_lo, s14
	s_cbranch_execz .LBB291_19
.LBB291_17:                             ; =>This Inner Loop Header: Depth=1
	ds_load_b32 v2, v5
	s_and_not1_b32 vcc_lo, exec_lo, s4
	s_waitcnt lgkmcnt(0)
	v_mul_f32_e32 v6, v4, v2
	ds_store_b32 v5, v6
	s_cbranch_vccnz .LBB291_16
; %bb.18:                               ;   in Loop: Header=BB291_17 Depth=1
	v_ashrrev_i32_e32 v2, 31, v1
	s_delay_alu instid0(VALU_DEP_1) | instskip(NEXT) | instid1(VALU_DEP_1)
	v_lshlrev_b64 v[7:8], 1, v[1:2]
	v_add_co_u32 v7, vcc_lo, s6, v7
	s_delay_alu instid0(VALU_DEP_2) | instskip(SKIP_3) | instid1(VALU_DEP_1)
	v_add_co_ci_u32_e32 v8, vcc_lo, s7, v8, vcc_lo
	global_load_u16 v2, v[7:8], off
	s_waitcnt vmcnt(0)
	v_lshlrev_b32_e32 v2, 16, v2
	v_add_f32_e32 v2, v6, v2
	ds_store_b32 v5, v2
	s_branch .LBB291_16
.LBB291_19:
	s_set_inst_prefetch_distance 0x2
	s_or_b32 exec_lo, exec_lo, s3
	v_mov_b32_e32 v2, 0
	s_cmp_lt_i32 s13, 1
	s_waitcnt lgkmcnt(0)
	s_barrier
	buffer_gl0_inv
	s_cbranch_scc1 .LBB291_28
; %bb.20:
	s_add_u32 s4, s0, 56
	s_addc_u32 s5, s1, 0
	v_dual_mov_b32 v2, 0 :: v_dual_mov_b32 v5, 0
	v_dual_mov_b32 v6, 0xff800000 :: v_dual_mov_b32 v1, 0
	v_mov_b32_e32 v4, 0
	s_cmp_lg_u64 s[6:7], 0
	s_mov_b32 s14, 0
	s_cselect_b32 s3, -1, 0
	s_mov_b32 s18, 0x76543210
	s_branch .LBB291_22
.LBB291_21:                             ;   in Loop: Header=BB291_22 Depth=1
	v_cmp_eq_u32_e32 vcc_lo, s14, v0
	s_delay_alu instid0(VALU_DEP_2) | instskip(NEXT) | instid1(VALU_DEP_2)
	s_lshl_b32 s17, s16, 2
	v_add_f32_e32 v4, v4, v9
	s_add_i32 s17, s17, 0
	s_add_i32 s14, s14, 1
	v_cndmask_b32_e64 v1, v1, s16, vcc_lo
	v_dual_mov_b32 v7, s17 :: v_dual_cndmask_b32 v2, v2, v9
	s_cmp_eq_u32 s14, s13
	ds_store_b32 v7, v6
	s_cbranch_scc1 .LBB291_29
.LBB291_22:                             ; =>This Loop Header: Depth=1
                                        ;     Child Loop BB291_24 Depth 2
	v_dual_mov_b32 v7, s14 :: v_dual_mov_b32 v8, 0xff800000
	s_and_saveexec_b32 s16, s2
	s_cbranch_execz .LBB291_26
; %bb.23:                               ;   in Loop: Header=BB291_22 Depth=1
	s_load_b32 s17, s[4:5], 0xc
	v_dual_mov_b32 v7, s14 :: v_dual_mov_b32 v8, 0xff800000
	v_dual_mov_b32 v9, v3 :: v_dual_mov_b32 v10, v0
	s_mov_b32 s19, 0
	s_waitcnt lgkmcnt(0)
	s_and_b32 s17, s17, 0xffff
	s_delay_alu instid0(SALU_CYCLE_1)
	s_lshl_b32 s20, s17, 2
.LBB291_24:                             ;   Parent Loop BB291_22 Depth=1
                                        ; =>  This Inner Loop Header: Depth=2
	ds_load_b32 v11, v9
	v_add_nc_u32_e32 v9, s20, v9
	s_waitcnt lgkmcnt(0)
	v_cmp_gt_f32_e32 vcc_lo, v11, v8
	v_dual_cndmask_b32 v8, v8, v11 :: v_dual_cndmask_b32 v7, v7, v10
	v_add_nc_u32_e32 v10, s17, v10
	s_delay_alu instid0(VALU_DEP_1) | instskip(SKIP_1) | instid1(SALU_CYCLE_1)
	v_cmp_le_i32_e32 vcc_lo, s12, v10
	s_or_b32 s19, vcc_lo, s19
	s_and_not1_b32 exec_lo, exec_lo, s19
	s_cbranch_execnz .LBB291_24
; %bb.25:                               ;   in Loop: Header=BB291_22 Depth=1
	s_or_b32 exec_lo, exec_lo, s19
.LBB291_26:                             ;   in Loop: Header=BB291_22 Depth=1
	s_delay_alu instid0(SALU_CYCLE_1)
	s_or_b32 exec_lo, exec_lo, s16
	;;#ASMSTART
	v_max_f32 v9, v8, v8 quad_perm:[1,0,3,2] row_mask:0xf bank_mask:0xf bound_ctrl:1
	;;#ASMEND
	;;#ASMSTART
	v_max_f32 v10, v9, v9 quad_perm:[2,3,0,1] row_mask:0xf bank_mask:0xf bound_ctrl:1
	;;#ASMEND
	;;#ASMSTART
	v_max_f32 v9, v10, v10 row_half_mirror row_mask:0xf bank_mask:0xf bound_ctrl:1
	;;#ASMEND
	;;#ASMSTART
	v_max_f32 v10, v9, v9 row_mirror row_mask:0xf bank_mask:0xf bound_ctrl:1
	;;#ASMEND
	v_permlanex16_b32 v9, v10, s18, 0xfedcba98 op_sel:[1,1]
	s_delay_alu instid0(VALU_DEP_1) | instskip(NEXT) | instid1(VALU_DEP_1)
	v_dual_max_f32 v10, v10, v10 :: v_dual_max_f32 v9, v9, v9
	v_max_f32_e32 v9, v10, v9
	s_delay_alu instid0(VALU_DEP_1)
	v_cmp_eq_f32_e32 vcc_lo, v8, v9
	s_ctz_i32_b32 s16, vcc_lo
	s_cmp_lg_u32 vcc_lo, 0
	s_cselect_b32 s16, s16, 0
	s_and_b32 vcc_lo, exec_lo, s3
	v_readlane_b32 s16, v7, s16
	s_cbranch_vccz .LBB291_21
; %bb.27:                               ;   in Loop: Header=BB291_22 Depth=1
	s_delay_alu instid0(VALU_DEP_1) | instskip(NEXT) | instid1(SALU_CYCLE_1)
	s_ashr_i32 s17, s16, 31
	s_lshl_b64 s[20:21], s[16:17], 1
	s_delay_alu instid0(SALU_CYCLE_1) | instskip(SKIP_4) | instid1(VALU_DEP_1)
	s_add_u32 s20, s6, s20
	s_addc_u32 s21, s7, s21
	global_load_u16 v7, v5, s[20:21]
	s_waitcnt vmcnt(0)
	v_lshlrev_b32_e32 v7, 16, v7
	v_sub_f32_e32 v9, v9, v7
	s_branch .LBB291_21
.LBB291_28:
	v_dual_mov_b32 v1, 0 :: v_dual_mov_b32 v4, 0
.LBB291_29:
	s_mov_b32 s2, exec_lo
	v_cmpx_gt_i32_e64 s13, v0
	s_cbranch_execz .LBB291_32
; %bb.30:
	s_clause 0x1
	s_load_b32 s2, s[0:1], 0x34
	s_load_b32 s3, s[0:1], 0x44
	v_max_f32_e32 v3, v4, v4
	s_load_b64 s[0:1], s[0:1], 0x20
	s_ashr_i32 s4, s15, 31
	s_delay_alu instid0(VALU_DEP_1) | instskip(SKIP_1) | instid1(VALU_DEP_1)
	v_max_f32_e32 v3, 0x1e3ce508, v3
	s_waitcnt lgkmcnt(0)
	v_div_scale_f32 v4, null, v3, v3, s2
	v_div_scale_f32 v7, vcc_lo, s2, v3, s2
	s_mul_i32 s1, s15, s1
	s_delay_alu instid0(VALU_DEP_2) | instskip(SKIP_4) | instid1(VALU_DEP_1)
	v_rcp_f32_e32 v5, v4
	s_mul_i32 s4, s4, s0
	s_and_b32 s3, s3, 0xffff
	s_waitcnt_depctr 0xfff
	v_fma_f32 v6, -v4, v5, 1.0
	v_fmac_f32_e32 v5, v6, v5
	s_delay_alu instid0(VALU_DEP_1) | instskip(NEXT) | instid1(VALU_DEP_1)
	v_mul_f32_e32 v6, v7, v5
	v_fma_f32 v8, -v4, v6, v7
	s_delay_alu instid0(VALU_DEP_1) | instskip(NEXT) | instid1(VALU_DEP_1)
	v_fmac_f32_e32 v6, v8, v5
	v_fma_f32 v4, -v4, v6, v7
	s_delay_alu instid0(VALU_DEP_1) | instskip(NEXT) | instid1(VALU_DEP_1)
	v_div_fmas_f32 v4, v4, v5, v6
	v_div_fixup_f32 v3, v4, v3, s2
	s_mul_hi_u32 s2, s15, s0
	s_delay_alu instid0(SALU_CYCLE_1) | instskip(SKIP_1) | instid1(VALU_DEP_1)
	s_add_i32 s1, s2, s1
	s_mul_i32 s2, s15, s0
	v_mul_f32_e32 v2, v2, v3
	s_add_i32 s1, s1, s4
	s_mov_b32 s4, 0
	.p2align	6
.LBB291_31:                             ; =>This Inner Loop Header: Depth=1
	v_ashrrev_i32_e32 v4, 31, v0
	v_add_co_u32 v3, vcc_lo, s2, v0
	v_add_nc_u32_e32 v0, s3, v0
	s_delay_alu instid0(VALU_DEP_3) | instskip(NEXT) | instid1(VALU_DEP_2)
	v_add_co_ci_u32_e32 v4, vcc_lo, s1, v4, vcc_lo
	v_cmp_le_i32_e32 vcc_lo, s13, v0
	s_delay_alu instid0(VALU_DEP_2) | instskip(SKIP_1) | instid1(VALU_DEP_1)
	v_lshlrev_b64 v[3:4], 2, v[3:4]
	s_or_b32 s4, vcc_lo, s4
	v_add_co_u32 v5, s0, s8, v3
	s_delay_alu instid0(VALU_DEP_1) | instskip(SKIP_1) | instid1(VALU_DEP_1)
	v_add_co_ci_u32_e64 v6, s0, s9, v4, s0
	v_add_co_u32 v3, s0, s10, v3
	v_add_co_ci_u32_e64 v4, s0, s11, v4, s0
	global_store_b32 v[5:6], v2, off
	global_store_b32 v[3:4], v1, off
	s_and_not1_b32 exec_lo, exec_lo, s4
	s_cbranch_execnz .LBB291_31
.LBB291_32:
	s_nop 0
	s_sendmsg sendmsg(MSG_DEALLOC_VGPRS)
	s_endpgm
	.section	.rodata,"a",@progbits
	.p2align	6, 0x0
	.amdhsa_kernel _ZN5aiter20topk_softplus_kernelI12hip_bfloat16S1_Dv1_fLb1ELi2EEEvPKT_PKT0_PfPimiiif
		.amdhsa_group_segment_fixed_size 0
		.amdhsa_private_segment_fixed_size 0
		.amdhsa_kernarg_size 312
		.amdhsa_user_sgpr_count 15
		.amdhsa_user_sgpr_dispatch_ptr 0
		.amdhsa_user_sgpr_queue_ptr 0
		.amdhsa_user_sgpr_kernarg_segment_ptr 1
		.amdhsa_user_sgpr_dispatch_id 0
		.amdhsa_user_sgpr_private_segment_size 0
		.amdhsa_wavefront_size32 1
		.amdhsa_uses_dynamic_stack 0
		.amdhsa_enable_private_segment 0
		.amdhsa_system_sgpr_workgroup_id_x 1
		.amdhsa_system_sgpr_workgroup_id_y 0
		.amdhsa_system_sgpr_workgroup_id_z 0
		.amdhsa_system_sgpr_workgroup_info 0
		.amdhsa_system_vgpr_workitem_id 0
		.amdhsa_next_free_vgpr 12
		.amdhsa_next_free_sgpr 22
		.amdhsa_reserve_vcc 1
		.amdhsa_float_round_mode_32 0
		.amdhsa_float_round_mode_16_64 0
		.amdhsa_float_denorm_mode_32 3
		.amdhsa_float_denorm_mode_16_64 3
		.amdhsa_dx10_clamp 1
		.amdhsa_ieee_mode 1
		.amdhsa_fp16_overflow 0
		.amdhsa_workgroup_processor_mode 1
		.amdhsa_memory_ordered 1
		.amdhsa_forward_progress 0
		.amdhsa_shared_vgpr_count 0
		.amdhsa_exception_fp_ieee_invalid_op 0
		.amdhsa_exception_fp_denorm_src 0
		.amdhsa_exception_fp_ieee_div_zero 0
		.amdhsa_exception_fp_ieee_overflow 0
		.amdhsa_exception_fp_ieee_underflow 0
		.amdhsa_exception_fp_ieee_inexact 0
		.amdhsa_exception_int_div_zero 0
	.end_amdhsa_kernel
	.section	.text._ZN5aiter20topk_softplus_kernelI12hip_bfloat16S1_Dv1_fLb1ELi2EEEvPKT_PKT0_PfPimiiif,"axG",@progbits,_ZN5aiter20topk_softplus_kernelI12hip_bfloat16S1_Dv1_fLb1ELi2EEEvPKT_PKT0_PfPimiiif,comdat
.Lfunc_end291:
	.size	_ZN5aiter20topk_softplus_kernelI12hip_bfloat16S1_Dv1_fLb1ELi2EEEvPKT_PKT0_PfPimiiif, .Lfunc_end291-_ZN5aiter20topk_softplus_kernelI12hip_bfloat16S1_Dv1_fLb1ELi2EEEvPKT_PKT0_PfPimiiif
                                        ; -- End function
	.section	.AMDGPU.csdata,"",@progbits
; Kernel info:
; codeLenInByte = 1892
; NumSgprs: 24
; NumVgprs: 12
; ScratchSize: 0
; MemoryBound: 0
; FloatMode: 240
; IeeeMode: 1
; LDSByteSize: 0 bytes/workgroup (compile time only)
; SGPRBlocks: 2
; VGPRBlocks: 1
; NumSGPRsForWavesPerEU: 24
; NumVGPRsForWavesPerEU: 12
; Occupancy: 16
; WaveLimiterHint : 0
; COMPUTE_PGM_RSRC2:SCRATCH_EN: 0
; COMPUTE_PGM_RSRC2:USER_SGPR: 15
; COMPUTE_PGM_RSRC2:TRAP_HANDLER: 0
; COMPUTE_PGM_RSRC2:TGID_X_EN: 1
; COMPUTE_PGM_RSRC2:TGID_Y_EN: 0
; COMPUTE_PGM_RSRC2:TGID_Z_EN: 0
; COMPUTE_PGM_RSRC2:TIDIG_COMP_CNT: 0
	.section	.text._ZN5aiter20topk_softplus_kernelI12hip_bfloat16S1_Dv1_fLb0ELi2EEEvPKT_PKT0_PfPimiiif,"axG",@progbits,_ZN5aiter20topk_softplus_kernelI12hip_bfloat16S1_Dv1_fLb0ELi2EEEvPKT_PKT0_PfPimiiif,comdat
	.protected	_ZN5aiter20topk_softplus_kernelI12hip_bfloat16S1_Dv1_fLb0ELi2EEEvPKT_PKT0_PfPimiiif ; -- Begin function _ZN5aiter20topk_softplus_kernelI12hip_bfloat16S1_Dv1_fLb0ELi2EEEvPKT_PKT0_PfPimiiif
	.globl	_ZN5aiter20topk_softplus_kernelI12hip_bfloat16S1_Dv1_fLb0ELi2EEEvPKT_PKT0_PfPimiiif
	.p2align	8
	.type	_ZN5aiter20topk_softplus_kernelI12hip_bfloat16S1_Dv1_fLb0ELi2EEEvPKT_PKT0_PfPimiiif,@function
_ZN5aiter20topk_softplus_kernelI12hip_bfloat16S1_Dv1_fLb0ELi2EEEvPKT_PKT0_PfPimiiif: ; @_ZN5aiter20topk_softplus_kernelI12hip_bfloat16S1_Dv1_fLb0ELi2EEEvPKT_PKT0_PfPimiiif
; %bb.0:
	s_clause 0x1
	s_load_b64 s[12:13], s[0:1], 0x28
	s_load_b256 s[4:11], s[0:1], 0x0
	v_lshl_add_u32 v3, v0, 2, 0
	s_waitcnt lgkmcnt(0)
	s_mul_i32 s16, s15, s12
	v_cmp_gt_i32_e64 s2, s12, v0
	s_ashr_i32 s17, s16, 31
	s_delay_alu instid0(SALU_CYCLE_1) | instskip(NEXT) | instid1(SALU_CYCLE_1)
	s_lshl_b64 s[16:17], s[16:17], 1
	s_add_u32 s3, s4, s16
	s_addc_u32 s4, s5, s17
	s_and_saveexec_b32 s5, s2
	s_cbranch_execz .LBB292_3
; %bb.1:
	s_load_b32 s14, s[0:1], 0x44
	v_lshl_add_u32 v4, v0, 2, 0
	v_mov_b32_e32 v1, v0
	s_mov_b32 s16, 0
	s_waitcnt lgkmcnt(0)
	s_and_b32 s14, s14, 0xffff
	s_delay_alu instid0(SALU_CYCLE_1)
	s_lshl_b32 s17, s14, 2
	.p2align	6
.LBB292_2:                              ; =>This Inner Loop Header: Depth=1
	v_ashrrev_i32_e32 v2, 31, v1
	s_delay_alu instid0(VALU_DEP_1) | instskip(SKIP_1) | instid1(VALU_DEP_2)
	v_lshlrev_b64 v[5:6], 1, v[1:2]
	v_add_nc_u32_e32 v1, s14, v1
	v_add_co_u32 v5, vcc_lo, s3, v5
	s_delay_alu instid0(VALU_DEP_3) | instskip(NEXT) | instid1(VALU_DEP_3)
	v_add_co_ci_u32_e32 v6, vcc_lo, s4, v6, vcc_lo
	v_cmp_le_i32_e32 vcc_lo, s12, v1
	global_load_u16 v2, v[5:6], off
	s_or_b32 s16, vcc_lo, s16
	s_waitcnt vmcnt(0)
	v_cvt_f32_u32_e32 v2, v2
	ds_store_b32 v4, v2
	v_add_nc_u32_e32 v4, s17, v4
	s_and_not1_b32 exec_lo, exec_lo, s16
	s_cbranch_execnz .LBB292_2
.LBB292_3:
	s_or_b32 exec_lo, exec_lo, s5
	v_add_nc_u32_e32 v1, s12, v0
	s_mov_b32 s5, exec_lo
	s_delay_alu instid0(VALU_DEP_1)
	v_cmpx_gt_i32_e64 s12, v1
	s_cbranch_execz .LBB292_6
; %bb.4:
	s_load_b32 s14, s[0:1], 0x44
	v_lshl_add_u32 v4, v1, 2, 0
	s_mov_b32 s16, 0
	s_waitcnt lgkmcnt(0)
	s_and_b32 s14, s14, 0xffff
	s_delay_alu instid0(SALU_CYCLE_1)
	s_lshl_b32 s17, s14, 2
	.p2align	6
.LBB292_5:                              ; =>This Inner Loop Header: Depth=1
	v_ashrrev_i32_e32 v2, 31, v1
	s_delay_alu instid0(VALU_DEP_1) | instskip(SKIP_1) | instid1(VALU_DEP_2)
	v_lshlrev_b64 v[5:6], 1, v[1:2]
	v_add_nc_u32_e32 v1, s14, v1
	v_add_co_u32 v5, vcc_lo, s3, v5
	s_delay_alu instid0(VALU_DEP_3) | instskip(NEXT) | instid1(VALU_DEP_3)
	v_add_co_ci_u32_e32 v6, vcc_lo, s4, v6, vcc_lo
	v_cmp_le_i32_e32 vcc_lo, s12, v1
	global_load_u16 v2, v[5:6], off
	s_or_b32 s16, vcc_lo, s16
	s_waitcnt vmcnt(0)
	v_lshlrev_b32_e32 v2, 16, v2
	ds_store_b32 v4, v2
	v_add_nc_u32_e32 v4, s17, v4
	s_and_not1_b32 exec_lo, exec_lo, s16
	s_cbranch_execnz .LBB292_5
.LBB292_6:
	s_or_b32 exec_lo, exec_lo, s5
	v_mov_b32_e32 v2, 0xff800000
	s_waitcnt lgkmcnt(0)
	s_barrier
	buffer_gl0_inv
	s_and_saveexec_b32 s3, s2
	s_cbranch_execz .LBB292_10
; %bb.7:
	s_load_b32 s4, s[0:1], 0x44
	v_lshl_add_u32 v1, v0, 2, 0
	v_mov_b32_e32 v2, 0xff800000
	v_mov_b32_e32 v4, v0
	s_waitcnt lgkmcnt(0)
	s_and_b32 s5, s4, 0xffff
	s_mov_b32 s4, 0
	s_lshl_b32 s14, s5, 2
.LBB292_8:                              ; =>This Inner Loop Header: Depth=1
	ds_load_b32 v5, v1
	v_add_nc_u32_e32 v4, s5, v4
	v_dual_max_f32 v2, v2, v2 :: v_dual_add_nc_u32 v1, s14, v1
	s_waitcnt lgkmcnt(0)
	v_max_f32_e32 v5, v5, v5
	s_delay_alu instid0(VALU_DEP_3) | instskip(NEXT) | instid1(VALU_DEP_2)
	v_cmp_le_i32_e32 vcc_lo, s12, v4
	v_max_f32_e32 v2, v2, v5
	s_or_b32 s4, vcc_lo, s4
	s_delay_alu instid0(SALU_CYCLE_1)
	s_and_not1_b32 exec_lo, exec_lo, s4
	s_cbranch_execnz .LBB292_8
; %bb.9:
	s_or_b32 exec_lo, exec_lo, s4
.LBB292_10:
	s_delay_alu instid0(SALU_CYCLE_1)
	s_or_b32 exec_lo, exec_lo, s3
	v_mov_b32_e32 v1, 0
	;;#ASMSTART
	v_max_f32 v4, v2, v2 quad_perm:[1,0,3,2] row_mask:0xf bank_mask:0xf bound_ctrl:1
	;;#ASMEND
	;;#ASMSTART
	v_max_f32 v2, v4, v4 quad_perm:[2,3,0,1] row_mask:0xf bank_mask:0xf bound_ctrl:1
	;;#ASMEND
	;;#ASMSTART
	v_max_f32 v4, v2, v2 row_half_mirror row_mask:0xf bank_mask:0xf bound_ctrl:1
	;;#ASMEND
	;;#ASMSTART
	v_max_f32 v2, v4, v4 row_mirror row_mask:0xf bank_mask:0xf bound_ctrl:1
	;;#ASMEND
	s_and_saveexec_b32 s3, s2
	s_cbranch_execz .LBB292_14
; %bb.11:
	s_load_b32 s4, s[0:1], 0x44
	s_mov_b32 s5, 0x76543210
	v_lshl_add_u32 v4, v0, 2, 0
	v_permlanex16_b32 v1, v2, s5, 0xfedcba98 op_sel:[1,1]
	v_dual_mov_b32 v5, v0 :: v_dual_max_f32 v2, v2, v2
	s_delay_alu instid0(VALU_DEP_2) | instskip(NEXT) | instid1(VALU_DEP_1)
	v_max_f32_e32 v1, v1, v1
	v_dual_max_f32 v2, v2, v1 :: v_dual_mov_b32 v1, 0
	s_waitcnt lgkmcnt(0)
	s_and_b32 s5, s4, 0xffff
	s_mov_b32 s4, 0
	s_lshl_b32 s14, s5, 2
	.p2align	6
.LBB292_12:                             ; =>This Inner Loop Header: Depth=1
	ds_load_b32 v6, v4
	s_waitcnt lgkmcnt(0)
	v_dual_sub_f32 v6, v6, v2 :: v_dual_add_nc_u32 v5, s5, v5
	s_delay_alu instid0(VALU_DEP_1) | instskip(NEXT) | instid1(VALU_DEP_1)
	v_mul_f32_e32 v7, 0x3fb8aa3b, v6
	v_cmp_gt_f32_e32 vcc_lo, 0xc2fc0000, v7
	v_cndmask_b32_e64 v7, 0, 0x42800000, vcc_lo
	s_delay_alu instid0(VALU_DEP_1) | instskip(NEXT) | instid1(VALU_DEP_1)
	v_fmac_f32_e32 v7, 0x3fb8aa3b, v6
	v_exp_f32_e32 v6, v7
	v_cndmask_b32_e64 v7, 1.0, 0x1f800000, vcc_lo
	v_cmp_le_i32_e32 vcc_lo, s12, v5
	s_or_b32 s4, vcc_lo, s4
	s_waitcnt_depctr 0xfff
	v_mul_f32_e32 v8, v6, v7
	v_fmac_f32_e32 v1, v6, v7
	ds_store_b32 v4, v8
	v_add_nc_u32_e32 v4, s14, v4
	s_and_not1_b32 exec_lo, exec_lo, s4
	s_cbranch_execnz .LBB292_12
; %bb.13:
	s_or_b32 exec_lo, exec_lo, s4
.LBB292_14:
	s_delay_alu instid0(SALU_CYCLE_1) | instskip(SKIP_1) | instid1(VALU_DEP_1)
	s_or_b32 exec_lo, exec_lo, s3
	v_mov_b32_dpp v2, v1 quad_perm:[1,0,3,2] row_mask:0xf bank_mask:0xf
	v_add_f32_e32 v1, v1, v2
	s_delay_alu instid0(VALU_DEP_1) | instskip(NEXT) | instid1(VALU_DEP_1)
	v_mov_b32_dpp v2, v1 quad_perm:[2,3,0,1] row_mask:0xf bank_mask:0xf
	v_add_f32_e32 v1, v1, v2
	s_delay_alu instid0(VALU_DEP_1) | instskip(NEXT) | instid1(VALU_DEP_1)
	v_mov_b32_dpp v2, v1 row_xmask:7 row_mask:0xf bank_mask:0xf
	v_add_f32_e32 v1, v1, v2
	s_delay_alu instid0(VALU_DEP_1)
	v_mov_b32_dpp v2, v1 row_xmask:15 row_mask:0xf bank_mask:0xf
	s_and_saveexec_b32 s3, s2
	s_cbranch_execz .LBB292_19
; %bb.15:
	s_delay_alu instid0(VALU_DEP_1)
	v_add_f32_e32 v1, v1, v2
	s_load_b32 s5, s[0:1], 0x44
	s_mov_b32 s4, 0x76543210
	s_cmp_lg_u64 s[6:7], 0
	v_lshl_add_u32 v5, v0, 2, 0
	v_permlanex16_b32 v2, v1, s4, 0xfedcba98 op_sel:[1,1]
	s_cselect_b32 s4, -1, 0
	s_mov_b32 s14, 0
	s_delay_alu instid0(VALU_DEP_1) | instskip(NEXT) | instid1(VALU_DEP_1)
	v_add_f32_e32 v1, v1, v2
	v_rcp_f32_e32 v4, v1
	v_mov_b32_e32 v1, v0
	s_waitcnt lgkmcnt(0)
	s_and_b32 s5, s5, 0xffff
	s_delay_alu instid0(SALU_CYCLE_1)
	s_lshl_b32 s16, s5, 2
	s_set_inst_prefetch_distance 0x1
	s_branch .LBB292_17
	.p2align	6
.LBB292_16:                             ;   in Loop: Header=BB292_17 Depth=1
	v_add_nc_u32_e32 v1, s5, v1
	v_add_nc_u32_e32 v5, s16, v5
	s_delay_alu instid0(VALU_DEP_2) | instskip(SKIP_1) | instid1(SALU_CYCLE_1)
	v_cmp_le_i32_e32 vcc_lo, s12, v1
	s_or_b32 s14, vcc_lo, s14
	s_and_not1_b32 exec_lo, exec_lo, s14
	s_cbranch_execz .LBB292_19
.LBB292_17:                             ; =>This Inner Loop Header: Depth=1
	ds_load_b32 v2, v5
	s_and_not1_b32 vcc_lo, exec_lo, s4
	s_waitcnt lgkmcnt(0)
	v_mul_f32_e32 v6, v4, v2
	ds_store_b32 v5, v6
	s_cbranch_vccnz .LBB292_16
; %bb.18:                               ;   in Loop: Header=BB292_17 Depth=1
	v_ashrrev_i32_e32 v2, 31, v1
	s_delay_alu instid0(VALU_DEP_1) | instskip(NEXT) | instid1(VALU_DEP_1)
	v_lshlrev_b64 v[7:8], 1, v[1:2]
	v_add_co_u32 v7, vcc_lo, s6, v7
	s_delay_alu instid0(VALU_DEP_2) | instskip(SKIP_3) | instid1(VALU_DEP_1)
	v_add_co_ci_u32_e32 v8, vcc_lo, s7, v8, vcc_lo
	global_load_u16 v2, v[7:8], off
	s_waitcnt vmcnt(0)
	v_lshlrev_b32_e32 v2, 16, v2
	v_add_f32_e32 v2, v6, v2
	ds_store_b32 v5, v2
	s_branch .LBB292_16
.LBB292_19:
	s_set_inst_prefetch_distance 0x2
	s_or_b32 exec_lo, exec_lo, s3
	s_cmp_lt_i32 s13, 1
	s_waitcnt lgkmcnt(0)
	s_barrier
	buffer_gl0_inv
	s_cbranch_scc1 .LBB292_28
; %bb.20:
	s_add_u32 s4, s0, 56
	s_addc_u32 s5, s1, 0
	v_dual_mov_b32 v4, 0 :: v_dual_mov_b32 v1, 0
	v_dual_mov_b32 v5, 0xff800000 :: v_dual_mov_b32 v2, 0
	s_cmp_lg_u64 s[6:7], 0
	s_mov_b32 s14, 0
	s_cselect_b32 s3, -1, 0
	s_mov_b32 s18, 0x76543210
	s_branch .LBB292_22
.LBB292_21:                             ;   in Loop: Header=BB292_22 Depth=1
	v_cmp_eq_u32_e32 vcc_lo, s14, v0
	s_delay_alu instid0(VALU_DEP_2)
	s_lshl_b32 s17, s16, 2
	s_add_i32 s14, s14, 1
	s_add_i32 s17, s17, 0
	s_cmp_eq_u32 s14, s13
	v_cndmask_b32_e64 v1, v1, s16, vcc_lo
	v_mov_b32_e32 v6, s17
	v_cndmask_b32_e32 v2, v2, v8, vcc_lo
	ds_store_b32 v6, v5
	s_cbranch_scc1 .LBB292_29
.LBB292_22:                             ; =>This Loop Header: Depth=1
                                        ;     Child Loop BB292_24 Depth 2
	v_dual_mov_b32 v6, s14 :: v_dual_mov_b32 v7, 0xff800000
	s_and_saveexec_b32 s16, s2
	s_cbranch_execz .LBB292_26
; %bb.23:                               ;   in Loop: Header=BB292_22 Depth=1
	s_load_b32 s17, s[4:5], 0xc
	v_dual_mov_b32 v6, s14 :: v_dual_mov_b32 v7, 0xff800000
	v_dual_mov_b32 v8, v3 :: v_dual_mov_b32 v9, v0
	s_mov_b32 s19, 0
	s_waitcnt lgkmcnt(0)
	s_and_b32 s17, s17, 0xffff
	s_delay_alu instid0(SALU_CYCLE_1)
	s_lshl_b32 s20, s17, 2
.LBB292_24:                             ;   Parent Loop BB292_22 Depth=1
                                        ; =>  This Inner Loop Header: Depth=2
	ds_load_b32 v10, v8
	v_add_nc_u32_e32 v8, s20, v8
	s_waitcnt lgkmcnt(0)
	v_cmp_gt_f32_e32 vcc_lo, v10, v7
	v_dual_cndmask_b32 v7, v7, v10 :: v_dual_cndmask_b32 v6, v6, v9
	v_add_nc_u32_e32 v9, s17, v9
	s_delay_alu instid0(VALU_DEP_1) | instskip(SKIP_1) | instid1(SALU_CYCLE_1)
	v_cmp_le_i32_e32 vcc_lo, s12, v9
	s_or_b32 s19, vcc_lo, s19
	s_and_not1_b32 exec_lo, exec_lo, s19
	s_cbranch_execnz .LBB292_24
; %bb.25:                               ;   in Loop: Header=BB292_22 Depth=1
	s_or_b32 exec_lo, exec_lo, s19
.LBB292_26:                             ;   in Loop: Header=BB292_22 Depth=1
	s_delay_alu instid0(SALU_CYCLE_1)
	s_or_b32 exec_lo, exec_lo, s16
	;;#ASMSTART
	v_max_f32 v8, v7, v7 quad_perm:[1,0,3,2] row_mask:0xf bank_mask:0xf bound_ctrl:1
	;;#ASMEND
	;;#ASMSTART
	v_max_f32 v9, v8, v8 quad_perm:[2,3,0,1] row_mask:0xf bank_mask:0xf bound_ctrl:1
	;;#ASMEND
	;;#ASMSTART
	v_max_f32 v8, v9, v9 row_half_mirror row_mask:0xf bank_mask:0xf bound_ctrl:1
	;;#ASMEND
	;;#ASMSTART
	v_max_f32 v9, v8, v8 row_mirror row_mask:0xf bank_mask:0xf bound_ctrl:1
	;;#ASMEND
	v_permlanex16_b32 v8, v9, s18, 0xfedcba98 op_sel:[1,1]
	s_delay_alu instid0(VALU_DEP_1) | instskip(NEXT) | instid1(VALU_DEP_1)
	v_dual_max_f32 v9, v9, v9 :: v_dual_max_f32 v8, v8, v8
	v_max_f32_e32 v8, v9, v8
	s_delay_alu instid0(VALU_DEP_1)
	v_cmp_eq_f32_e32 vcc_lo, v7, v8
	s_ctz_i32_b32 s16, vcc_lo
	s_cmp_lg_u32 vcc_lo, 0
	s_cselect_b32 s16, s16, 0
	s_and_b32 vcc_lo, exec_lo, s3
	v_readlane_b32 s16, v6, s16
	s_cbranch_vccz .LBB292_21
; %bb.27:                               ;   in Loop: Header=BB292_22 Depth=1
	s_delay_alu instid0(VALU_DEP_1) | instskip(NEXT) | instid1(SALU_CYCLE_1)
	s_ashr_i32 s17, s16, 31
	s_lshl_b64 s[20:21], s[16:17], 1
	s_delay_alu instid0(SALU_CYCLE_1) | instskip(SKIP_4) | instid1(VALU_DEP_1)
	s_add_u32 s20, s6, s20
	s_addc_u32 s21, s7, s21
	global_load_u16 v6, v4, s[20:21]
	s_waitcnt vmcnt(0)
	v_lshlrev_b32_e32 v6, 16, v6
	v_sub_f32_e32 v8, v8, v6
	s_branch .LBB292_21
.LBB292_28:
	v_dual_mov_b32 v2, 0 :: v_dual_mov_b32 v1, 0
.LBB292_29:
	s_mov_b32 s2, exec_lo
	v_cmpx_gt_i32_e64 s13, v0
	s_cbranch_execz .LBB292_32
; %bb.30:
	s_clause 0x2
	s_load_b32 s4, s[0:1], 0x34
	s_load_b64 s[2:3], s[0:1], 0x20
	s_load_b32 s0, s[0:1], 0x44
	s_ashr_i32 s1, s15, 31
	s_waitcnt lgkmcnt(0)
	v_mul_f32_e32 v2, s4, v2
	s_mul_i32 s3, s15, s3
	s_mul_hi_u32 s4, s15, s2
	s_mul_i32 s5, s1, s2
	s_add_i32 s3, s4, s3
	s_mul_i32 s1, s15, s2
	s_and_b32 s2, s0, 0xffff
	s_add_i32 s3, s3, s5
	s_mov_b32 s4, 0
	.p2align	6
.LBB292_31:                             ; =>This Inner Loop Header: Depth=1
	v_ashrrev_i32_e32 v4, 31, v0
	v_add_co_u32 v3, vcc_lo, s1, v0
	v_add_nc_u32_e32 v0, s2, v0
	s_delay_alu instid0(VALU_DEP_3) | instskip(NEXT) | instid1(VALU_DEP_2)
	v_add_co_ci_u32_e32 v4, vcc_lo, s3, v4, vcc_lo
	v_cmp_le_i32_e32 vcc_lo, s13, v0
	s_delay_alu instid0(VALU_DEP_2) | instskip(SKIP_1) | instid1(VALU_DEP_1)
	v_lshlrev_b64 v[3:4], 2, v[3:4]
	s_or_b32 s4, vcc_lo, s4
	v_add_co_u32 v5, s0, s8, v3
	s_delay_alu instid0(VALU_DEP_1) | instskip(SKIP_1) | instid1(VALU_DEP_1)
	v_add_co_ci_u32_e64 v6, s0, s9, v4, s0
	v_add_co_u32 v3, s0, s10, v3
	v_add_co_ci_u32_e64 v4, s0, s11, v4, s0
	global_store_b32 v[5:6], v2, off
	global_store_b32 v[3:4], v1, off
	s_and_not1_b32 exec_lo, exec_lo, s4
	s_cbranch_execnz .LBB292_31
.LBB292_32:
	s_nop 0
	s_sendmsg sendmsg(MSG_DEALLOC_VGPRS)
	s_endpgm
	.section	.rodata,"a",@progbits
	.p2align	6, 0x0
	.amdhsa_kernel _ZN5aiter20topk_softplus_kernelI12hip_bfloat16S1_Dv1_fLb0ELi2EEEvPKT_PKT0_PfPimiiif
		.amdhsa_group_segment_fixed_size 0
		.amdhsa_private_segment_fixed_size 0
		.amdhsa_kernarg_size 312
		.amdhsa_user_sgpr_count 15
		.amdhsa_user_sgpr_dispatch_ptr 0
		.amdhsa_user_sgpr_queue_ptr 0
		.amdhsa_user_sgpr_kernarg_segment_ptr 1
		.amdhsa_user_sgpr_dispatch_id 0
		.amdhsa_user_sgpr_private_segment_size 0
		.amdhsa_wavefront_size32 1
		.amdhsa_uses_dynamic_stack 0
		.amdhsa_enable_private_segment 0
		.amdhsa_system_sgpr_workgroup_id_x 1
		.amdhsa_system_sgpr_workgroup_id_y 0
		.amdhsa_system_sgpr_workgroup_id_z 0
		.amdhsa_system_sgpr_workgroup_info 0
		.amdhsa_system_vgpr_workitem_id 0
		.amdhsa_next_free_vgpr 11
		.amdhsa_next_free_sgpr 22
		.amdhsa_reserve_vcc 1
		.amdhsa_float_round_mode_32 0
		.amdhsa_float_round_mode_16_64 0
		.amdhsa_float_denorm_mode_32 3
		.amdhsa_float_denorm_mode_16_64 3
		.amdhsa_dx10_clamp 1
		.amdhsa_ieee_mode 1
		.amdhsa_fp16_overflow 0
		.amdhsa_workgroup_processor_mode 1
		.amdhsa_memory_ordered 1
		.amdhsa_forward_progress 0
		.amdhsa_shared_vgpr_count 0
		.amdhsa_exception_fp_ieee_invalid_op 0
		.amdhsa_exception_fp_denorm_src 0
		.amdhsa_exception_fp_ieee_div_zero 0
		.amdhsa_exception_fp_ieee_overflow 0
		.amdhsa_exception_fp_ieee_underflow 0
		.amdhsa_exception_fp_ieee_inexact 0
		.amdhsa_exception_int_div_zero 0
	.end_amdhsa_kernel
	.section	.text._ZN5aiter20topk_softplus_kernelI12hip_bfloat16S1_Dv1_fLb0ELi2EEEvPKT_PKT0_PfPimiiif,"axG",@progbits,_ZN5aiter20topk_softplus_kernelI12hip_bfloat16S1_Dv1_fLb0ELi2EEEvPKT_PKT0_PfPimiiif,comdat
.Lfunc_end292:
	.size	_ZN5aiter20topk_softplus_kernelI12hip_bfloat16S1_Dv1_fLb0ELi2EEEvPKT_PKT0_PfPimiiif, .Lfunc_end292-_ZN5aiter20topk_softplus_kernelI12hip_bfloat16S1_Dv1_fLb0ELi2EEEvPKT_PKT0_PfPimiiif
                                        ; -- End function
	.section	.AMDGPU.csdata,"",@progbits
; Kernel info:
; codeLenInByte = 1768
; NumSgprs: 24
; NumVgprs: 11
; ScratchSize: 0
; MemoryBound: 0
; FloatMode: 240
; IeeeMode: 1
; LDSByteSize: 0 bytes/workgroup (compile time only)
; SGPRBlocks: 2
; VGPRBlocks: 1
; NumSGPRsForWavesPerEU: 24
; NumVGPRsForWavesPerEU: 11
; Occupancy: 16
; WaveLimiterHint : 0
; COMPUTE_PGM_RSRC2:SCRATCH_EN: 0
; COMPUTE_PGM_RSRC2:USER_SGPR: 15
; COMPUTE_PGM_RSRC2:TRAP_HANDLER: 0
; COMPUTE_PGM_RSRC2:TGID_X_EN: 1
; COMPUTE_PGM_RSRC2:TGID_Y_EN: 0
; COMPUTE_PGM_RSRC2:TGID_Z_EN: 0
; COMPUTE_PGM_RSRC2:TIDIG_COMP_CNT: 0
	.section	.text._ZN5aiter24topk_softplus_kernel_optI12hip_bfloat16S1_Li64ELb1ELi0EEEvPKT_PKT0_PfPimiif,"axG",@progbits,_ZN5aiter24topk_softplus_kernel_optI12hip_bfloat16S1_Li64ELb1ELi0EEEvPKT_PKT0_PfPimiif,comdat
	.protected	_ZN5aiter24topk_softplus_kernel_optI12hip_bfloat16S1_Li64ELb1ELi0EEEvPKT_PKT0_PfPimiif ; -- Begin function _ZN5aiter24topk_softplus_kernel_optI12hip_bfloat16S1_Li64ELb1ELi0EEEvPKT_PKT0_PfPimiif
	.globl	_ZN5aiter24topk_softplus_kernel_optI12hip_bfloat16S1_Li64ELb1ELi0EEEvPKT_PKT0_PfPimiif
	.p2align	8
	.type	_ZN5aiter24topk_softplus_kernel_optI12hip_bfloat16S1_Li64ELb1ELi0EEEvPKT_PKT0_PfPimiif,@function
_ZN5aiter24topk_softplus_kernel_optI12hip_bfloat16S1_Li64ELb1ELi0EEEvPKT_PKT0_PfPimiif: ; @_ZN5aiter24topk_softplus_kernel_optI12hip_bfloat16S1_Li64ELb1ELi0EEEvPKT_PKT0_PfPimiif
; %bb.0:
	s_load_b128 s[4:7], s[0:1], 0x0
	s_lshl_b32 s2, s15, 6
	v_lshlrev_b32_e32 v3, 1, v0
	s_ashr_i32 s3, s2, 31
	s_delay_alu instid0(SALU_CYCLE_1)
	s_lshl_b64 s[2:3], s[2:3], 1
	s_waitcnt lgkmcnt(0)
	s_add_u32 s4, s4, s2
	s_addc_u32 s5, s5, s3
	s_cmp_lg_u64 s[6:7], 0
	global_load_u16 v1, v3, s[4:5]
	s_cselect_b32 s3, -1, 0
	s_waitcnt vmcnt(0)
	v_lshlrev_b32_e32 v1, 16, v1
	s_delay_alu instid0(VALU_DEP_1) | instskip(NEXT) | instid1(VALU_DEP_1)
	v_mul_f32_e32 v2, 0x3fb8aa3b, v1
	v_cmp_gt_f32_e32 vcc_lo, 0xc2fc0000, v2
	v_cndmask_b32_e64 v2, 0, 0x42800000, vcc_lo
	v_cndmask_b32_e64 v4, 1.0, 0x1f800000, vcc_lo
	s_delay_alu instid0(VALU_DEP_2) | instskip(NEXT) | instid1(VALU_DEP_1)
	v_fmac_f32_e32 v2, 0x3fb8aa3b, v1
	v_exp_f32_e32 v2, v2
	s_waitcnt_depctr 0xfff
	v_fma_f32 v2, v2, v4, 1.0
	s_delay_alu instid0(VALU_DEP_1) | instskip(SKIP_1) | instid1(VALU_DEP_1)
	v_cmp_gt_f32_e32 vcc_lo, 0x800000, v2
	v_cndmask_b32_e64 v4, 1.0, 0x4f800000, vcc_lo
	v_mul_f32_e32 v2, v2, v4
	v_cndmask_b32_e64 v4, 0, 0x42000000, vcc_lo
	v_cmp_lt_f32_e32 vcc_lo, 0x41a00000, v1
	s_delay_alu instid0(VALU_DEP_3) | instskip(SKIP_2) | instid1(VALU_DEP_1)
	v_log_f32_e32 v2, v2
	s_waitcnt_depctr 0xfff
	v_sub_f32_e32 v2, v2, v4
	v_mul_f32_e32 v2, 0x3f317218, v2
	s_delay_alu instid0(VALU_DEP_1) | instskip(NEXT) | instid1(VALU_DEP_1)
	v_cndmask_b32_e32 v1, v2, v1, vcc_lo
	v_mul_f32_e32 v2, 0x4f800000, v1
	v_cmp_gt_f32_e32 vcc_lo, 0xf800000, v1
	s_delay_alu instid0(VALU_DEP_2) | instskip(NEXT) | instid1(VALU_DEP_1)
	v_cndmask_b32_e32 v1, v1, v2, vcc_lo
	v_sqrt_f32_e32 v2, v1
	s_waitcnt_depctr 0xfff
	v_add_nc_u32_e32 v4, -1, v2
	v_add_nc_u32_e32 v5, 1, v2
	s_delay_alu instid0(VALU_DEP_2) | instskip(NEXT) | instid1(VALU_DEP_2)
	v_fma_f32 v6, -v4, v2, v1
	v_fma_f32 v7, -v5, v2, v1
	s_delay_alu instid0(VALU_DEP_2) | instskip(NEXT) | instid1(VALU_DEP_1)
	v_cmp_ge_f32_e64 s2, 0, v6
	v_cndmask_b32_e64 v2, v2, v4, s2
	s_delay_alu instid0(VALU_DEP_3) | instskip(NEXT) | instid1(VALU_DEP_1)
	v_cmp_lt_f32_e64 s2, 0, v7
	v_cndmask_b32_e64 v2, v2, v5, s2
	s_delay_alu instid0(VALU_DEP_1) | instskip(NEXT) | instid1(VALU_DEP_1)
	v_mul_f32_e32 v4, 0x37800000, v2
	v_cndmask_b32_e32 v2, v2, v4, vcc_lo
	v_cmp_class_f32_e64 vcc_lo, v1, 0x260
	s_delay_alu instid0(VALU_DEP_2) | instskip(SKIP_1) | instid1(VALU_DEP_1)
	v_cndmask_b32_e32 v4, v2, v1, vcc_lo
	v_add_co_u32 v1, s2, s4, v3
	v_add_co_ci_u32_e64 v2, null, s5, 0, s2
	s_delay_alu instid0(VALU_DEP_3)
	v_mov_b32_e32 v5, v4
	s_and_b32 vcc_lo, exec_lo, s3
	s_cbranch_vccz .LBB293_2
; %bb.1:
	global_load_u16 v5, v3, s[6:7]
	s_waitcnt vmcnt(0)
	v_lshlrev_b32_e32 v5, 16, v5
	s_delay_alu instid0(VALU_DEP_1)
	v_add_f32_e32 v5, v4, v5
.LBB293_2:
	global_load_u16 v1, v[1:2], off offset:64
	s_waitcnt vmcnt(0)
	v_lshlrev_b32_e32 v1, 16, v1
	s_delay_alu instid0(VALU_DEP_1) | instskip(NEXT) | instid1(VALU_DEP_1)
	v_mul_f32_e32 v2, 0x3fb8aa3b, v1
	v_cmp_gt_f32_e32 vcc_lo, 0xc2fc0000, v2
	v_cndmask_b32_e64 v2, 0, 0x42800000, vcc_lo
	v_cndmask_b32_e64 v6, 1.0, 0x1f800000, vcc_lo
	s_delay_alu instid0(VALU_DEP_2) | instskip(NEXT) | instid1(VALU_DEP_1)
	v_fmac_f32_e32 v2, 0x3fb8aa3b, v1
	v_exp_f32_e32 v2, v2
	s_waitcnt_depctr 0xfff
	v_fma_f32 v2, v2, v6, 1.0
	s_delay_alu instid0(VALU_DEP_1) | instskip(SKIP_1) | instid1(VALU_DEP_1)
	v_cmp_gt_f32_e32 vcc_lo, 0x800000, v2
	v_cndmask_b32_e64 v6, 1.0, 0x4f800000, vcc_lo
	v_mul_f32_e32 v2, v2, v6
	v_cndmask_b32_e64 v6, 0, 0x42000000, vcc_lo
	v_cmp_lt_f32_e32 vcc_lo, 0x41a00000, v1
	s_delay_alu instid0(VALU_DEP_3) | instskip(SKIP_2) | instid1(VALU_DEP_1)
	v_log_f32_e32 v2, v2
	s_waitcnt_depctr 0xfff
	v_sub_f32_e32 v2, v2, v6
	v_mul_f32_e32 v2, 0x3f317218, v2
	s_delay_alu instid0(VALU_DEP_1) | instskip(NEXT) | instid1(VALU_DEP_1)
	v_cndmask_b32_e32 v1, v2, v1, vcc_lo
	v_mul_f32_e32 v2, 0x4f800000, v1
	v_cmp_gt_f32_e32 vcc_lo, 0xf800000, v1
	s_delay_alu instid0(VALU_DEP_2) | instskip(NEXT) | instid1(VALU_DEP_1)
	v_cndmask_b32_e32 v1, v1, v2, vcc_lo
	v_sqrt_f32_e32 v2, v1
	s_waitcnt_depctr 0xfff
	v_add_nc_u32_e32 v6, -1, v2
	v_add_nc_u32_e32 v7, 1, v2
	s_delay_alu instid0(VALU_DEP_2) | instskip(NEXT) | instid1(VALU_DEP_2)
	v_fma_f32 v8, -v6, v2, v1
	v_fma_f32 v9, -v7, v2, v1
	s_delay_alu instid0(VALU_DEP_2) | instskip(NEXT) | instid1(VALU_DEP_1)
	v_cmp_ge_f32_e64 s2, 0, v8
	v_cndmask_b32_e64 v2, v2, v6, s2
	s_delay_alu instid0(VALU_DEP_3) | instskip(NEXT) | instid1(VALU_DEP_1)
	v_cmp_lt_f32_e64 s2, 0, v9
	v_cndmask_b32_e64 v2, v2, v7, s2
	s_delay_alu instid0(VALU_DEP_1) | instskip(NEXT) | instid1(VALU_DEP_1)
	v_mul_f32_e32 v6, 0x37800000, v2
	v_cndmask_b32_e32 v2, v2, v6, vcc_lo
	v_cmp_class_f32_e64 vcc_lo, v1, 0x260
	s_delay_alu instid0(VALU_DEP_2) | instskip(SKIP_1) | instid1(VALU_DEP_1)
	v_cndmask_b32_e32 v10, v2, v1, vcc_lo
	s_and_not1_b32 vcc_lo, exec_lo, s3
	v_mov_b32_e32 v9, v10
	s_cbranch_vccnz .LBB293_4
; %bb.3:
	global_load_u16 v1, v3, s[6:7] offset:64
	s_waitcnt vmcnt(0)
	v_lshlrev_b32_e32 v1, 16, v1
	s_delay_alu instid0(VALU_DEP_1)
	v_add_f32_e32 v9, v10, v1
.LBB293_4:
	s_clause 0x1
	s_load_b32 s8, s[0:1], 0x28
	s_load_b128 s[4:7], s[0:1], 0x10
	v_dual_mov_b32 v3, 0 :: v_dual_mov_b32 v2, 0
	v_mov_b32_e32 v1, 0
	s_waitcnt lgkmcnt(0)
	s_cmp_gt_i32 s8, 0
	s_cbranch_scc0 .LBB293_7
; %bb.5:
	v_cmp_lt_f32_e32 vcc_lo, v5, v9
	v_add_nc_u32_e32 v1, 32, v0
	v_dual_mov_b32 v3, 0 :: v_dual_mov_b32 v2, 0
	v_dual_mov_b32 v11, v0 :: v_dual_cndmask_b32 v8, v9, v5
	s_delay_alu instid0(VALU_DEP_3)
	v_dual_cndmask_b32 v6, v1, v0 :: v_dual_cndmask_b32 v7, v0, v1
	v_cndmask_b32_e32 v5, v5, v9, vcc_lo
	v_dual_cndmask_b32 v9, v10, v4 :: v_dual_cndmask_b32 v4, v4, v10
	v_dual_mov_b32 v10, 0 :: v_dual_mov_b32 v1, 0
	s_mov_b32 s9, 0x76543210
	s_mov_b32 s10, s8
.LBB293_6:                              ; =>This Inner Loop Header: Depth=1
	s_delay_alu instid0(VALU_DEP_1) | instskip(SKIP_2) | instid1(VALU_DEP_1)
	v_cmp_eq_u32_e32 vcc_lo, 1, v10
	v_cmp_gt_u32_e64 s2, 2, v10
	v_dual_cndmask_b32 v12, v5, v8 :: v_dual_cndmask_b32 v13, v7, v6
	v_cndmask_b32_e64 v12, 0xff800000, v12, s2
	;;#ASMSTART
	v_max_f32 v15, v12, v12 quad_perm:[1,0,3,2] row_mask:0xf bank_mask:0xf bound_ctrl:1
	;;#ASMEND
	;;#ASMSTART
	v_max_f32 v16, v15, v15 quad_perm:[2,3,0,1] row_mask:0xf bank_mask:0xf bound_ctrl:1
	;;#ASMEND
	;;#ASMSTART
	v_max_f32 v15, v16, v16 row_half_mirror row_mask:0xf bank_mask:0xf bound_ctrl:1
	;;#ASMEND
	;;#ASMSTART
	v_max_f32 v16, v15, v15 row_mirror row_mask:0xf bank_mask:0xf bound_ctrl:1
	;;#ASMEND
	v_permlanex16_b32 v15, v16, s9, 0xfedcba98 op_sel:[1,1]
	v_max_f32_e32 v16, v16, v16
	v_cndmask_b32_e64 v14, 0, v13, s2
	s_delay_alu instid0(VALU_DEP_3) | instskip(NEXT) | instid1(VALU_DEP_1)
	v_max_f32_e32 v15, v15, v15
	v_max_f32_e32 v15, v16, v15
	s_delay_alu instid0(VALU_DEP_1) | instskip(SKIP_1) | instid1(VALU_DEP_2)
	v_cmp_eq_f32_e64 s3, v12, v15
	v_cndmask_b32_e32 v12, v4, v9, vcc_lo
	s_ctz_i32_b32 s11, s3
	s_cmp_lg_u32 s3, 0
	s_cselect_b32 s3, s11, 0
	s_add_i32 s10, s10, -1
	v_readlane_b32 s3, v14, s3
	s_delay_alu instid0(VALU_DEP_1)
	v_cmp_eq_u32_e32 vcc_lo, s3, v13
	s_and_b32 vcc_lo, s2, vcc_lo
	s_and_b32 s2, s3, 31
	v_cndmask_b32_e32 v12, 0, v12, vcc_lo
	v_add_co_ci_u32_e32 v10, vcc_lo, 0, v10, vcc_lo
	s_cmp_eq_u32 s10, 0
	s_delay_alu instid0(VALU_DEP_2) | instskip(SKIP_2) | instid1(VALU_DEP_3)
	v_readlane_b32 s11, v12, s2
	v_cmp_eq_u32_e64 s2, 0, v11
	v_add_nc_u32_e32 v11, -1, v11
	v_add_f32_e32 v3, s11, v3
	s_delay_alu instid0(VALU_DEP_3)
	v_cndmask_b32_e64 v2, v2, s11, s2
	v_cndmask_b32_e64 v1, v1, s3, s2
	s_cbranch_scc0 .LBB293_6
.LBB293_7:
	s_mov_b32 s2, exec_lo
	v_cmpx_gt_i32_e64 s8, v0
	s_cbranch_execz .LBB293_9
; %bb.8:
	s_load_b32 s2, s[0:1], 0x30
	v_max_f32_e32 v3, v3, v3
	s_load_b64 s[0:1], s[0:1], 0x20
	s_ashr_i32 s3, s15, 31
	s_delay_alu instid0(VALU_DEP_1) | instskip(SKIP_1) | instid1(VALU_DEP_1)
	v_dual_max_f32 v3, 0x1e3ce508, v3 :: v_dual_lshlrev_b32 v0, 2, v0
	s_waitcnt lgkmcnt(0)
	v_div_scale_f32 v4, null, v3, v3, s2
	v_div_scale_f32 v7, vcc_lo, s2, v3, s2
	s_mul_i32 s1, s15, s1
	s_delay_alu instid0(VALU_DEP_2)
	v_rcp_f32_e32 v5, v4
	s_mul_hi_u32 s8, s15, s0
	s_mul_i32 s3, s3, s0
	s_add_i32 s1, s8, s1
	s_mul_i32 s0, s15, s0
	s_add_i32 s1, s1, s3
	s_delay_alu instid0(SALU_CYCLE_1) | instskip(SKIP_2) | instid1(VALU_DEP_1)
	s_lshl_b64 s[0:1], s[0:1], 2
	s_waitcnt_depctr 0xfff
	v_fma_f32 v6, -v4, v5, 1.0
	v_fmac_f32_e32 v5, v6, v5
	s_delay_alu instid0(VALU_DEP_1) | instskip(NEXT) | instid1(VALU_DEP_1)
	v_mul_f32_e32 v6, v7, v5
	v_fma_f32 v8, -v4, v6, v7
	s_delay_alu instid0(VALU_DEP_1) | instskip(NEXT) | instid1(VALU_DEP_1)
	v_fmac_f32_e32 v6, v8, v5
	v_fma_f32 v4, -v4, v6, v7
	s_delay_alu instid0(VALU_DEP_1) | instskip(NEXT) | instid1(VALU_DEP_1)
	v_div_fmas_f32 v4, v4, v5, v6
	v_div_fixup_f32 v3, v4, v3, s2
	s_add_u32 s2, s4, s0
	s_addc_u32 s3, s5, s1
	s_add_u32 s0, s6, s0
	s_addc_u32 s1, s7, s1
	v_mul_f32_e32 v2, v2, v3
	s_clause 0x1
	global_store_b32 v0, v2, s[2:3]
	global_store_b32 v0, v1, s[0:1]
.LBB293_9:
	s_nop 0
	s_sendmsg sendmsg(MSG_DEALLOC_VGPRS)
	s_endpgm
	.section	.rodata,"a",@progbits
	.p2align	6, 0x0
	.amdhsa_kernel _ZN5aiter24topk_softplus_kernel_optI12hip_bfloat16S1_Li64ELb1ELi0EEEvPKT_PKT0_PfPimiif
		.amdhsa_group_segment_fixed_size 0
		.amdhsa_private_segment_fixed_size 0
		.amdhsa_kernarg_size 52
		.amdhsa_user_sgpr_count 15
		.amdhsa_user_sgpr_dispatch_ptr 0
		.amdhsa_user_sgpr_queue_ptr 0
		.amdhsa_user_sgpr_kernarg_segment_ptr 1
		.amdhsa_user_sgpr_dispatch_id 0
		.amdhsa_user_sgpr_private_segment_size 0
		.amdhsa_wavefront_size32 1
		.amdhsa_uses_dynamic_stack 0
		.amdhsa_enable_private_segment 0
		.amdhsa_system_sgpr_workgroup_id_x 1
		.amdhsa_system_sgpr_workgroup_id_y 0
		.amdhsa_system_sgpr_workgroup_id_z 0
		.amdhsa_system_sgpr_workgroup_info 0
		.amdhsa_system_vgpr_workitem_id 0
		.amdhsa_next_free_vgpr 17
		.amdhsa_next_free_sgpr 16
		.amdhsa_reserve_vcc 1
		.amdhsa_float_round_mode_32 0
		.amdhsa_float_round_mode_16_64 0
		.amdhsa_float_denorm_mode_32 3
		.amdhsa_float_denorm_mode_16_64 3
		.amdhsa_dx10_clamp 1
		.amdhsa_ieee_mode 1
		.amdhsa_fp16_overflow 0
		.amdhsa_workgroup_processor_mode 1
		.amdhsa_memory_ordered 1
		.amdhsa_forward_progress 0
		.amdhsa_shared_vgpr_count 0
		.amdhsa_exception_fp_ieee_invalid_op 0
		.amdhsa_exception_fp_denorm_src 0
		.amdhsa_exception_fp_ieee_div_zero 0
		.amdhsa_exception_fp_ieee_overflow 0
		.amdhsa_exception_fp_ieee_underflow 0
		.amdhsa_exception_fp_ieee_inexact 0
		.amdhsa_exception_int_div_zero 0
	.end_amdhsa_kernel
	.section	.text._ZN5aiter24topk_softplus_kernel_optI12hip_bfloat16S1_Li64ELb1ELi0EEEvPKT_PKT0_PfPimiif,"axG",@progbits,_ZN5aiter24topk_softplus_kernel_optI12hip_bfloat16S1_Li64ELb1ELi0EEEvPKT_PKT0_PfPimiif,comdat
.Lfunc_end293:
	.size	_ZN5aiter24topk_softplus_kernel_optI12hip_bfloat16S1_Li64ELb1ELi0EEEvPKT_PKT0_PfPimiif, .Lfunc_end293-_ZN5aiter24topk_softplus_kernel_optI12hip_bfloat16S1_Li64ELb1ELi0EEEvPKT_PKT0_PfPimiif
                                        ; -- End function
	.section	.AMDGPU.csdata,"",@progbits
; Kernel info:
; codeLenInByte = 1368
; NumSgprs: 18
; NumVgprs: 17
; ScratchSize: 0
; MemoryBound: 0
; FloatMode: 240
; IeeeMode: 1
; LDSByteSize: 0 bytes/workgroup (compile time only)
; SGPRBlocks: 2
; VGPRBlocks: 2
; NumSGPRsForWavesPerEU: 18
; NumVGPRsForWavesPerEU: 17
; Occupancy: 16
; WaveLimiterHint : 0
; COMPUTE_PGM_RSRC2:SCRATCH_EN: 0
; COMPUTE_PGM_RSRC2:USER_SGPR: 15
; COMPUTE_PGM_RSRC2:TRAP_HANDLER: 0
; COMPUTE_PGM_RSRC2:TGID_X_EN: 1
; COMPUTE_PGM_RSRC2:TGID_Y_EN: 0
; COMPUTE_PGM_RSRC2:TGID_Z_EN: 0
; COMPUTE_PGM_RSRC2:TIDIG_COMP_CNT: 0
	.section	.text._ZN5aiter24topk_softplus_kernel_optI12hip_bfloat16S1_Li64ELb0ELi0EEEvPKT_PKT0_PfPimiif,"axG",@progbits,_ZN5aiter24topk_softplus_kernel_optI12hip_bfloat16S1_Li64ELb0ELi0EEEvPKT_PKT0_PfPimiif,comdat
	.protected	_ZN5aiter24topk_softplus_kernel_optI12hip_bfloat16S1_Li64ELb0ELi0EEEvPKT_PKT0_PfPimiif ; -- Begin function _ZN5aiter24topk_softplus_kernel_optI12hip_bfloat16S1_Li64ELb0ELi0EEEvPKT_PKT0_PfPimiif
	.globl	_ZN5aiter24topk_softplus_kernel_optI12hip_bfloat16S1_Li64ELb0ELi0EEEvPKT_PKT0_PfPimiif
	.p2align	8
	.type	_ZN5aiter24topk_softplus_kernel_optI12hip_bfloat16S1_Li64ELb0ELi0EEEvPKT_PKT0_PfPimiif,@function
_ZN5aiter24topk_softplus_kernel_optI12hip_bfloat16S1_Li64ELb0ELi0EEEvPKT_PKT0_PfPimiif: ; @_ZN5aiter24topk_softplus_kernel_optI12hip_bfloat16S1_Li64ELb0ELi0EEEvPKT_PKT0_PfPimiif
; %bb.0:
	s_load_b128 s[4:7], s[0:1], 0x0
	s_lshl_b32 s2, s15, 6
	v_lshlrev_b32_e32 v3, 1, v0
	s_ashr_i32 s3, s2, 31
	s_delay_alu instid0(SALU_CYCLE_1)
	s_lshl_b64 s[2:3], s[2:3], 1
	s_waitcnt lgkmcnt(0)
	s_add_u32 s4, s4, s2
	s_addc_u32 s5, s5, s3
	s_cmp_lg_u64 s[6:7], 0
	global_load_u16 v1, v3, s[4:5]
	s_cselect_b32 s3, -1, 0
	s_waitcnt vmcnt(0)
	v_lshlrev_b32_e32 v1, 16, v1
	s_delay_alu instid0(VALU_DEP_1) | instskip(NEXT) | instid1(VALU_DEP_1)
	v_mul_f32_e32 v2, 0x3fb8aa3b, v1
	v_cmp_gt_f32_e32 vcc_lo, 0xc2fc0000, v2
	v_cndmask_b32_e64 v2, 0, 0x42800000, vcc_lo
	v_cndmask_b32_e64 v4, 1.0, 0x1f800000, vcc_lo
	s_delay_alu instid0(VALU_DEP_2) | instskip(NEXT) | instid1(VALU_DEP_1)
	v_fmac_f32_e32 v2, 0x3fb8aa3b, v1
	v_exp_f32_e32 v2, v2
	s_waitcnt_depctr 0xfff
	v_fma_f32 v2, v2, v4, 1.0
	s_delay_alu instid0(VALU_DEP_1) | instskip(SKIP_1) | instid1(VALU_DEP_1)
	v_cmp_gt_f32_e32 vcc_lo, 0x800000, v2
	v_cndmask_b32_e64 v4, 1.0, 0x4f800000, vcc_lo
	v_mul_f32_e32 v2, v2, v4
	v_cndmask_b32_e64 v4, 0, 0x42000000, vcc_lo
	v_cmp_lt_f32_e32 vcc_lo, 0x41a00000, v1
	s_delay_alu instid0(VALU_DEP_3) | instskip(SKIP_2) | instid1(VALU_DEP_1)
	v_log_f32_e32 v2, v2
	s_waitcnt_depctr 0xfff
	v_sub_f32_e32 v2, v2, v4
	v_mul_f32_e32 v2, 0x3f317218, v2
	s_delay_alu instid0(VALU_DEP_1) | instskip(NEXT) | instid1(VALU_DEP_1)
	v_cndmask_b32_e32 v1, v2, v1, vcc_lo
	v_mul_f32_e32 v2, 0x4f800000, v1
	v_cmp_gt_f32_e32 vcc_lo, 0xf800000, v1
	s_delay_alu instid0(VALU_DEP_2) | instskip(NEXT) | instid1(VALU_DEP_1)
	v_cndmask_b32_e32 v1, v1, v2, vcc_lo
	v_sqrt_f32_e32 v2, v1
	s_waitcnt_depctr 0xfff
	v_add_nc_u32_e32 v4, -1, v2
	v_add_nc_u32_e32 v5, 1, v2
	s_delay_alu instid0(VALU_DEP_2) | instskip(NEXT) | instid1(VALU_DEP_2)
	v_fma_f32 v6, -v4, v2, v1
	v_fma_f32 v7, -v5, v2, v1
	s_delay_alu instid0(VALU_DEP_2) | instskip(NEXT) | instid1(VALU_DEP_1)
	v_cmp_ge_f32_e64 s2, 0, v6
	v_cndmask_b32_e64 v2, v2, v4, s2
	s_delay_alu instid0(VALU_DEP_3) | instskip(NEXT) | instid1(VALU_DEP_1)
	v_cmp_lt_f32_e64 s2, 0, v7
	v_cndmask_b32_e64 v2, v2, v5, s2
	s_delay_alu instid0(VALU_DEP_1) | instskip(NEXT) | instid1(VALU_DEP_1)
	v_mul_f32_e32 v4, 0x37800000, v2
	v_cndmask_b32_e32 v2, v2, v4, vcc_lo
	v_cmp_class_f32_e64 vcc_lo, v1, 0x260
	s_delay_alu instid0(VALU_DEP_2) | instskip(SKIP_1) | instid1(VALU_DEP_1)
	v_cndmask_b32_e32 v4, v2, v1, vcc_lo
	v_add_co_u32 v1, s2, s4, v3
	v_add_co_ci_u32_e64 v2, null, s5, 0, s2
	s_delay_alu instid0(VALU_DEP_3)
	v_mov_b32_e32 v5, v4
	s_and_b32 vcc_lo, exec_lo, s3
	s_cbranch_vccz .LBB294_2
; %bb.1:
	global_load_u16 v5, v3, s[6:7]
	s_waitcnt vmcnt(0)
	v_lshlrev_b32_e32 v5, 16, v5
	s_delay_alu instid0(VALU_DEP_1)
	v_add_f32_e32 v5, v4, v5
.LBB294_2:
	global_load_u16 v1, v[1:2], off offset:64
	s_waitcnt vmcnt(0)
	v_lshlrev_b32_e32 v1, 16, v1
	s_delay_alu instid0(VALU_DEP_1) | instskip(NEXT) | instid1(VALU_DEP_1)
	v_mul_f32_e32 v2, 0x3fb8aa3b, v1
	v_cmp_gt_f32_e32 vcc_lo, 0xc2fc0000, v2
	v_cndmask_b32_e64 v2, 0, 0x42800000, vcc_lo
	v_cndmask_b32_e64 v6, 1.0, 0x1f800000, vcc_lo
	s_delay_alu instid0(VALU_DEP_2) | instskip(NEXT) | instid1(VALU_DEP_1)
	v_fmac_f32_e32 v2, 0x3fb8aa3b, v1
	v_exp_f32_e32 v2, v2
	s_waitcnt_depctr 0xfff
	v_fma_f32 v2, v2, v6, 1.0
	s_delay_alu instid0(VALU_DEP_1) | instskip(SKIP_1) | instid1(VALU_DEP_1)
	v_cmp_gt_f32_e32 vcc_lo, 0x800000, v2
	v_cndmask_b32_e64 v6, 1.0, 0x4f800000, vcc_lo
	v_mul_f32_e32 v2, v2, v6
	v_cndmask_b32_e64 v6, 0, 0x42000000, vcc_lo
	v_cmp_lt_f32_e32 vcc_lo, 0x41a00000, v1
	s_delay_alu instid0(VALU_DEP_3) | instskip(SKIP_2) | instid1(VALU_DEP_1)
	v_log_f32_e32 v2, v2
	s_waitcnt_depctr 0xfff
	v_sub_f32_e32 v2, v2, v6
	v_mul_f32_e32 v2, 0x3f317218, v2
	s_delay_alu instid0(VALU_DEP_1) | instskip(NEXT) | instid1(VALU_DEP_1)
	v_cndmask_b32_e32 v1, v2, v1, vcc_lo
	v_mul_f32_e32 v2, 0x4f800000, v1
	v_cmp_gt_f32_e32 vcc_lo, 0xf800000, v1
	s_delay_alu instid0(VALU_DEP_2) | instskip(NEXT) | instid1(VALU_DEP_1)
	v_cndmask_b32_e32 v1, v1, v2, vcc_lo
	v_sqrt_f32_e32 v2, v1
	s_waitcnt_depctr 0xfff
	v_add_nc_u32_e32 v6, -1, v2
	v_add_nc_u32_e32 v7, 1, v2
	s_delay_alu instid0(VALU_DEP_2) | instskip(NEXT) | instid1(VALU_DEP_2)
	v_fma_f32 v8, -v6, v2, v1
	v_fma_f32 v9, -v7, v2, v1
	s_delay_alu instid0(VALU_DEP_2) | instskip(NEXT) | instid1(VALU_DEP_1)
	v_cmp_ge_f32_e64 s2, 0, v8
	v_cndmask_b32_e64 v2, v2, v6, s2
	s_delay_alu instid0(VALU_DEP_3) | instskip(NEXT) | instid1(VALU_DEP_1)
	v_cmp_lt_f32_e64 s2, 0, v9
	v_cndmask_b32_e64 v2, v2, v7, s2
	s_delay_alu instid0(VALU_DEP_1) | instskip(NEXT) | instid1(VALU_DEP_1)
	v_mul_f32_e32 v6, 0x37800000, v2
	v_cndmask_b32_e32 v2, v2, v6, vcc_lo
	v_cmp_class_f32_e64 vcc_lo, v1, 0x260
	s_delay_alu instid0(VALU_DEP_2) | instskip(SKIP_1) | instid1(VALU_DEP_1)
	v_cndmask_b32_e32 v2, v2, v1, vcc_lo
	s_and_not1_b32 vcc_lo, exec_lo, s3
	v_mov_b32_e32 v8, v2
	s_cbranch_vccnz .LBB294_4
; %bb.3:
	global_load_u16 v1, v3, s[6:7] offset:64
	s_waitcnt vmcnt(0)
	v_lshlrev_b32_e32 v1, 16, v1
	s_delay_alu instid0(VALU_DEP_1)
	v_add_f32_e32 v8, v2, v1
.LBB294_4:
	s_clause 0x1
	s_load_b32 s8, s[0:1], 0x28
	s_load_b128 s[4:7], s[0:1], 0x10
	v_mov_b32_e32 v1, 0
	s_waitcnt lgkmcnt(0)
	s_cmp_gt_i32 s8, 0
	s_cbranch_scc0 .LBB294_10
; %bb.5:
	v_cmp_lt_f32_e32 vcc_lo, v5, v8
	v_add_nc_u32_e32 v1, 32, v0
	v_dual_mov_b32 v9, 0 :: v_dual_mov_b32 v10, v0
	s_mov_b32 s9, 0x76543210
	v_cndmask_b32_e32 v7, v8, v5, vcc_lo
	v_cndmask_b32_e32 v5, v5, v8, vcc_lo
	;; [unrolled: 1-line block ×4, first 2 shown]
	v_dual_mov_b32 v2, 0 :: v_dual_cndmask_b32 v3, v1, v0
	v_dual_cndmask_b32 v6, v0, v1 :: v_dual_mov_b32 v1, 0
	s_mov_b32 s10, s8
.LBB294_6:                              ; =>This Inner Loop Header: Depth=1
	v_cmp_eq_u32_e32 vcc_lo, 1, v9
	v_cmp_gt_u32_e64 s2, 2, v9
	v_cndmask_b32_e32 v11, v5, v7, vcc_lo
	s_delay_alu instid0(VALU_DEP_1)
	v_cndmask_b32_e64 v11, 0xff800000, v11, s2
	;;#ASMSTART
	v_max_f32 v12, v11, v11 quad_perm:[1,0,3,2] row_mask:0xf bank_mask:0xf bound_ctrl:1
	;;#ASMEND
	;;#ASMSTART
	v_max_f32 v13, v12, v12 quad_perm:[2,3,0,1] row_mask:0xf bank_mask:0xf bound_ctrl:1
	;;#ASMEND
	;;#ASMSTART
	v_max_f32 v12, v13, v13 row_half_mirror row_mask:0xf bank_mask:0xf bound_ctrl:1
	;;#ASMEND
	;;#ASMSTART
	v_max_f32 v13, v12, v12 row_mirror row_mask:0xf bank_mask:0xf bound_ctrl:1
	;;#ASMEND
	v_permlanex16_b32 v12, v13, s9, 0xfedcba98 op_sel:[1,1]
	s_delay_alu instid0(VALU_DEP_1) | instskip(NEXT) | instid1(VALU_DEP_1)
	v_dual_max_f32 v13, v13, v13 :: v_dual_max_f32 v12, v12, v12
	v_dual_max_f32 v12, v13, v12 :: v_dual_cndmask_b32 v13, v6, v3
	s_delay_alu instid0(VALU_DEP_1) | instskip(NEXT) | instid1(VALU_DEP_2)
	v_cmp_eq_f32_e64 s3, v11, v12
	v_cndmask_b32_e64 v11, 0, v13, s2
	s_delay_alu instid0(VALU_DEP_2)
	s_ctz_i32_b32 s11, s3
	s_cmp_lg_u32 s3, 0
	s_cselect_b32 s3, s11, 0
	s_add_i32 s10, s10, -1
	v_readlane_b32 s3, v11, s3
	v_cndmask_b32_e32 v11, v4, v8, vcc_lo
	s_delay_alu instid0(VALU_DEP_2) | instskip(SKIP_2) | instid1(VALU_DEP_2)
	v_cmp_eq_u32_e32 vcc_lo, s3, v13
	s_and_b32 vcc_lo, s2, vcc_lo
	s_and_b32 s2, s3, 31
	v_cndmask_b32_e32 v11, 0, v11, vcc_lo
	v_add_co_ci_u32_e32 v9, vcc_lo, 0, v9, vcc_lo
	s_cmp_eq_u32 s10, 0
	s_delay_alu instid0(VALU_DEP_2) | instskip(SKIP_2) | instid1(VALU_DEP_2)
	v_readlane_b32 s11, v11, s2
	v_cmp_eq_u32_e64 s2, 0, v10
	v_add_nc_u32_e32 v10, -1, v10
	v_cndmask_b32_e64 v2, v2, s11, s2
	v_cndmask_b32_e64 v1, v1, s3, s2
	s_cbranch_scc0 .LBB294_6
; %bb.7:
	s_mov_b32 s2, exec_lo
	v_cmpx_gt_i32_e64 s8, v0
	s_cbranch_execz .LBB294_9
.LBB294_8:
	s_clause 0x1
	s_load_b64 s[2:3], s[0:1], 0x20
	s_load_b32 s8, s[0:1], 0x30
	s_ashr_i32 s0, s15, 31
	v_lshlrev_b32_e32 v0, 2, v0
	s_waitcnt lgkmcnt(0)
	s_mul_i32 s1, s15, s3
	s_mul_hi_u32 s3, s15, s2
	s_mul_i32 s0, s0, s2
	s_add_i32 s1, s3, s1
	v_mul_f32_e32 v2, s8, v2
	s_add_i32 s1, s1, s0
	s_mul_i32 s0, s15, s2
	s_delay_alu instid0(SALU_CYCLE_1) | instskip(NEXT) | instid1(SALU_CYCLE_1)
	s_lshl_b64 s[0:1], s[0:1], 2
	s_add_u32 s2, s4, s0
	s_addc_u32 s3, s5, s1
	s_add_u32 s0, s6, s0
	s_addc_u32 s1, s7, s1
	s_clause 0x1
	global_store_b32 v0, v2, s[2:3]
	global_store_b32 v0, v1, s[0:1]
.LBB294_9:
	s_nop 0
	s_sendmsg sendmsg(MSG_DEALLOC_VGPRS)
	s_endpgm
.LBB294_10:
	v_mov_b32_e32 v2, 0
	s_mov_b32 s2, exec_lo
	v_cmpx_gt_i32_e64 s8, v0
	s_cbranch_execnz .LBB294_8
	s_branch .LBB294_9
	.section	.rodata,"a",@progbits
	.p2align	6, 0x0
	.amdhsa_kernel _ZN5aiter24topk_softplus_kernel_optI12hip_bfloat16S1_Li64ELb0ELi0EEEvPKT_PKT0_PfPimiif
		.amdhsa_group_segment_fixed_size 0
		.amdhsa_private_segment_fixed_size 0
		.amdhsa_kernarg_size 52
		.amdhsa_user_sgpr_count 15
		.amdhsa_user_sgpr_dispatch_ptr 0
		.amdhsa_user_sgpr_queue_ptr 0
		.amdhsa_user_sgpr_kernarg_segment_ptr 1
		.amdhsa_user_sgpr_dispatch_id 0
		.amdhsa_user_sgpr_private_segment_size 0
		.amdhsa_wavefront_size32 1
		.amdhsa_uses_dynamic_stack 0
		.amdhsa_enable_private_segment 0
		.amdhsa_system_sgpr_workgroup_id_x 1
		.amdhsa_system_sgpr_workgroup_id_y 0
		.amdhsa_system_sgpr_workgroup_id_z 0
		.amdhsa_system_sgpr_workgroup_info 0
		.amdhsa_system_vgpr_workitem_id 0
		.amdhsa_next_free_vgpr 14
		.amdhsa_next_free_sgpr 16
		.amdhsa_reserve_vcc 1
		.amdhsa_float_round_mode_32 0
		.amdhsa_float_round_mode_16_64 0
		.amdhsa_float_denorm_mode_32 3
		.amdhsa_float_denorm_mode_16_64 3
		.amdhsa_dx10_clamp 1
		.amdhsa_ieee_mode 1
		.amdhsa_fp16_overflow 0
		.amdhsa_workgroup_processor_mode 1
		.amdhsa_memory_ordered 1
		.amdhsa_forward_progress 0
		.amdhsa_shared_vgpr_count 0
		.amdhsa_exception_fp_ieee_invalid_op 0
		.amdhsa_exception_fp_denorm_src 0
		.amdhsa_exception_fp_ieee_div_zero 0
		.amdhsa_exception_fp_ieee_overflow 0
		.amdhsa_exception_fp_ieee_underflow 0
		.amdhsa_exception_fp_ieee_inexact 0
		.amdhsa_exception_int_div_zero 0
	.end_amdhsa_kernel
	.section	.text._ZN5aiter24topk_softplus_kernel_optI12hip_bfloat16S1_Li64ELb0ELi0EEEvPKT_PKT0_PfPimiif,"axG",@progbits,_ZN5aiter24topk_softplus_kernel_optI12hip_bfloat16S1_Li64ELb0ELi0EEEvPKT_PKT0_PfPimiif,comdat
.Lfunc_end294:
	.size	_ZN5aiter24topk_softplus_kernel_optI12hip_bfloat16S1_Li64ELb0ELi0EEEvPKT_PKT0_PfPimiif, .Lfunc_end294-_ZN5aiter24topk_softplus_kernel_optI12hip_bfloat16S1_Li64ELb0ELi0EEEvPKT_PKT0_PfPimiif
                                        ; -- End function
	.section	.AMDGPU.csdata,"",@progbits
; Kernel info:
; codeLenInByte = 1268
; NumSgprs: 18
; NumVgprs: 14
; ScratchSize: 0
; MemoryBound: 0
; FloatMode: 240
; IeeeMode: 1
; LDSByteSize: 0 bytes/workgroup (compile time only)
; SGPRBlocks: 2
; VGPRBlocks: 1
; NumSGPRsForWavesPerEU: 18
; NumVGPRsForWavesPerEU: 14
; Occupancy: 16
; WaveLimiterHint : 0
; COMPUTE_PGM_RSRC2:SCRATCH_EN: 0
; COMPUTE_PGM_RSRC2:USER_SGPR: 15
; COMPUTE_PGM_RSRC2:TRAP_HANDLER: 0
; COMPUTE_PGM_RSRC2:TGID_X_EN: 1
; COMPUTE_PGM_RSRC2:TGID_Y_EN: 0
; COMPUTE_PGM_RSRC2:TGID_Z_EN: 0
; COMPUTE_PGM_RSRC2:TIDIG_COMP_CNT: 0
	.section	.text._ZN5aiter24topk_softplus_kernel_optI12hip_bfloat16S1_Li128ELb1ELi0EEEvPKT_PKT0_PfPimiif,"axG",@progbits,_ZN5aiter24topk_softplus_kernel_optI12hip_bfloat16S1_Li128ELb1ELi0EEEvPKT_PKT0_PfPimiif,comdat
	.protected	_ZN5aiter24topk_softplus_kernel_optI12hip_bfloat16S1_Li128ELb1ELi0EEEvPKT_PKT0_PfPimiif ; -- Begin function _ZN5aiter24topk_softplus_kernel_optI12hip_bfloat16S1_Li128ELb1ELi0EEEvPKT_PKT0_PfPimiif
	.globl	_ZN5aiter24topk_softplus_kernel_optI12hip_bfloat16S1_Li128ELb1ELi0EEEvPKT_PKT0_PfPimiif
	.p2align	8
	.type	_ZN5aiter24topk_softplus_kernel_optI12hip_bfloat16S1_Li128ELb1ELi0EEEvPKT_PKT0_PfPimiif,@function
_ZN5aiter24topk_softplus_kernel_optI12hip_bfloat16S1_Li128ELb1ELi0EEEvPKT_PKT0_PfPimiif: ; @_ZN5aiter24topk_softplus_kernel_optI12hip_bfloat16S1_Li128ELb1ELi0EEEvPKT_PKT0_PfPimiif
; %bb.0:
	s_load_b128 s[4:7], s[0:1], 0x0
	s_lshl_b32 s2, s15, 7
	v_lshlrev_b32_e32 v3, 1, v0
	s_ashr_i32 s3, s2, 31
	s_delay_alu instid0(SALU_CYCLE_1)
	s_lshl_b64 s[2:3], s[2:3], 1
	s_waitcnt lgkmcnt(0)
	s_add_u32 s4, s4, s2
	s_addc_u32 s5, s5, s3
	s_cmp_lg_u64 s[6:7], 0
	global_load_u16 v1, v3, s[4:5]
	s_cselect_b32 s3, -1, 0
	s_waitcnt vmcnt(0)
	v_lshlrev_b32_e32 v1, 16, v1
	s_delay_alu instid0(VALU_DEP_1) | instskip(NEXT) | instid1(VALU_DEP_1)
	v_mul_f32_e32 v2, 0x3fb8aa3b, v1
	v_cmp_gt_f32_e32 vcc_lo, 0xc2fc0000, v2
	v_cndmask_b32_e64 v2, 0, 0x42800000, vcc_lo
	v_cndmask_b32_e64 v4, 1.0, 0x1f800000, vcc_lo
	s_delay_alu instid0(VALU_DEP_2) | instskip(NEXT) | instid1(VALU_DEP_1)
	v_fmac_f32_e32 v2, 0x3fb8aa3b, v1
	v_exp_f32_e32 v2, v2
	s_waitcnt_depctr 0xfff
	v_fma_f32 v2, v2, v4, 1.0
	s_delay_alu instid0(VALU_DEP_1) | instskip(SKIP_1) | instid1(VALU_DEP_1)
	v_cmp_gt_f32_e32 vcc_lo, 0x800000, v2
	v_cndmask_b32_e64 v4, 1.0, 0x4f800000, vcc_lo
	v_mul_f32_e32 v2, v2, v4
	v_cndmask_b32_e64 v4, 0, 0x42000000, vcc_lo
	v_cmp_lt_f32_e32 vcc_lo, 0x41a00000, v1
	s_delay_alu instid0(VALU_DEP_3) | instskip(SKIP_2) | instid1(VALU_DEP_1)
	v_log_f32_e32 v2, v2
	s_waitcnt_depctr 0xfff
	v_sub_f32_e32 v2, v2, v4
	v_mul_f32_e32 v2, 0x3f317218, v2
	s_delay_alu instid0(VALU_DEP_1) | instskip(NEXT) | instid1(VALU_DEP_1)
	v_cndmask_b32_e32 v1, v2, v1, vcc_lo
	v_mul_f32_e32 v2, 0x4f800000, v1
	v_cmp_gt_f32_e32 vcc_lo, 0xf800000, v1
	s_delay_alu instid0(VALU_DEP_2) | instskip(NEXT) | instid1(VALU_DEP_1)
	v_cndmask_b32_e32 v1, v1, v2, vcc_lo
	v_sqrt_f32_e32 v2, v1
	s_waitcnt_depctr 0xfff
	v_add_nc_u32_e32 v4, -1, v2
	v_add_nc_u32_e32 v5, 1, v2
	s_delay_alu instid0(VALU_DEP_2) | instskip(NEXT) | instid1(VALU_DEP_2)
	v_fma_f32 v6, -v4, v2, v1
	v_fma_f32 v7, -v5, v2, v1
	s_delay_alu instid0(VALU_DEP_2) | instskip(NEXT) | instid1(VALU_DEP_1)
	v_cmp_ge_f32_e64 s2, 0, v6
	v_cndmask_b32_e64 v2, v2, v4, s2
	s_delay_alu instid0(VALU_DEP_3) | instskip(NEXT) | instid1(VALU_DEP_1)
	v_cmp_lt_f32_e64 s2, 0, v7
	v_cndmask_b32_e64 v2, v2, v5, s2
	s_delay_alu instid0(VALU_DEP_1) | instskip(NEXT) | instid1(VALU_DEP_1)
	v_mul_f32_e32 v4, 0x37800000, v2
	v_cndmask_b32_e32 v2, v2, v4, vcc_lo
	v_cmp_class_f32_e64 vcc_lo, v1, 0x260
	s_delay_alu instid0(VALU_DEP_2) | instskip(SKIP_1) | instid1(VALU_DEP_1)
	v_cndmask_b32_e32 v4, v2, v1, vcc_lo
	v_add_co_u32 v1, s2, s4, v3
	v_add_co_ci_u32_e64 v2, null, s5, 0, s2
	s_delay_alu instid0(VALU_DEP_3)
	v_mov_b32_e32 v5, v4
	s_and_b32 vcc_lo, exec_lo, s3
	s_cbranch_vccz .LBB295_2
; %bb.1:
	global_load_u16 v5, v3, s[6:7]
	s_waitcnt vmcnt(0)
	v_lshlrev_b32_e32 v5, 16, v5
	s_delay_alu instid0(VALU_DEP_1)
	v_add_f32_e32 v5, v4, v5
.LBB295_2:
	global_load_u16 v6, v[1:2], off offset:64
	s_waitcnt vmcnt(0)
	v_lshlrev_b32_e32 v6, 16, v6
	s_delay_alu instid0(VALU_DEP_1) | instskip(NEXT) | instid1(VALU_DEP_1)
	v_mul_f32_e32 v7, 0x3fb8aa3b, v6
	v_cmp_gt_f32_e32 vcc_lo, 0xc2fc0000, v7
	v_cndmask_b32_e64 v7, 0, 0x42800000, vcc_lo
	v_cndmask_b32_e64 v8, 1.0, 0x1f800000, vcc_lo
	s_delay_alu instid0(VALU_DEP_2) | instskip(NEXT) | instid1(VALU_DEP_1)
	v_fmac_f32_e32 v7, 0x3fb8aa3b, v6
	v_exp_f32_e32 v7, v7
	s_waitcnt_depctr 0xfff
	v_fma_f32 v7, v7, v8, 1.0
	s_delay_alu instid0(VALU_DEP_1) | instskip(SKIP_1) | instid1(VALU_DEP_1)
	v_cmp_gt_f32_e32 vcc_lo, 0x800000, v7
	v_cndmask_b32_e64 v8, 1.0, 0x4f800000, vcc_lo
	v_mul_f32_e32 v7, v7, v8
	v_cndmask_b32_e64 v8, 0, 0x42000000, vcc_lo
	v_cmp_lt_f32_e32 vcc_lo, 0x41a00000, v6
	s_delay_alu instid0(VALU_DEP_3) | instskip(SKIP_2) | instid1(VALU_DEP_1)
	v_log_f32_e32 v7, v7
	s_waitcnt_depctr 0xfff
	v_sub_f32_e32 v7, v7, v8
	v_mul_f32_e32 v7, 0x3f317218, v7
	s_delay_alu instid0(VALU_DEP_1) | instskip(NEXT) | instid1(VALU_DEP_1)
	v_cndmask_b32_e32 v6, v7, v6, vcc_lo
	v_mul_f32_e32 v7, 0x4f800000, v6
	v_cmp_gt_f32_e32 vcc_lo, 0xf800000, v6
	s_delay_alu instid0(VALU_DEP_2) | instskip(NEXT) | instid1(VALU_DEP_1)
	v_cndmask_b32_e32 v6, v6, v7, vcc_lo
	v_sqrt_f32_e32 v7, v6
	s_waitcnt_depctr 0xfff
	v_add_nc_u32_e32 v8, -1, v7
	v_add_nc_u32_e32 v9, 1, v7
	s_delay_alu instid0(VALU_DEP_2) | instskip(NEXT) | instid1(VALU_DEP_2)
	v_fma_f32 v10, -v8, v7, v6
	v_fma_f32 v11, -v9, v7, v6
	s_delay_alu instid0(VALU_DEP_2) | instskip(NEXT) | instid1(VALU_DEP_1)
	v_cmp_ge_f32_e64 s2, 0, v10
	v_cndmask_b32_e64 v7, v7, v8, s2
	s_delay_alu instid0(VALU_DEP_3) | instskip(NEXT) | instid1(VALU_DEP_1)
	v_cmp_lt_f32_e64 s2, 0, v11
	v_cndmask_b32_e64 v7, v7, v9, s2
	s_delay_alu instid0(VALU_DEP_1) | instskip(NEXT) | instid1(VALU_DEP_1)
	v_mul_f32_e32 v8, 0x37800000, v7
	v_cndmask_b32_e32 v8, v7, v8, vcc_lo
	v_cmp_class_f32_e64 vcc_lo, v6, 0x260
	v_cndmask_b32_e64 v7, 0, 1, s3
	s_delay_alu instid0(VALU_DEP_3) | instskip(SKIP_1) | instid1(VALU_DEP_1)
	v_cndmask_b32_e32 v8, v8, v6, vcc_lo
	s_and_not1_b32 vcc_lo, exec_lo, s3
	v_mov_b32_e32 v11, v8
	s_cbranch_vccnz .LBB295_4
; %bb.3:
	global_load_u16 v6, v3, s[6:7] offset:64
	s_waitcnt vmcnt(0)
	v_lshlrev_b32_e32 v6, 16, v6
	s_delay_alu instid0(VALU_DEP_1)
	v_add_f32_e32 v11, v8, v6
.LBB295_4:
	global_load_u16 v6, v[1:2], off offset:128
	s_waitcnt vmcnt(0)
	v_lshlrev_b32_e32 v6, 16, v6
	s_delay_alu instid0(VALU_DEP_1) | instskip(NEXT) | instid1(VALU_DEP_1)
	v_mul_f32_e32 v9, 0x3fb8aa3b, v6
	v_cmp_gt_f32_e32 vcc_lo, 0xc2fc0000, v9
	v_cndmask_b32_e64 v9, 0, 0x42800000, vcc_lo
	v_cndmask_b32_e64 v10, 1.0, 0x1f800000, vcc_lo
	s_delay_alu instid0(VALU_DEP_2) | instskip(NEXT) | instid1(VALU_DEP_1)
	v_fmac_f32_e32 v9, 0x3fb8aa3b, v6
	v_exp_f32_e32 v9, v9
	s_waitcnt_depctr 0xfff
	v_fma_f32 v9, v9, v10, 1.0
	s_delay_alu instid0(VALU_DEP_1) | instskip(SKIP_1) | instid1(VALU_DEP_1)
	v_cmp_gt_f32_e32 vcc_lo, 0x800000, v9
	v_cndmask_b32_e64 v10, 1.0, 0x4f800000, vcc_lo
	v_mul_f32_e32 v9, v9, v10
	v_cndmask_b32_e64 v10, 0, 0x42000000, vcc_lo
	s_delay_alu instid0(VALU_DEP_2) | instskip(SKIP_2) | instid1(VALU_DEP_1)
	v_log_f32_e32 v9, v9
	s_waitcnt_depctr 0xfff
	v_sub_f32_e32 v9, v9, v10
	v_mul_f32_e32 v9, 0x3f317218, v9
	v_cmp_lt_f32_e32 vcc_lo, 0x41a00000, v6
	s_delay_alu instid0(VALU_DEP_2) | instskip(NEXT) | instid1(VALU_DEP_1)
	v_cndmask_b32_e32 v6, v9, v6, vcc_lo
	v_mul_f32_e32 v9, 0x4f800000, v6
	v_cmp_gt_f32_e32 vcc_lo, 0xf800000, v6
	s_delay_alu instid0(VALU_DEP_2) | instskip(NEXT) | instid1(VALU_DEP_1)
	v_cndmask_b32_e32 v6, v6, v9, vcc_lo
	v_sqrt_f32_e32 v9, v6
	s_waitcnt_depctr 0xfff
	v_add_nc_u32_e32 v10, -1, v9
	v_add_nc_u32_e32 v12, 1, v9
	s_delay_alu instid0(VALU_DEP_2) | instskip(NEXT) | instid1(VALU_DEP_2)
	v_fma_f32 v13, -v10, v9, v6
	v_fma_f32 v14, -v12, v9, v6
	s_delay_alu instid0(VALU_DEP_2) | instskip(NEXT) | instid1(VALU_DEP_1)
	v_cmp_ge_f32_e64 s2, 0, v13
	v_cndmask_b32_e64 v9, v9, v10, s2
	s_delay_alu instid0(VALU_DEP_3) | instskip(NEXT) | instid1(VALU_DEP_1)
	v_cmp_lt_f32_e64 s2, 0, v14
	v_cndmask_b32_e64 v9, v9, v12, s2
	s_delay_alu instid0(VALU_DEP_1) | instskip(NEXT) | instid1(VALU_DEP_1)
	v_mul_f32_e32 v10, 0x37800000, v9
	v_cndmask_b32_e32 v9, v9, v10, vcc_lo
	v_cmp_class_f32_e64 vcc_lo, v6, 0x260
	s_delay_alu instid0(VALU_DEP_2) | instskip(SKIP_1) | instid1(VALU_DEP_2)
	v_cndmask_b32_e32 v10, v9, v6, vcc_lo
	v_cmp_ne_u32_e32 vcc_lo, 1, v7
	v_mov_b32_e32 v6, v10
	s_cbranch_vccnz .LBB295_6
; %bb.5:
	global_load_u16 v6, v3, s[6:7] offset:128
	s_waitcnt vmcnt(0)
	v_lshlrev_b32_e32 v6, 16, v6
	s_delay_alu instid0(VALU_DEP_1)
	v_add_f32_e32 v6, v10, v6
.LBB295_6:
	global_load_u16 v1, v[1:2], off offset:192
	s_waitcnt vmcnt(0)
	v_lshlrev_b32_e32 v1, 16, v1
	s_delay_alu instid0(VALU_DEP_1) | instskip(NEXT) | instid1(VALU_DEP_1)
	v_mul_f32_e32 v2, 0x3fb8aa3b, v1
	v_cmp_gt_f32_e32 vcc_lo, 0xc2fc0000, v2
	v_cndmask_b32_e64 v2, 0, 0x42800000, vcc_lo
	v_cndmask_b32_e64 v9, 1.0, 0x1f800000, vcc_lo
	s_delay_alu instid0(VALU_DEP_2) | instskip(NEXT) | instid1(VALU_DEP_1)
	v_fmac_f32_e32 v2, 0x3fb8aa3b, v1
	v_exp_f32_e32 v2, v2
	s_waitcnt_depctr 0xfff
	v_fma_f32 v2, v2, v9, 1.0
	s_delay_alu instid0(VALU_DEP_1) | instskip(SKIP_1) | instid1(VALU_DEP_1)
	v_cmp_gt_f32_e32 vcc_lo, 0x800000, v2
	v_cndmask_b32_e64 v9, 1.0, 0x4f800000, vcc_lo
	v_mul_f32_e32 v2, v2, v9
	v_cndmask_b32_e64 v9, 0, 0x42000000, vcc_lo
	s_delay_alu instid0(VALU_DEP_2) | instskip(SKIP_2) | instid1(VALU_DEP_1)
	v_log_f32_e32 v2, v2
	s_waitcnt_depctr 0xfff
	v_sub_f32_e32 v2, v2, v9
	v_mul_f32_e32 v2, 0x3f317218, v2
	v_cmp_lt_f32_e32 vcc_lo, 0x41a00000, v1
	s_delay_alu instid0(VALU_DEP_2) | instskip(NEXT) | instid1(VALU_DEP_1)
	v_cndmask_b32_e32 v1, v2, v1, vcc_lo
	v_mul_f32_e32 v2, 0x4f800000, v1
	v_cmp_gt_f32_e32 vcc_lo, 0xf800000, v1
	s_delay_alu instid0(VALU_DEP_2) | instskip(NEXT) | instid1(VALU_DEP_1)
	v_cndmask_b32_e32 v1, v1, v2, vcc_lo
	v_sqrt_f32_e32 v2, v1
	s_waitcnt_depctr 0xfff
	v_add_nc_u32_e32 v9, -1, v2
	v_add_nc_u32_e32 v12, 1, v2
	s_delay_alu instid0(VALU_DEP_2) | instskip(NEXT) | instid1(VALU_DEP_2)
	v_fma_f32 v13, -v9, v2, v1
	v_fma_f32 v14, -v12, v2, v1
	s_delay_alu instid0(VALU_DEP_2) | instskip(NEXT) | instid1(VALU_DEP_1)
	v_cmp_ge_f32_e64 s2, 0, v13
	v_cndmask_b32_e64 v2, v2, v9, s2
	s_delay_alu instid0(VALU_DEP_3) | instskip(NEXT) | instid1(VALU_DEP_1)
	v_cmp_lt_f32_e64 s2, 0, v14
	v_cndmask_b32_e64 v2, v2, v12, s2
	s_delay_alu instid0(VALU_DEP_1) | instskip(NEXT) | instid1(VALU_DEP_1)
	v_mul_f32_e32 v9, 0x37800000, v2
	v_cndmask_b32_e32 v2, v2, v9, vcc_lo
	v_cmp_class_f32_e64 vcc_lo, v1, 0x260
	s_delay_alu instid0(VALU_DEP_2) | instskip(SKIP_1) | instid1(VALU_DEP_2)
	v_cndmask_b32_e32 v1, v2, v1, vcc_lo
	v_cmp_ne_u32_e32 vcc_lo, 1, v7
	v_mov_b32_e32 v2, v1
	s_cbranch_vccnz .LBB295_8
; %bb.7:
	global_load_u16 v2, v3, s[6:7] offset:192
	s_waitcnt vmcnt(0)
	v_lshlrev_b32_e32 v2, 16, v2
	s_delay_alu instid0(VALU_DEP_1)
	v_add_f32_e32 v2, v1, v2
.LBB295_8:
	v_cmp_lt_f32_e32 vcc_lo, v5, v11
	v_add_nc_u32_e32 v12, 32, v0
	v_add_nc_u32_e32 v14, 64, v0
	;; [unrolled: 1-line block ×3, first 2 shown]
	s_mov_b32 s2, exec_lo
	v_dual_cndmask_b32 v7, v8, v4 :: v_dual_mov_b32 v16, v6
	v_cndmask_b32_e32 v4, v4, v8, vcc_lo
	v_dual_cndmask_b32 v8, v11, v5 :: v_dual_cndmask_b32 v11, v5, v11
	v_cndmask_b32_e32 v9, v12, v0, vcc_lo
	v_cndmask_b32_e32 v13, v0, v12, vcc_lo
	v_cmpx_lt_f32_e32 v6, v2
	s_xor_b32 s2, exec_lo, s2
; %bb.9:
	v_mov_b32_e32 v15, v6
	v_mov_b32_e32 v5, v10
	;; [unrolled: 1-line block ×3, first 2 shown]
	v_swap_b32 v10, v1
	v_swap_b32 v14, v3
	v_mov_b32_e32 v6, v2
	v_mov_b32_e32 v16, v2
	;; [unrolled: 1-line block ×3, first 2 shown]
; %bb.10:
	s_or_b32 exec_lo, exec_lo, s2
	s_delay_alu instid0(VALU_DEP_3)
	v_cmp_lt_f32_e32 vcc_lo, v11, v6
	s_mov_b32 s2, exec_lo
	v_dual_cndmask_b32 v15, v10, v4 :: v_dual_cndmask_b32 v4, v4, v10
	v_dual_cndmask_b32 v12, v14, v13 :: v_dual_cndmask_b32 v5, v13, v14
	;; [unrolled: 1-line block ×3, first 2 shown]
	v_mov_b32_e32 v14, v8
	v_cmpx_lt_f32_e32 v8, v2
; %bb.11:
	v_mov_b32_e32 v16, v8
	v_dual_mov_b32 v10, v7 :: v_dual_mov_b32 v11, v9
	v_swap_b32 v7, v1
	v_swap_b32 v9, v3
	v_mov_b32_e32 v8, v2
	v_mov_b32_e32 v14, v2
	;; [unrolled: 1-line block ×3, first 2 shown]
; %bb.12:
	s_or_b32 exec_lo, exec_lo, s2
	s_clause 0x1
	s_load_b32 s8, s[0:1], 0x28
	s_load_b128 s[4:7], s[0:1], 0x10
	v_mov_b32_e32 v10, 0
	s_waitcnt lgkmcnt(0)
	s_cmp_lt_i32 s8, 1
	s_cbranch_scc1 .LBB295_18
; %bb.13:
	v_cmp_lt_f32_e32 vcc_lo, v8, v13
	v_mov_b32_e32 v17, v0
	s_mov_b32 s9, 0x76543210
	s_mov_b32 s10, s8
	v_dual_mov_b32 v10, 0 :: v_dual_cndmask_b32 v11, v12, v9
	v_cndmask_b32_e32 v9, v9, v12, vcc_lo
	v_dual_cndmask_b32 v12, v13, v8 :: v_dual_cndmask_b32 v13, v14, v13
	v_cndmask_b32_e32 v14, v15, v7, vcc_lo
	v_dual_cndmask_b32 v15, v7, v15 :: v_dual_mov_b32 v16, 0
	v_dual_mov_b32 v7, 0 :: v_dual_mov_b32 v8, 0
.LBB295_14:                             ; =>This Inner Loop Header: Depth=1
	s_delay_alu instid0(VALU_DEP_2) | instskip(SKIP_1) | instid1(VALU_DEP_4)
	v_cmp_eq_u32_e32 vcc_lo, 1, v16
	v_cmp_eq_u32_e64 s2, 2, v16
	v_dual_cndmask_b32 v19, v5, v9 :: v_dual_cndmask_b32 v20, v4, v15
	s_delay_alu instid0(VALU_DEP_1) | instskip(SKIP_2) | instid1(VALU_DEP_4)
	v_cndmask_b32_e64 v19, v19, v11, s2
	v_cndmask_b32_e32 v18, v6, v13, vcc_lo
	v_cmp_eq_u32_e32 vcc_lo, 3, v16
	v_cndmask_b32_e64 v20, v20, v14, s2
	s_delay_alu instid0(VALU_DEP_4) | instskip(NEXT) | instid1(VALU_DEP_4)
	v_cndmask_b32_e32 v19, v19, v3, vcc_lo
	v_cndmask_b32_e64 v18, v18, v12, s2
	v_cmp_gt_u32_e64 s2, 4, v16
	s_delay_alu instid0(VALU_DEP_2) | instskip(NEXT) | instid1(VALU_DEP_2)
	v_cndmask_b32_e32 v18, v18, v2, vcc_lo
	v_cndmask_b32_e64 v21, 0, v19, s2
	s_delay_alu instid0(VALU_DEP_2)
	v_cndmask_b32_e64 v18, 0xff800000, v18, s2
	;;#ASMSTART
	v_max_f32 v22, v18, v18 quad_perm:[1,0,3,2] row_mask:0xf bank_mask:0xf bound_ctrl:1
	;;#ASMEND
	;;#ASMSTART
	v_max_f32 v23, v22, v22 quad_perm:[2,3,0,1] row_mask:0xf bank_mask:0xf bound_ctrl:1
	;;#ASMEND
	;;#ASMSTART
	v_max_f32 v22, v23, v23 row_half_mirror row_mask:0xf bank_mask:0xf bound_ctrl:1
	;;#ASMEND
	;;#ASMSTART
	v_max_f32 v23, v22, v22 row_mirror row_mask:0xf bank_mask:0xf bound_ctrl:1
	;;#ASMEND
	v_permlanex16_b32 v22, v23, s9, 0xfedcba98 op_sel:[1,1]
	s_delay_alu instid0(VALU_DEP_1) | instskip(NEXT) | instid1(VALU_DEP_1)
	v_dual_max_f32 v23, v23, v23 :: v_dual_max_f32 v22, v22, v22
	v_max_f32_e32 v22, v23, v22
	s_delay_alu instid0(VALU_DEP_1) | instskip(SKIP_1) | instid1(VALU_DEP_2)
	v_cmp_eq_f32_e64 s3, v18, v22
	v_cndmask_b32_e32 v18, v20, v1, vcc_lo
	s_ctz_i32_b32 s11, s3
	s_cmp_lg_u32 s3, 0
	s_cselect_b32 s3, s11, 0
	s_add_i32 s10, s10, -1
	v_readlane_b32 s3, v21, s3
	s_delay_alu instid0(VALU_DEP_1)
	v_cmp_eq_u32_e32 vcc_lo, s3, v19
	s_and_b32 vcc_lo, s2, vcc_lo
	s_and_b32 s2, s3, 31
	v_cndmask_b32_e32 v18, 0, v18, vcc_lo
	v_add_co_ci_u32_e32 v16, vcc_lo, 0, v16, vcc_lo
	s_cmp_eq_u32 s10, 0
	s_delay_alu instid0(VALU_DEP_2) | instskip(SKIP_1) | instid1(VALU_DEP_2)
	v_readlane_b32 s11, v18, s2
	v_cmp_eq_u32_e64 s2, 0, v17
	v_dual_add_f32 v10, s11, v10 :: v_dual_add_nc_u32 v17, -1, v17
	s_delay_alu instid0(VALU_DEP_2)
	v_cndmask_b32_e64 v8, v8, s11, s2
	v_cndmask_b32_e64 v7, v7, s3, s2
	s_cbranch_scc0 .LBB295_14
; %bb.15:
	s_mov_b32 s2, exec_lo
	v_cmpx_gt_i32_e64 s8, v0
	s_cbranch_execz .LBB295_17
.LBB295_16:
	s_load_b32 s2, s[0:1], 0x30
	v_max_f32_e32 v1, v10, v10
	s_load_b64 s[0:1], s[0:1], 0x20
	s_ashr_i32 s3, s15, 31
	s_delay_alu instid0(VALU_DEP_1) | instskip(SKIP_1) | instid1(VALU_DEP_1)
	v_dual_max_f32 v1, 0x1e3ce508, v1 :: v_dual_lshlrev_b32 v0, 2, v0
	s_waitcnt lgkmcnt(0)
	v_div_scale_f32 v2, null, v1, v1, s2
	v_div_scale_f32 v5, vcc_lo, s2, v1, s2
	s_mul_i32 s1, s15, s1
	s_delay_alu instid0(VALU_DEP_2)
	v_rcp_f32_e32 v3, v2
	s_mul_hi_u32 s8, s15, s0
	s_mul_i32 s3, s3, s0
	s_add_i32 s1, s8, s1
	s_mul_i32 s0, s15, s0
	s_add_i32 s1, s1, s3
	s_delay_alu instid0(SALU_CYCLE_1) | instskip(SKIP_2) | instid1(VALU_DEP_1)
	s_lshl_b64 s[0:1], s[0:1], 2
	s_waitcnt_depctr 0xfff
	v_fma_f32 v4, -v2, v3, 1.0
	v_fmac_f32_e32 v3, v4, v3
	s_delay_alu instid0(VALU_DEP_1) | instskip(NEXT) | instid1(VALU_DEP_1)
	v_mul_f32_e32 v4, v5, v3
	v_fma_f32 v6, -v2, v4, v5
	s_delay_alu instid0(VALU_DEP_1) | instskip(NEXT) | instid1(VALU_DEP_1)
	v_fmac_f32_e32 v4, v6, v3
	v_fma_f32 v2, -v2, v4, v5
	s_delay_alu instid0(VALU_DEP_1) | instskip(NEXT) | instid1(VALU_DEP_1)
	v_div_fmas_f32 v2, v2, v3, v4
	v_div_fixup_f32 v1, v2, v1, s2
	s_add_u32 s2, s4, s0
	s_addc_u32 s3, s5, s1
	s_add_u32 s0, s6, s0
	s_addc_u32 s1, s7, s1
	v_mul_f32_e32 v1, v8, v1
	s_clause 0x1
	global_store_b32 v0, v1, s[2:3]
	global_store_b32 v0, v7, s[0:1]
.LBB295_17:
	s_nop 0
	s_sendmsg sendmsg(MSG_DEALLOC_VGPRS)
	s_endpgm
.LBB295_18:
	v_dual_mov_b32 v7, 0 :: v_dual_mov_b32 v8, 0
	s_mov_b32 s2, exec_lo
	v_cmpx_gt_i32_e64 s8, v0
	s_cbranch_execnz .LBB295_16
	s_branch .LBB295_17
	.section	.rodata,"a",@progbits
	.p2align	6, 0x0
	.amdhsa_kernel _ZN5aiter24topk_softplus_kernel_optI12hip_bfloat16S1_Li128ELb1ELi0EEEvPKT_PKT0_PfPimiif
		.amdhsa_group_segment_fixed_size 0
		.amdhsa_private_segment_fixed_size 0
		.amdhsa_kernarg_size 52
		.amdhsa_user_sgpr_count 15
		.amdhsa_user_sgpr_dispatch_ptr 0
		.amdhsa_user_sgpr_queue_ptr 0
		.amdhsa_user_sgpr_kernarg_segment_ptr 1
		.amdhsa_user_sgpr_dispatch_id 0
		.amdhsa_user_sgpr_private_segment_size 0
		.amdhsa_wavefront_size32 1
		.amdhsa_uses_dynamic_stack 0
		.amdhsa_enable_private_segment 0
		.amdhsa_system_sgpr_workgroup_id_x 1
		.amdhsa_system_sgpr_workgroup_id_y 0
		.amdhsa_system_sgpr_workgroup_id_z 0
		.amdhsa_system_sgpr_workgroup_info 0
		.amdhsa_system_vgpr_workitem_id 0
		.amdhsa_next_free_vgpr 24
		.amdhsa_next_free_sgpr 16
		.amdhsa_reserve_vcc 1
		.amdhsa_float_round_mode_32 0
		.amdhsa_float_round_mode_16_64 0
		.amdhsa_float_denorm_mode_32 3
		.amdhsa_float_denorm_mode_16_64 3
		.amdhsa_dx10_clamp 1
		.amdhsa_ieee_mode 1
		.amdhsa_fp16_overflow 0
		.amdhsa_workgroup_processor_mode 1
		.amdhsa_memory_ordered 1
		.amdhsa_forward_progress 0
		.amdhsa_shared_vgpr_count 0
		.amdhsa_exception_fp_ieee_invalid_op 0
		.amdhsa_exception_fp_denorm_src 0
		.amdhsa_exception_fp_ieee_div_zero 0
		.amdhsa_exception_fp_ieee_overflow 0
		.amdhsa_exception_fp_ieee_underflow 0
		.amdhsa_exception_fp_ieee_inexact 0
		.amdhsa_exception_int_div_zero 0
	.end_amdhsa_kernel
	.section	.text._ZN5aiter24topk_softplus_kernel_optI12hip_bfloat16S1_Li128ELb1ELi0EEEvPKT_PKT0_PfPimiif,"axG",@progbits,_ZN5aiter24topk_softplus_kernel_optI12hip_bfloat16S1_Li128ELb1ELi0EEEvPKT_PKT0_PfPimiif,comdat
.Lfunc_end295:
	.size	_ZN5aiter24topk_softplus_kernel_optI12hip_bfloat16S1_Li128ELb1ELi0EEEvPKT_PKT0_PfPimiif, .Lfunc_end295-_ZN5aiter24topk_softplus_kernel_optI12hip_bfloat16S1_Li128ELb1ELi0EEEvPKT_PKT0_PfPimiif
                                        ; -- End function
	.section	.AMDGPU.csdata,"",@progbits
; Kernel info:
; codeLenInByte = 2308
; NumSgprs: 18
; NumVgprs: 24
; ScratchSize: 0
; MemoryBound: 0
; FloatMode: 240
; IeeeMode: 1
; LDSByteSize: 0 bytes/workgroup (compile time only)
; SGPRBlocks: 2
; VGPRBlocks: 2
; NumSGPRsForWavesPerEU: 18
; NumVGPRsForWavesPerEU: 24
; Occupancy: 16
; WaveLimiterHint : 0
; COMPUTE_PGM_RSRC2:SCRATCH_EN: 0
; COMPUTE_PGM_RSRC2:USER_SGPR: 15
; COMPUTE_PGM_RSRC2:TRAP_HANDLER: 0
; COMPUTE_PGM_RSRC2:TGID_X_EN: 1
; COMPUTE_PGM_RSRC2:TGID_Y_EN: 0
; COMPUTE_PGM_RSRC2:TGID_Z_EN: 0
; COMPUTE_PGM_RSRC2:TIDIG_COMP_CNT: 0
	.section	.text._ZN5aiter24topk_softplus_kernel_optI12hip_bfloat16S1_Li128ELb0ELi0EEEvPKT_PKT0_PfPimiif,"axG",@progbits,_ZN5aiter24topk_softplus_kernel_optI12hip_bfloat16S1_Li128ELb0ELi0EEEvPKT_PKT0_PfPimiif,comdat
	.protected	_ZN5aiter24topk_softplus_kernel_optI12hip_bfloat16S1_Li128ELb0ELi0EEEvPKT_PKT0_PfPimiif ; -- Begin function _ZN5aiter24topk_softplus_kernel_optI12hip_bfloat16S1_Li128ELb0ELi0EEEvPKT_PKT0_PfPimiif
	.globl	_ZN5aiter24topk_softplus_kernel_optI12hip_bfloat16S1_Li128ELb0ELi0EEEvPKT_PKT0_PfPimiif
	.p2align	8
	.type	_ZN5aiter24topk_softplus_kernel_optI12hip_bfloat16S1_Li128ELb0ELi0EEEvPKT_PKT0_PfPimiif,@function
_ZN5aiter24topk_softplus_kernel_optI12hip_bfloat16S1_Li128ELb0ELi0EEEvPKT_PKT0_PfPimiif: ; @_ZN5aiter24topk_softplus_kernel_optI12hip_bfloat16S1_Li128ELb0ELi0EEEvPKT_PKT0_PfPimiif
; %bb.0:
	s_load_b128 s[4:7], s[0:1], 0x0
	s_lshl_b32 s2, s15, 7
	v_lshlrev_b32_e32 v3, 1, v0
	s_ashr_i32 s3, s2, 31
	s_delay_alu instid0(SALU_CYCLE_1)
	s_lshl_b64 s[2:3], s[2:3], 1
	s_waitcnt lgkmcnt(0)
	s_add_u32 s4, s4, s2
	s_addc_u32 s5, s5, s3
	s_cmp_lg_u64 s[6:7], 0
	global_load_u16 v1, v3, s[4:5]
	s_cselect_b32 s3, -1, 0
	s_waitcnt vmcnt(0)
	v_lshlrev_b32_e32 v1, 16, v1
	s_delay_alu instid0(VALU_DEP_1) | instskip(NEXT) | instid1(VALU_DEP_1)
	v_mul_f32_e32 v2, 0x3fb8aa3b, v1
	v_cmp_gt_f32_e32 vcc_lo, 0xc2fc0000, v2
	v_cndmask_b32_e64 v2, 0, 0x42800000, vcc_lo
	v_cndmask_b32_e64 v4, 1.0, 0x1f800000, vcc_lo
	s_delay_alu instid0(VALU_DEP_2) | instskip(NEXT) | instid1(VALU_DEP_1)
	v_fmac_f32_e32 v2, 0x3fb8aa3b, v1
	v_exp_f32_e32 v2, v2
	s_waitcnt_depctr 0xfff
	v_fma_f32 v2, v2, v4, 1.0
	s_delay_alu instid0(VALU_DEP_1) | instskip(SKIP_1) | instid1(VALU_DEP_1)
	v_cmp_gt_f32_e32 vcc_lo, 0x800000, v2
	v_cndmask_b32_e64 v4, 1.0, 0x4f800000, vcc_lo
	v_mul_f32_e32 v2, v2, v4
	v_cndmask_b32_e64 v4, 0, 0x42000000, vcc_lo
	v_cmp_lt_f32_e32 vcc_lo, 0x41a00000, v1
	s_delay_alu instid0(VALU_DEP_3) | instskip(SKIP_2) | instid1(VALU_DEP_1)
	v_log_f32_e32 v2, v2
	s_waitcnt_depctr 0xfff
	v_sub_f32_e32 v2, v2, v4
	v_mul_f32_e32 v2, 0x3f317218, v2
	s_delay_alu instid0(VALU_DEP_1) | instskip(NEXT) | instid1(VALU_DEP_1)
	v_cndmask_b32_e32 v1, v2, v1, vcc_lo
	v_mul_f32_e32 v2, 0x4f800000, v1
	v_cmp_gt_f32_e32 vcc_lo, 0xf800000, v1
	s_delay_alu instid0(VALU_DEP_2) | instskip(NEXT) | instid1(VALU_DEP_1)
	v_cndmask_b32_e32 v1, v1, v2, vcc_lo
	v_sqrt_f32_e32 v2, v1
	s_waitcnt_depctr 0xfff
	v_add_nc_u32_e32 v4, -1, v2
	v_add_nc_u32_e32 v5, 1, v2
	s_delay_alu instid0(VALU_DEP_2) | instskip(NEXT) | instid1(VALU_DEP_2)
	v_fma_f32 v6, -v4, v2, v1
	v_fma_f32 v7, -v5, v2, v1
	s_delay_alu instid0(VALU_DEP_2) | instskip(NEXT) | instid1(VALU_DEP_1)
	v_cmp_ge_f32_e64 s2, 0, v6
	v_cndmask_b32_e64 v2, v2, v4, s2
	s_delay_alu instid0(VALU_DEP_3) | instskip(NEXT) | instid1(VALU_DEP_1)
	v_cmp_lt_f32_e64 s2, 0, v7
	v_cndmask_b32_e64 v2, v2, v5, s2
	s_delay_alu instid0(VALU_DEP_1) | instskip(NEXT) | instid1(VALU_DEP_1)
	v_mul_f32_e32 v4, 0x37800000, v2
	v_cndmask_b32_e32 v2, v2, v4, vcc_lo
	v_cmp_class_f32_e64 vcc_lo, v1, 0x260
	s_delay_alu instid0(VALU_DEP_2) | instskip(SKIP_1) | instid1(VALU_DEP_1)
	v_cndmask_b32_e32 v4, v2, v1, vcc_lo
	v_add_co_u32 v1, s2, s4, v3
	v_add_co_ci_u32_e64 v2, null, s5, 0, s2
	s_delay_alu instid0(VALU_DEP_3)
	v_mov_b32_e32 v5, v4
	s_and_b32 vcc_lo, exec_lo, s3
	s_cbranch_vccz .LBB296_2
; %bb.1:
	global_load_u16 v5, v3, s[6:7]
	s_waitcnt vmcnt(0)
	v_lshlrev_b32_e32 v5, 16, v5
	s_delay_alu instid0(VALU_DEP_1)
	v_add_f32_e32 v5, v4, v5
.LBB296_2:
	global_load_u16 v6, v[1:2], off offset:64
	s_waitcnt vmcnt(0)
	v_lshlrev_b32_e32 v6, 16, v6
	s_delay_alu instid0(VALU_DEP_1) | instskip(NEXT) | instid1(VALU_DEP_1)
	v_mul_f32_e32 v7, 0x3fb8aa3b, v6
	v_cmp_gt_f32_e32 vcc_lo, 0xc2fc0000, v7
	v_cndmask_b32_e64 v7, 0, 0x42800000, vcc_lo
	v_cndmask_b32_e64 v8, 1.0, 0x1f800000, vcc_lo
	s_delay_alu instid0(VALU_DEP_2) | instskip(NEXT) | instid1(VALU_DEP_1)
	v_fmac_f32_e32 v7, 0x3fb8aa3b, v6
	v_exp_f32_e32 v7, v7
	s_waitcnt_depctr 0xfff
	v_fma_f32 v7, v7, v8, 1.0
	s_delay_alu instid0(VALU_DEP_1) | instskip(SKIP_1) | instid1(VALU_DEP_1)
	v_cmp_gt_f32_e32 vcc_lo, 0x800000, v7
	v_cndmask_b32_e64 v8, 1.0, 0x4f800000, vcc_lo
	v_mul_f32_e32 v7, v7, v8
	v_cndmask_b32_e64 v8, 0, 0x42000000, vcc_lo
	v_cmp_lt_f32_e32 vcc_lo, 0x41a00000, v6
	s_delay_alu instid0(VALU_DEP_3) | instskip(SKIP_2) | instid1(VALU_DEP_1)
	v_log_f32_e32 v7, v7
	s_waitcnt_depctr 0xfff
	v_sub_f32_e32 v7, v7, v8
	v_mul_f32_e32 v7, 0x3f317218, v7
	s_delay_alu instid0(VALU_DEP_1) | instskip(NEXT) | instid1(VALU_DEP_1)
	v_cndmask_b32_e32 v6, v7, v6, vcc_lo
	v_mul_f32_e32 v7, 0x4f800000, v6
	v_cmp_gt_f32_e32 vcc_lo, 0xf800000, v6
	s_delay_alu instid0(VALU_DEP_2) | instskip(NEXT) | instid1(VALU_DEP_1)
	v_cndmask_b32_e32 v6, v6, v7, vcc_lo
	v_sqrt_f32_e32 v7, v6
	s_waitcnt_depctr 0xfff
	v_add_nc_u32_e32 v8, -1, v7
	v_add_nc_u32_e32 v9, 1, v7
	s_delay_alu instid0(VALU_DEP_2) | instskip(NEXT) | instid1(VALU_DEP_2)
	v_fma_f32 v10, -v8, v7, v6
	v_fma_f32 v11, -v9, v7, v6
	s_delay_alu instid0(VALU_DEP_2) | instskip(NEXT) | instid1(VALU_DEP_1)
	v_cmp_ge_f32_e64 s2, 0, v10
	v_cndmask_b32_e64 v7, v7, v8, s2
	s_delay_alu instid0(VALU_DEP_3) | instskip(NEXT) | instid1(VALU_DEP_1)
	v_cmp_lt_f32_e64 s2, 0, v11
	v_cndmask_b32_e64 v7, v7, v9, s2
	s_delay_alu instid0(VALU_DEP_1) | instskip(NEXT) | instid1(VALU_DEP_1)
	v_mul_f32_e32 v8, 0x37800000, v7
	v_cndmask_b32_e32 v8, v7, v8, vcc_lo
	v_cmp_class_f32_e64 vcc_lo, v6, 0x260
	v_cndmask_b32_e64 v7, 0, 1, s3
	s_delay_alu instid0(VALU_DEP_3) | instskip(SKIP_1) | instid1(VALU_DEP_1)
	v_cndmask_b32_e32 v8, v8, v6, vcc_lo
	s_and_not1_b32 vcc_lo, exec_lo, s3
	v_mov_b32_e32 v11, v8
	s_cbranch_vccnz .LBB296_4
; %bb.3:
	global_load_u16 v6, v3, s[6:7] offset:64
	s_waitcnt vmcnt(0)
	v_lshlrev_b32_e32 v6, 16, v6
	s_delay_alu instid0(VALU_DEP_1)
	v_add_f32_e32 v11, v8, v6
.LBB296_4:
	global_load_u16 v6, v[1:2], off offset:128
	s_waitcnt vmcnt(0)
	v_lshlrev_b32_e32 v6, 16, v6
	s_delay_alu instid0(VALU_DEP_1) | instskip(NEXT) | instid1(VALU_DEP_1)
	v_mul_f32_e32 v9, 0x3fb8aa3b, v6
	v_cmp_gt_f32_e32 vcc_lo, 0xc2fc0000, v9
	v_cndmask_b32_e64 v9, 0, 0x42800000, vcc_lo
	v_cndmask_b32_e64 v10, 1.0, 0x1f800000, vcc_lo
	s_delay_alu instid0(VALU_DEP_2) | instskip(NEXT) | instid1(VALU_DEP_1)
	v_fmac_f32_e32 v9, 0x3fb8aa3b, v6
	v_exp_f32_e32 v9, v9
	s_waitcnt_depctr 0xfff
	v_fma_f32 v9, v9, v10, 1.0
	s_delay_alu instid0(VALU_DEP_1) | instskip(SKIP_1) | instid1(VALU_DEP_1)
	v_cmp_gt_f32_e32 vcc_lo, 0x800000, v9
	v_cndmask_b32_e64 v10, 1.0, 0x4f800000, vcc_lo
	v_mul_f32_e32 v9, v9, v10
	v_cndmask_b32_e64 v10, 0, 0x42000000, vcc_lo
	s_delay_alu instid0(VALU_DEP_2) | instskip(SKIP_2) | instid1(VALU_DEP_1)
	v_log_f32_e32 v9, v9
	s_waitcnt_depctr 0xfff
	v_sub_f32_e32 v9, v9, v10
	v_mul_f32_e32 v9, 0x3f317218, v9
	v_cmp_lt_f32_e32 vcc_lo, 0x41a00000, v6
	s_delay_alu instid0(VALU_DEP_2) | instskip(NEXT) | instid1(VALU_DEP_1)
	v_cndmask_b32_e32 v6, v9, v6, vcc_lo
	v_mul_f32_e32 v9, 0x4f800000, v6
	v_cmp_gt_f32_e32 vcc_lo, 0xf800000, v6
	s_delay_alu instid0(VALU_DEP_2) | instskip(NEXT) | instid1(VALU_DEP_1)
	v_cndmask_b32_e32 v6, v6, v9, vcc_lo
	v_sqrt_f32_e32 v9, v6
	s_waitcnt_depctr 0xfff
	v_add_nc_u32_e32 v10, -1, v9
	v_add_nc_u32_e32 v12, 1, v9
	s_delay_alu instid0(VALU_DEP_2) | instskip(NEXT) | instid1(VALU_DEP_2)
	v_fma_f32 v13, -v10, v9, v6
	v_fma_f32 v14, -v12, v9, v6
	s_delay_alu instid0(VALU_DEP_2) | instskip(NEXT) | instid1(VALU_DEP_1)
	v_cmp_ge_f32_e64 s2, 0, v13
	v_cndmask_b32_e64 v9, v9, v10, s2
	s_delay_alu instid0(VALU_DEP_3) | instskip(NEXT) | instid1(VALU_DEP_1)
	v_cmp_lt_f32_e64 s2, 0, v14
	v_cndmask_b32_e64 v9, v9, v12, s2
	s_delay_alu instid0(VALU_DEP_1) | instskip(NEXT) | instid1(VALU_DEP_1)
	v_mul_f32_e32 v10, 0x37800000, v9
	v_cndmask_b32_e32 v9, v9, v10, vcc_lo
	v_cmp_class_f32_e64 vcc_lo, v6, 0x260
	s_delay_alu instid0(VALU_DEP_2) | instskip(SKIP_1) | instid1(VALU_DEP_2)
	v_cndmask_b32_e32 v10, v9, v6, vcc_lo
	v_cmp_ne_u32_e32 vcc_lo, 1, v7
	v_mov_b32_e32 v6, v10
	s_cbranch_vccnz .LBB296_6
; %bb.5:
	global_load_u16 v6, v3, s[6:7] offset:128
	s_waitcnt vmcnt(0)
	v_lshlrev_b32_e32 v6, 16, v6
	s_delay_alu instid0(VALU_DEP_1)
	v_add_f32_e32 v6, v10, v6
.LBB296_6:
	global_load_u16 v1, v[1:2], off offset:192
	s_waitcnt vmcnt(0)
	v_lshlrev_b32_e32 v1, 16, v1
	s_delay_alu instid0(VALU_DEP_1) | instskip(NEXT) | instid1(VALU_DEP_1)
	v_mul_f32_e32 v2, 0x3fb8aa3b, v1
	v_cmp_gt_f32_e32 vcc_lo, 0xc2fc0000, v2
	v_cndmask_b32_e64 v2, 0, 0x42800000, vcc_lo
	v_cndmask_b32_e64 v9, 1.0, 0x1f800000, vcc_lo
	s_delay_alu instid0(VALU_DEP_2) | instskip(NEXT) | instid1(VALU_DEP_1)
	v_fmac_f32_e32 v2, 0x3fb8aa3b, v1
	v_exp_f32_e32 v2, v2
	s_waitcnt_depctr 0xfff
	v_fma_f32 v2, v2, v9, 1.0
	s_delay_alu instid0(VALU_DEP_1) | instskip(SKIP_1) | instid1(VALU_DEP_1)
	v_cmp_gt_f32_e32 vcc_lo, 0x800000, v2
	v_cndmask_b32_e64 v9, 1.0, 0x4f800000, vcc_lo
	v_mul_f32_e32 v2, v2, v9
	v_cndmask_b32_e64 v9, 0, 0x42000000, vcc_lo
	s_delay_alu instid0(VALU_DEP_2) | instskip(SKIP_2) | instid1(VALU_DEP_1)
	v_log_f32_e32 v2, v2
	s_waitcnt_depctr 0xfff
	v_sub_f32_e32 v2, v2, v9
	v_mul_f32_e32 v2, 0x3f317218, v2
	v_cmp_lt_f32_e32 vcc_lo, 0x41a00000, v1
	s_delay_alu instid0(VALU_DEP_2) | instskip(NEXT) | instid1(VALU_DEP_1)
	v_cndmask_b32_e32 v1, v2, v1, vcc_lo
	v_mul_f32_e32 v2, 0x4f800000, v1
	v_cmp_gt_f32_e32 vcc_lo, 0xf800000, v1
	s_delay_alu instid0(VALU_DEP_2) | instskip(NEXT) | instid1(VALU_DEP_1)
	v_cndmask_b32_e32 v1, v1, v2, vcc_lo
	v_sqrt_f32_e32 v2, v1
	s_waitcnt_depctr 0xfff
	v_add_nc_u32_e32 v9, -1, v2
	v_add_nc_u32_e32 v12, 1, v2
	s_delay_alu instid0(VALU_DEP_2) | instskip(NEXT) | instid1(VALU_DEP_2)
	v_fma_f32 v13, -v9, v2, v1
	v_fma_f32 v14, -v12, v2, v1
	s_delay_alu instid0(VALU_DEP_2) | instskip(NEXT) | instid1(VALU_DEP_1)
	v_cmp_ge_f32_e64 s2, 0, v13
	v_cndmask_b32_e64 v2, v2, v9, s2
	s_delay_alu instid0(VALU_DEP_3) | instskip(NEXT) | instid1(VALU_DEP_1)
	v_cmp_lt_f32_e64 s2, 0, v14
	v_cndmask_b32_e64 v2, v2, v12, s2
	s_delay_alu instid0(VALU_DEP_1) | instskip(NEXT) | instid1(VALU_DEP_1)
	v_mul_f32_e32 v9, 0x37800000, v2
	v_cndmask_b32_e32 v2, v2, v9, vcc_lo
	v_cmp_class_f32_e64 vcc_lo, v1, 0x260
	s_delay_alu instid0(VALU_DEP_2) | instskip(SKIP_1) | instid1(VALU_DEP_2)
	v_cndmask_b32_e32 v1, v2, v1, vcc_lo
	v_cmp_ne_u32_e32 vcc_lo, 1, v7
	v_mov_b32_e32 v2, v1
	s_cbranch_vccnz .LBB296_8
; %bb.7:
	global_load_u16 v2, v3, s[6:7] offset:192
	s_waitcnt vmcnt(0)
	v_lshlrev_b32_e32 v2, 16, v2
	s_delay_alu instid0(VALU_DEP_1)
	v_add_f32_e32 v2, v1, v2
.LBB296_8:
	v_cmp_lt_f32_e32 vcc_lo, v5, v11
	v_add_nc_u32_e32 v12, 32, v0
	v_add_nc_u32_e32 v15, 64, v0
	v_dual_mov_b32 v16, v6 :: v_dual_add_nc_u32 v3, 0x60, v0
	v_cndmask_b32_e32 v7, v8, v4, vcc_lo
	v_cndmask_b32_e32 v4, v4, v8, vcc_lo
	v_dual_cndmask_b32 v8, v11, v5 :: v_dual_cndmask_b32 v13, v5, v11
	v_cndmask_b32_e32 v9, v12, v0, vcc_lo
	v_cndmask_b32_e32 v12, v0, v12, vcc_lo
	s_mov_b32 s2, exec_lo
	v_cmpx_lt_f32_e32 v6, v2
	s_xor_b32 s2, exec_lo, s2
; %bb.9:
	v_dual_mov_b32 v11, v15 :: v_dual_mov_b32 v14, v6
	v_mov_b32_e32 v5, v10
	v_swap_b32 v10, v1
	v_swap_b32 v15, v3
	v_mov_b32_e32 v6, v2
	v_mov_b32_e32 v16, v2
	;; [unrolled: 1-line block ×3, first 2 shown]
; %bb.10:
	s_or_b32 exec_lo, exec_lo, s2
	s_delay_alu instid0(VALU_DEP_3)
	v_cmp_lt_f32_e32 vcc_lo, v13, v6
	s_mov_b32 s2, exec_lo
	v_dual_cndmask_b32 v14, v10, v4 :: v_dual_cndmask_b32 v5, v12, v15
	v_dual_cndmask_b32 v4, v4, v10 :: v_dual_cndmask_b32 v11, v15, v12
	v_cndmask_b32_e32 v12, v16, v13, vcc_lo
	v_dual_cndmask_b32 v6, v13, v6 :: v_dual_mov_b32 v13, v8
	v_cmpx_lt_f32_e32 v8, v2
; %bb.11:
	v_dual_mov_b32 v15, v8 :: v_dual_mov_b32 v8, v2
	v_dual_mov_b32 v10, v7 :: v_dual_mov_b32 v13, v9
	v_swap_b32 v7, v1
	v_swap_b32 v9, v3
	s_delay_alu instid0(VALU_DEP_4)
	v_dual_mov_b32 v13, v2 :: v_dual_mov_b32 v2, v15
; %bb.12:
	s_or_b32 exec_lo, exec_lo, s2
	s_clause 0x1
	s_load_b32 s8, s[0:1], 0x28
	s_load_b128 s[4:7], s[0:1], 0x10
	s_waitcnt lgkmcnt(0)
	s_cmp_lt_i32 s8, 1
	s_cbranch_scc1 .LBB296_18
; %bb.13:
	v_cmp_lt_f32_e32 vcc_lo, v8, v12
	v_dual_mov_b32 v15, 0 :: v_dual_mov_b32 v16, v0
	s_mov_b32 s9, 0x76543210
	s_mov_b32 s10, s8
	v_dual_cndmask_b32 v10, v11, v9 :: v_dual_cndmask_b32 v9, v9, v11
	v_cndmask_b32_e32 v11, v12, v8, vcc_lo
	v_dual_cndmask_b32 v12, v13, v12 :: v_dual_cndmask_b32 v13, v14, v7
	v_cndmask_b32_e32 v14, v7, v14, vcc_lo
	v_dual_mov_b32 v8, 0 :: v_dual_mov_b32 v7, 0
.LBB296_14:                             ; =>This Inner Loop Header: Depth=1
	v_cmp_eq_u32_e32 vcc_lo, 1, v15
	v_cmp_eq_u32_e64 s2, 2, v15
	v_cmp_gt_u32_e64 s3, 4, v15
	v_dual_cndmask_b32 v17, v6, v12 :: v_dual_cndmask_b32 v18, v5, v9
	v_cndmask_b32_e32 v19, v4, v14, vcc_lo
	v_cmp_eq_u32_e32 vcc_lo, 3, v15
	s_delay_alu instid0(VALU_DEP_3) | instskip(NEXT) | instid1(VALU_DEP_4)
	v_cndmask_b32_e64 v17, v17, v11, s2
	v_cndmask_b32_e64 v18, v18, v10, s2
	s_delay_alu instid0(VALU_DEP_1) | instskip(NEXT) | instid1(VALU_DEP_1)
	v_dual_cndmask_b32 v17, v17, v2 :: v_dual_cndmask_b32 v18, v18, v3
	v_cndmask_b32_e64 v17, 0xff800000, v17, s3
	;;#ASMSTART
	v_max_f32 v20, v17, v17 quad_perm:[1,0,3,2] row_mask:0xf bank_mask:0xf bound_ctrl:1
	;;#ASMEND
	;;#ASMSTART
	v_max_f32 v21, v20, v20 quad_perm:[2,3,0,1] row_mask:0xf bank_mask:0xf bound_ctrl:1
	;;#ASMEND
	;;#ASMSTART
	v_max_f32 v20, v21, v21 row_half_mirror row_mask:0xf bank_mask:0xf bound_ctrl:1
	;;#ASMEND
	;;#ASMSTART
	v_max_f32 v21, v20, v20 row_mirror row_mask:0xf bank_mask:0xf bound_ctrl:1
	;;#ASMEND
	v_permlanex16_b32 v20, v21, s9, 0xfedcba98 op_sel:[1,1]
	s_delay_alu instid0(VALU_DEP_1) | instskip(NEXT) | instid1(VALU_DEP_1)
	v_dual_max_f32 v21, v21, v21 :: v_dual_max_f32 v20, v20, v20
	v_max_f32_e32 v20, v21, v20
	v_cndmask_b32_e64 v19, v19, v13, s2
	s_delay_alu instid0(VALU_DEP_2) | instskip(SKIP_1) | instid1(VALU_DEP_2)
	v_cmp_eq_f32_e64 s2, v17, v20
	v_cndmask_b32_e64 v17, 0, v18, s3
	s_ctz_i32_b32 s11, s2
	s_cmp_lg_u32 s2, 0
	s_cselect_b32 s2, s11, 0
	s_add_i32 s10, s10, -1
	v_readlane_b32 s11, v17, s2
	v_cndmask_b32_e32 v17, v19, v1, vcc_lo
	s_delay_alu instid0(VALU_DEP_2)
	v_cmp_eq_u32_e32 vcc_lo, s11, v18
	s_and_b32 s2, s11, 31
	s_and_b32 vcc_lo, s3, vcc_lo
	s_cmp_eq_u32 s10, 0
	v_cndmask_b32_e32 v17, 0, v17, vcc_lo
	v_add_co_ci_u32_e32 v15, vcc_lo, 0, v15, vcc_lo
	s_delay_alu instid0(VALU_DEP_2) | instskip(SKIP_2) | instid1(VALU_DEP_2)
	v_readlane_b32 s3, v17, s2
	v_cmp_eq_u32_e64 s2, 0, v16
	v_add_nc_u32_e32 v16, -1, v16
	v_cndmask_b32_e64 v8, v8, s3, s2
	v_cndmask_b32_e64 v7, v7, s11, s2
	s_cbranch_scc0 .LBB296_14
; %bb.15:
	s_mov_b32 s2, exec_lo
	v_cmpx_gt_i32_e64 s8, v0
	s_cbranch_execz .LBB296_17
.LBB296_16:
	s_clause 0x1
	s_load_b64 s[2:3], s[0:1], 0x20
	s_load_b32 s8, s[0:1], 0x30
	s_ashr_i32 s0, s15, 31
	v_lshlrev_b32_e32 v0, 2, v0
	s_waitcnt lgkmcnt(0)
	s_mul_i32 s1, s15, s3
	s_mul_hi_u32 s3, s15, s2
	s_mul_i32 s0, s0, s2
	s_add_i32 s1, s3, s1
	v_mul_f32_e32 v1, s8, v8
	s_add_i32 s1, s1, s0
	s_mul_i32 s0, s15, s2
	s_delay_alu instid0(SALU_CYCLE_1) | instskip(NEXT) | instid1(SALU_CYCLE_1)
	s_lshl_b64 s[0:1], s[0:1], 2
	s_add_u32 s2, s4, s0
	s_addc_u32 s3, s5, s1
	s_add_u32 s0, s6, s0
	s_addc_u32 s1, s7, s1
	s_clause 0x1
	global_store_b32 v0, v1, s[2:3]
	global_store_b32 v0, v7, s[0:1]
.LBB296_17:
	s_nop 0
	s_sendmsg sendmsg(MSG_DEALLOC_VGPRS)
	s_endpgm
.LBB296_18:
	v_dual_mov_b32 v7, 0 :: v_dual_mov_b32 v8, 0
	s_mov_b32 s2, exec_lo
	v_cmpx_gt_i32_e64 s8, v0
	s_cbranch_execnz .LBB296_16
	s_branch .LBB296_17
	.section	.rodata,"a",@progbits
	.p2align	6, 0x0
	.amdhsa_kernel _ZN5aiter24topk_softplus_kernel_optI12hip_bfloat16S1_Li128ELb0ELi0EEEvPKT_PKT0_PfPimiif
		.amdhsa_group_segment_fixed_size 0
		.amdhsa_private_segment_fixed_size 0
		.amdhsa_kernarg_size 52
		.amdhsa_user_sgpr_count 15
		.amdhsa_user_sgpr_dispatch_ptr 0
		.amdhsa_user_sgpr_queue_ptr 0
		.amdhsa_user_sgpr_kernarg_segment_ptr 1
		.amdhsa_user_sgpr_dispatch_id 0
		.amdhsa_user_sgpr_private_segment_size 0
		.amdhsa_wavefront_size32 1
		.amdhsa_uses_dynamic_stack 0
		.amdhsa_enable_private_segment 0
		.amdhsa_system_sgpr_workgroup_id_x 1
		.amdhsa_system_sgpr_workgroup_id_y 0
		.amdhsa_system_sgpr_workgroup_id_z 0
		.amdhsa_system_sgpr_workgroup_info 0
		.amdhsa_system_vgpr_workitem_id 0
		.amdhsa_next_free_vgpr 22
		.amdhsa_next_free_sgpr 16
		.amdhsa_reserve_vcc 1
		.amdhsa_float_round_mode_32 0
		.amdhsa_float_round_mode_16_64 0
		.amdhsa_float_denorm_mode_32 3
		.amdhsa_float_denorm_mode_16_64 3
		.amdhsa_dx10_clamp 1
		.amdhsa_ieee_mode 1
		.amdhsa_fp16_overflow 0
		.amdhsa_workgroup_processor_mode 1
		.amdhsa_memory_ordered 1
		.amdhsa_forward_progress 0
		.amdhsa_shared_vgpr_count 0
		.amdhsa_exception_fp_ieee_invalid_op 0
		.amdhsa_exception_fp_denorm_src 0
		.amdhsa_exception_fp_ieee_div_zero 0
		.amdhsa_exception_fp_ieee_overflow 0
		.amdhsa_exception_fp_ieee_underflow 0
		.amdhsa_exception_fp_ieee_inexact 0
		.amdhsa_exception_int_div_zero 0
	.end_amdhsa_kernel
	.section	.text._ZN5aiter24topk_softplus_kernel_optI12hip_bfloat16S1_Li128ELb0ELi0EEEvPKT_PKT0_PfPimiif,"axG",@progbits,_ZN5aiter24topk_softplus_kernel_optI12hip_bfloat16S1_Li128ELb0ELi0EEEvPKT_PKT0_PfPimiif,comdat
.Lfunc_end296:
	.size	_ZN5aiter24topk_softplus_kernel_optI12hip_bfloat16S1_Li128ELb0ELi0EEEvPKT_PKT0_PfPimiif, .Lfunc_end296-_ZN5aiter24topk_softplus_kernel_optI12hip_bfloat16S1_Li128ELb0ELi0EEEvPKT_PKT0_PfPimiif
                                        ; -- End function
	.section	.AMDGPU.csdata,"",@progbits
; Kernel info:
; codeLenInByte = 2180
; NumSgprs: 18
; NumVgprs: 22
; ScratchSize: 0
; MemoryBound: 0
; FloatMode: 240
; IeeeMode: 1
; LDSByteSize: 0 bytes/workgroup (compile time only)
; SGPRBlocks: 2
; VGPRBlocks: 2
; NumSGPRsForWavesPerEU: 18
; NumVGPRsForWavesPerEU: 22
; Occupancy: 16
; WaveLimiterHint : 0
; COMPUTE_PGM_RSRC2:SCRATCH_EN: 0
; COMPUTE_PGM_RSRC2:USER_SGPR: 15
; COMPUTE_PGM_RSRC2:TRAP_HANDLER: 0
; COMPUTE_PGM_RSRC2:TGID_X_EN: 1
; COMPUTE_PGM_RSRC2:TGID_Y_EN: 0
; COMPUTE_PGM_RSRC2:TGID_Z_EN: 0
; COMPUTE_PGM_RSRC2:TIDIG_COMP_CNT: 0
	.section	.text._ZN5aiter24topk_softplus_kernel_optI12hip_bfloat16S1_Li256ELb1ELi0EEEvPKT_PKT0_PfPimiif,"axG",@progbits,_ZN5aiter24topk_softplus_kernel_optI12hip_bfloat16S1_Li256ELb1ELi0EEEvPKT_PKT0_PfPimiif,comdat
	.protected	_ZN5aiter24topk_softplus_kernel_optI12hip_bfloat16S1_Li256ELb1ELi0EEEvPKT_PKT0_PfPimiif ; -- Begin function _ZN5aiter24topk_softplus_kernel_optI12hip_bfloat16S1_Li256ELb1ELi0EEEvPKT_PKT0_PfPimiif
	.globl	_ZN5aiter24topk_softplus_kernel_optI12hip_bfloat16S1_Li256ELb1ELi0EEEvPKT_PKT0_PfPimiif
	.p2align	8
	.type	_ZN5aiter24topk_softplus_kernel_optI12hip_bfloat16S1_Li256ELb1ELi0EEEvPKT_PKT0_PfPimiif,@function
_ZN5aiter24topk_softplus_kernel_optI12hip_bfloat16S1_Li256ELb1ELi0EEEvPKT_PKT0_PfPimiif: ; @_ZN5aiter24topk_softplus_kernel_optI12hip_bfloat16S1_Li256ELb1ELi0EEEvPKT_PKT0_PfPimiif
; %bb.0:
	s_load_b128 s[4:7], s[0:1], 0x0
	s_lshl_b32 s2, s15, 8
	v_lshlrev_b32_e32 v3, 1, v0
	s_ashr_i32 s3, s2, 31
	s_delay_alu instid0(SALU_CYCLE_1)
	s_lshl_b64 s[2:3], s[2:3], 1
	s_waitcnt lgkmcnt(0)
	s_add_u32 s4, s4, s2
	s_addc_u32 s5, s5, s3
	s_cmp_lg_u64 s[6:7], 0
	global_load_u16 v1, v3, s[4:5]
	s_cselect_b32 s3, -1, 0
	s_waitcnt vmcnt(0)
	v_lshlrev_b32_e32 v1, 16, v1
	s_delay_alu instid0(VALU_DEP_1) | instskip(NEXT) | instid1(VALU_DEP_1)
	v_mul_f32_e32 v2, 0x3fb8aa3b, v1
	v_cmp_gt_f32_e32 vcc_lo, 0xc2fc0000, v2
	v_cndmask_b32_e64 v2, 0, 0x42800000, vcc_lo
	v_cndmask_b32_e64 v4, 1.0, 0x1f800000, vcc_lo
	s_delay_alu instid0(VALU_DEP_2) | instskip(NEXT) | instid1(VALU_DEP_1)
	v_fmac_f32_e32 v2, 0x3fb8aa3b, v1
	v_exp_f32_e32 v2, v2
	s_waitcnt_depctr 0xfff
	v_fma_f32 v2, v2, v4, 1.0
	s_delay_alu instid0(VALU_DEP_1) | instskip(SKIP_1) | instid1(VALU_DEP_1)
	v_cmp_gt_f32_e32 vcc_lo, 0x800000, v2
	v_cndmask_b32_e64 v4, 1.0, 0x4f800000, vcc_lo
	v_mul_f32_e32 v2, v2, v4
	v_cndmask_b32_e64 v4, 0, 0x42000000, vcc_lo
	v_cmp_lt_f32_e32 vcc_lo, 0x41a00000, v1
	s_delay_alu instid0(VALU_DEP_3) | instskip(SKIP_2) | instid1(VALU_DEP_1)
	v_log_f32_e32 v2, v2
	s_waitcnt_depctr 0xfff
	v_sub_f32_e32 v2, v2, v4
	v_mul_f32_e32 v2, 0x3f317218, v2
	s_delay_alu instid0(VALU_DEP_1) | instskip(NEXT) | instid1(VALU_DEP_1)
	v_cndmask_b32_e32 v1, v2, v1, vcc_lo
	v_mul_f32_e32 v2, 0x4f800000, v1
	v_cmp_gt_f32_e32 vcc_lo, 0xf800000, v1
	s_delay_alu instid0(VALU_DEP_2) | instskip(NEXT) | instid1(VALU_DEP_1)
	v_cndmask_b32_e32 v1, v1, v2, vcc_lo
	v_sqrt_f32_e32 v2, v1
	s_waitcnt_depctr 0xfff
	v_add_nc_u32_e32 v4, -1, v2
	v_add_nc_u32_e32 v5, 1, v2
	s_delay_alu instid0(VALU_DEP_2) | instskip(NEXT) | instid1(VALU_DEP_2)
	v_fma_f32 v6, -v4, v2, v1
	v_fma_f32 v7, -v5, v2, v1
	s_delay_alu instid0(VALU_DEP_2) | instskip(NEXT) | instid1(VALU_DEP_1)
	v_cmp_ge_f32_e64 s2, 0, v6
	v_cndmask_b32_e64 v2, v2, v4, s2
	s_delay_alu instid0(VALU_DEP_3) | instskip(NEXT) | instid1(VALU_DEP_1)
	v_cmp_lt_f32_e64 s2, 0, v7
	v_cndmask_b32_e64 v2, v2, v5, s2
	s_delay_alu instid0(VALU_DEP_1) | instskip(NEXT) | instid1(VALU_DEP_1)
	v_mul_f32_e32 v4, 0x37800000, v2
	v_cndmask_b32_e32 v2, v2, v4, vcc_lo
	v_cmp_class_f32_e64 vcc_lo, v1, 0x260
	s_delay_alu instid0(VALU_DEP_2) | instskip(SKIP_1) | instid1(VALU_DEP_1)
	v_cndmask_b32_e32 v56, v2, v1, vcc_lo
	v_add_co_u32 v1, s2, s4, v3
	v_add_co_ci_u32_e64 v2, null, s5, 0, s2
	s_delay_alu instid0(VALU_DEP_3)
	v_mov_b32_e32 v24, v56
	s_and_b32 vcc_lo, exec_lo, s3
	s_cbranch_vccz .LBB297_2
; %bb.1:
	global_load_u16 v4, v3, s[6:7]
	s_waitcnt vmcnt(0)
	v_lshlrev_b32_e32 v4, 16, v4
	s_delay_alu instid0(VALU_DEP_1)
	v_add_f32_e32 v24, v56, v4
.LBB297_2:
	global_load_u16 v4, v[1:2], off offset:64
	s_waitcnt vmcnt(0)
	v_lshlrev_b32_e32 v4, 16, v4
	s_delay_alu instid0(VALU_DEP_1) | instskip(NEXT) | instid1(VALU_DEP_1)
	v_mul_f32_e32 v5, 0x3fb8aa3b, v4
	v_cmp_gt_f32_e32 vcc_lo, 0xc2fc0000, v5
	v_cndmask_b32_e64 v5, 0, 0x42800000, vcc_lo
	v_cndmask_b32_e64 v6, 1.0, 0x1f800000, vcc_lo
	s_delay_alu instid0(VALU_DEP_2) | instskip(NEXT) | instid1(VALU_DEP_1)
	v_fmac_f32_e32 v5, 0x3fb8aa3b, v4
	v_exp_f32_e32 v5, v5
	s_waitcnt_depctr 0xfff
	v_fma_f32 v5, v5, v6, 1.0
	s_delay_alu instid0(VALU_DEP_1) | instskip(SKIP_1) | instid1(VALU_DEP_1)
	v_cmp_gt_f32_e32 vcc_lo, 0x800000, v5
	v_cndmask_b32_e64 v6, 1.0, 0x4f800000, vcc_lo
	v_mul_f32_e32 v5, v5, v6
	v_cndmask_b32_e64 v6, 0, 0x42000000, vcc_lo
	v_cmp_lt_f32_e32 vcc_lo, 0x41a00000, v4
	s_delay_alu instid0(VALU_DEP_3) | instskip(SKIP_2) | instid1(VALU_DEP_1)
	v_log_f32_e32 v5, v5
	s_waitcnt_depctr 0xfff
	v_sub_f32_e32 v5, v5, v6
	v_mul_f32_e32 v5, 0x3f317218, v5
	s_delay_alu instid0(VALU_DEP_1) | instskip(NEXT) | instid1(VALU_DEP_1)
	v_cndmask_b32_e32 v4, v5, v4, vcc_lo
	v_mul_f32_e32 v5, 0x4f800000, v4
	v_cmp_gt_f32_e32 vcc_lo, 0xf800000, v4
	s_delay_alu instid0(VALU_DEP_2) | instskip(NEXT) | instid1(VALU_DEP_1)
	v_cndmask_b32_e32 v5, v4, v5, vcc_lo
	v_sqrt_f32_e32 v4, v5
	s_waitcnt_depctr 0xfff
	v_add_nc_u32_e32 v6, -1, v4
	v_add_nc_u32_e32 v7, 1, v4
	s_delay_alu instid0(VALU_DEP_2) | instskip(NEXT) | instid1(VALU_DEP_2)
	v_fma_f32 v8, -v6, v4, v5
	v_fma_f32 v9, -v7, v4, v5
	s_delay_alu instid0(VALU_DEP_2) | instskip(NEXT) | instid1(VALU_DEP_1)
	v_cmp_ge_f32_e64 s2, 0, v8
	v_cndmask_b32_e64 v4, v4, v6, s2
	s_delay_alu instid0(VALU_DEP_3) | instskip(NEXT) | instid1(VALU_DEP_1)
	v_cmp_lt_f32_e64 s2, 0, v9
	v_cndmask_b32_e64 v4, v4, v7, s2
	s_delay_alu instid0(VALU_DEP_1) | instskip(NEXT) | instid1(VALU_DEP_1)
	v_mul_f32_e32 v6, 0x37800000, v4
	v_cndmask_b32_e32 v6, v4, v6, vcc_lo
	v_cmp_class_f32_e64 vcc_lo, v5, 0x260
	v_cndmask_b32_e64 v4, 0, 1, s3
	s_delay_alu instid0(VALU_DEP_3) | instskip(SKIP_1) | instid1(VALU_DEP_1)
	v_cndmask_b32_e32 v9, v6, v5, vcc_lo
	s_and_not1_b32 vcc_lo, exec_lo, s3
	v_mov_b32_e32 v25, v9
	s_cbranch_vccnz .LBB297_4
; %bb.3:
	global_load_u16 v5, v3, s[6:7] offset:64
	s_waitcnt vmcnt(0)
	v_lshlrev_b32_e32 v5, 16, v5
	s_delay_alu instid0(VALU_DEP_1)
	v_add_f32_e32 v25, v9, v5
.LBB297_4:
	global_load_u16 v5, v[1:2], off offset:128
	s_waitcnt vmcnt(0)
	v_lshlrev_b32_e32 v5, 16, v5
	s_delay_alu instid0(VALU_DEP_1) | instskip(NEXT) | instid1(VALU_DEP_1)
	v_mul_f32_e32 v6, 0x3fb8aa3b, v5
	v_cmp_gt_f32_e32 vcc_lo, 0xc2fc0000, v6
	v_cndmask_b32_e64 v6, 0, 0x42800000, vcc_lo
	v_cndmask_b32_e64 v7, 1.0, 0x1f800000, vcc_lo
	s_delay_alu instid0(VALU_DEP_2) | instskip(NEXT) | instid1(VALU_DEP_1)
	v_fmac_f32_e32 v6, 0x3fb8aa3b, v5
	v_exp_f32_e32 v6, v6
	s_waitcnt_depctr 0xfff
	v_fma_f32 v6, v6, v7, 1.0
	s_delay_alu instid0(VALU_DEP_1) | instskip(SKIP_1) | instid1(VALU_DEP_1)
	v_cmp_gt_f32_e32 vcc_lo, 0x800000, v6
	v_cndmask_b32_e64 v7, 1.0, 0x4f800000, vcc_lo
	v_mul_f32_e32 v6, v6, v7
	v_cndmask_b32_e64 v7, 0, 0x42000000, vcc_lo
	v_cmp_lt_f32_e32 vcc_lo, 0x41a00000, v5
	s_delay_alu instid0(VALU_DEP_3) | instskip(SKIP_2) | instid1(VALU_DEP_1)
	v_log_f32_e32 v6, v6
	s_waitcnt_depctr 0xfff
	v_sub_f32_e32 v6, v6, v7
	v_mul_f32_e32 v6, 0x3f317218, v6
	s_delay_alu instid0(VALU_DEP_1) | instskip(NEXT) | instid1(VALU_DEP_1)
	v_cndmask_b32_e32 v5, v6, v5, vcc_lo
	v_mul_f32_e32 v6, 0x4f800000, v5
	v_cmp_gt_f32_e32 vcc_lo, 0xf800000, v5
	s_delay_alu instid0(VALU_DEP_2) | instskip(NEXT) | instid1(VALU_DEP_1)
	v_cndmask_b32_e32 v5, v5, v6, vcc_lo
	v_sqrt_f32_e32 v6, v5
	s_waitcnt_depctr 0xfff
	v_add_nc_u32_e32 v7, -1, v6
	v_add_nc_u32_e32 v8, 1, v6
	s_delay_alu instid0(VALU_DEP_2) | instskip(NEXT) | instid1(VALU_DEP_2)
	v_fma_f32 v10, -v7, v6, v5
	v_fma_f32 v11, -v8, v6, v5
	s_delay_alu instid0(VALU_DEP_2) | instskip(NEXT) | instid1(VALU_DEP_1)
	v_cmp_ge_f32_e64 s2, 0, v10
	v_cndmask_b32_e64 v6, v6, v7, s2
	s_delay_alu instid0(VALU_DEP_3) | instskip(NEXT) | instid1(VALU_DEP_1)
	v_cmp_lt_f32_e64 s2, 0, v11
	v_cndmask_b32_e64 v6, v6, v8, s2
	s_delay_alu instid0(VALU_DEP_1) | instskip(NEXT) | instid1(VALU_DEP_1)
	v_mul_f32_e32 v7, 0x37800000, v6
	v_cndmask_b32_e32 v6, v6, v7, vcc_lo
	v_cmp_class_f32_e64 vcc_lo, v5, 0x260
	s_delay_alu instid0(VALU_DEP_2) | instskip(SKIP_1) | instid1(VALU_DEP_2)
	v_cndmask_b32_e32 v10, v6, v5, vcc_lo
	v_cmp_ne_u32_e32 vcc_lo, 1, v4
	v_mov_b32_e32 v26, v10
	s_cbranch_vccnz .LBB297_6
; %bb.5:
	global_load_u16 v5, v3, s[6:7] offset:128
	s_waitcnt vmcnt(0)
	v_lshlrev_b32_e32 v5, 16, v5
	s_delay_alu instid0(VALU_DEP_1)
	v_add_f32_e32 v26, v10, v5
.LBB297_6:
	global_load_u16 v5, v[1:2], off offset:192
	s_waitcnt vmcnt(0)
	v_lshlrev_b32_e32 v5, 16, v5
	s_delay_alu instid0(VALU_DEP_1) | instskip(NEXT) | instid1(VALU_DEP_1)
	v_mul_f32_e32 v6, 0x3fb8aa3b, v5
	v_cmp_gt_f32_e32 vcc_lo, 0xc2fc0000, v6
	v_cndmask_b32_e64 v6, 0, 0x42800000, vcc_lo
	v_cndmask_b32_e64 v7, 1.0, 0x1f800000, vcc_lo
	s_delay_alu instid0(VALU_DEP_2) | instskip(NEXT) | instid1(VALU_DEP_1)
	v_fmac_f32_e32 v6, 0x3fb8aa3b, v5
	v_exp_f32_e32 v6, v6
	s_waitcnt_depctr 0xfff
	v_fma_f32 v6, v6, v7, 1.0
	s_delay_alu instid0(VALU_DEP_1) | instskip(SKIP_1) | instid1(VALU_DEP_1)
	v_cmp_gt_f32_e32 vcc_lo, 0x800000, v6
	v_cndmask_b32_e64 v7, 1.0, 0x4f800000, vcc_lo
	v_mul_f32_e32 v6, v6, v7
	v_cndmask_b32_e64 v7, 0, 0x42000000, vcc_lo
	v_cmp_lt_f32_e32 vcc_lo, 0x41a00000, v5
	s_delay_alu instid0(VALU_DEP_3) | instskip(SKIP_2) | instid1(VALU_DEP_1)
	v_log_f32_e32 v6, v6
	s_waitcnt_depctr 0xfff
	v_sub_f32_e32 v6, v6, v7
	v_mul_f32_e32 v6, 0x3f317218, v6
	s_delay_alu instid0(VALU_DEP_1) | instskip(NEXT) | instid1(VALU_DEP_1)
	v_cndmask_b32_e32 v5, v6, v5, vcc_lo
	v_mul_f32_e32 v6, 0x4f800000, v5
	v_cmp_gt_f32_e32 vcc_lo, 0xf800000, v5
	s_delay_alu instid0(VALU_DEP_2) | instskip(NEXT) | instid1(VALU_DEP_1)
	v_cndmask_b32_e32 v5, v5, v6, vcc_lo
	v_sqrt_f32_e32 v6, v5
	s_waitcnt_depctr 0xfff
	v_add_nc_u32_e32 v7, -1, v6
	v_add_nc_u32_e32 v8, 1, v6
	s_delay_alu instid0(VALU_DEP_2) | instskip(NEXT) | instid1(VALU_DEP_2)
	v_fma_f32 v11, -v7, v6, v5
	v_fma_f32 v12, -v8, v6, v5
	s_delay_alu instid0(VALU_DEP_2) | instskip(NEXT) | instid1(VALU_DEP_1)
	v_cmp_ge_f32_e64 s2, 0, v11
	v_cndmask_b32_e64 v6, v6, v7, s2
	s_delay_alu instid0(VALU_DEP_3) | instskip(NEXT) | instid1(VALU_DEP_1)
	v_cmp_lt_f32_e64 s2, 0, v12
	v_cndmask_b32_e64 v6, v6, v8, s2
	s_delay_alu instid0(VALU_DEP_1) | instskip(NEXT) | instid1(VALU_DEP_1)
	v_mul_f32_e32 v7, 0x37800000, v6
	v_cndmask_b32_e32 v6, v6, v7, vcc_lo
	v_cmp_class_f32_e64 vcc_lo, v5, 0x260
	s_delay_alu instid0(VALU_DEP_2) | instskip(SKIP_1) | instid1(VALU_DEP_2)
	v_cndmask_b32_e32 v11, v6, v5, vcc_lo
	v_cmp_ne_u32_e32 vcc_lo, 1, v4
	;; [unrolled: 59-line block ×5, first 2 shown]
	v_mov_b32_e32 v30, v14
	s_cbranch_vccnz .LBB297_14
; %bb.13:
	global_load_u16 v5, v3, s[6:7] offset:384
	s_waitcnt vmcnt(0)
	v_lshlrev_b32_e32 v5, 16, v5
	s_delay_alu instid0(VALU_DEP_1)
	v_add_f32_e32 v30, v14, v5
.LBB297_14:
	global_load_u16 v1, v[1:2], off offset:448
	s_waitcnt vmcnt(0)
	v_lshlrev_b32_e32 v1, 16, v1
	s_delay_alu instid0(VALU_DEP_1) | instskip(NEXT) | instid1(VALU_DEP_1)
	v_mul_f32_e32 v2, 0x3fb8aa3b, v1
	v_cmp_gt_f32_e32 vcc_lo, 0xc2fc0000, v2
	v_cndmask_b32_e64 v2, 0, 0x42800000, vcc_lo
	v_cndmask_b32_e64 v5, 1.0, 0x1f800000, vcc_lo
	s_delay_alu instid0(VALU_DEP_2) | instskip(NEXT) | instid1(VALU_DEP_1)
	v_fmac_f32_e32 v2, 0x3fb8aa3b, v1
	v_exp_f32_e32 v2, v2
	s_waitcnt_depctr 0xfff
	v_fma_f32 v2, v2, v5, 1.0
	s_delay_alu instid0(VALU_DEP_1) | instskip(SKIP_1) | instid1(VALU_DEP_1)
	v_cmp_gt_f32_e32 vcc_lo, 0x800000, v2
	v_cndmask_b32_e64 v5, 1.0, 0x4f800000, vcc_lo
	v_mul_f32_e32 v2, v2, v5
	v_cndmask_b32_e64 v5, 0, 0x42000000, vcc_lo
	s_delay_alu instid0(VALU_DEP_2) | instskip(SKIP_2) | instid1(VALU_DEP_1)
	v_log_f32_e32 v2, v2
	s_waitcnt_depctr 0xfff
	v_sub_f32_e32 v2, v2, v5
	v_mul_f32_e32 v2, 0x3f317218, v2
	v_cmp_lt_f32_e32 vcc_lo, 0x41a00000, v1
	s_delay_alu instid0(VALU_DEP_2) | instskip(NEXT) | instid1(VALU_DEP_1)
	v_cndmask_b32_e32 v1, v2, v1, vcc_lo
	v_mul_f32_e32 v2, 0x4f800000, v1
	v_cmp_gt_f32_e32 vcc_lo, 0xf800000, v1
	s_delay_alu instid0(VALU_DEP_2) | instskip(NEXT) | instid1(VALU_DEP_1)
	v_cndmask_b32_e32 v1, v1, v2, vcc_lo
	v_sqrt_f32_e32 v2, v1
	s_waitcnt_depctr 0xfff
	v_add_nc_u32_e32 v5, -1, v2
	v_add_nc_u32_e32 v6, 1, v2
	s_delay_alu instid0(VALU_DEP_2) | instskip(NEXT) | instid1(VALU_DEP_2)
	v_fma_f32 v7, -v5, v2, v1
	v_fma_f32 v8, -v6, v2, v1
	s_delay_alu instid0(VALU_DEP_2) | instskip(NEXT) | instid1(VALU_DEP_1)
	v_cmp_ge_f32_e64 s2, 0, v7
	v_cndmask_b32_e64 v2, v2, v5, s2
	s_delay_alu instid0(VALU_DEP_3) | instskip(NEXT) | instid1(VALU_DEP_1)
	v_cmp_lt_f32_e64 s2, 0, v8
	v_cndmask_b32_e64 v2, v2, v6, s2
	s_delay_alu instid0(VALU_DEP_1) | instskip(NEXT) | instid1(VALU_DEP_1)
	v_mul_f32_e32 v5, 0x37800000, v2
	v_cndmask_b32_e32 v2, v2, v5, vcc_lo
	v_cmp_class_f32_e64 vcc_lo, v1, 0x260
	s_delay_alu instid0(VALU_DEP_2)
	v_cndmask_b32_e32 v15, v2, v1, vcc_lo
	v_cmp_ne_u32_e32 vcc_lo, 1, v4
	s_cbranch_vccnz .LBB297_16
; %bb.15:
	global_load_u16 v1, v3, s[6:7] offset:448
	s_waitcnt vmcnt(0)
	v_lshlrev_b32_e32 v1, 16, v1
	s_delay_alu instid0(VALU_DEP_1)
	v_add_f32_e32 v31, v15, v1
	s_branch .LBB297_17
.LBB297_16:
	s_delay_alu instid0(VALU_DEP_2)
	v_mov_b32_e32 v31, v15
.LBB297_17:
	v_add_nc_u32_e32 v7, 0xe0, v0
	v_dual_mov_b32 v16, v24 :: v_dual_add_nc_u32 v1, 32, v0
	v_dual_mov_b32 v17, v25 :: v_dual_add_nc_u32 v2, 64, v0
	;; [unrolled: 1-line block ×6, first 2 shown]
	v_dual_mov_b32 v22, v30 :: v_dual_mov_b32 v39, v7
	s_delay_alu instid0(VALU_DEP_2)
	v_dual_mov_b32 v47, v7 :: v_dual_mov_b32 v46, v6
	v_dual_mov_b32 v71, v7 :: v_dual_mov_b32 v70, v6
	;; [unrolled: 1-line block ×16, first 2 shown]
	v_mov_b32_e32 v8, v56
	s_mov_b32 s2, exec_lo
	v_cmpx_lt_f32_e32 v24, v25
	s_xor_b32 s2, exec_lo, s2
	s_cbranch_execz .LBB297_19
; %bb.18:
	v_dual_mov_b32 v38, v6 :: v_dual_mov_b32 v39, v7
	v_dual_mov_b32 v32, v1 :: v_dual_mov_b32 v33, v0
	;; [unrolled: 1-line block ×4, first 2 shown]
	s_delay_alu instid0(VALU_DEP_4)
	v_dual_mov_b32 v47, v39 :: v_dual_mov_b32 v46, v38
	v_dual_mov_b32 v71, v39 :: v_dual_mov_b32 v70, v38
	;; [unrolled: 1-line block ×17, first 2 shown]
	v_mov_b32_e32 v9, v56
	v_mov_b32_e32 v1, v0
.LBB297_19:
	s_or_b32 exec_lo, exec_lo, s2
	v_dual_mov_b32 v63, v15 :: v_dual_mov_b32 v62, v14
	v_dual_mov_b32 v79, v15 :: v_dual_mov_b32 v78, v14
	;; [unrolled: 1-line block ×16, first 2 shown]
	v_mov_b32_e32 v24, v18
	s_mov_b32 s2, exec_lo
	v_cmpx_lt_f32_e32 v25, v18
	s_cbranch_execz .LBB297_21
; %bb.20:
	v_dual_mov_b32 v55, v39 :: v_dual_mov_b32 v54, v38
	v_dual_mov_b32 v51, v35 :: v_dual_mov_b32 v50, v34
	;; [unrolled: 1-line block ×16, first 2 shown]
	v_mov_b32_e32 v83, v11
	v_dual_mov_b32 v85, v93 :: v_dual_mov_b32 v86, v94
	v_dual_mov_b32 v87, v95 :: v_dual_mov_b32 v40, v64
	;; [unrolled: 1-line block ×3, first 2 shown]
	v_mov_b32_e32 v42, v66
	v_dual_mov_b32 v17, v18 :: v_dual_mov_b32 v72, v80
	v_dual_mov_b32 v41, v65 :: v_dual_mov_b32 v44, v68
	;; [unrolled: 1-line block ×10, first 2 shown]
	s_delay_alu instid0(VALU_DEP_2)
	v_dual_mov_b32 v56, v72 :: v_dual_mov_b32 v57, v73
	v_dual_mov_b32 v36, v44 :: v_dual_mov_b32 v37, v45
	;; [unrolled: 1-line block ×11, first 2 shown]
	v_mov_b32_e32 v2, v1
.LBB297_21:
	s_or_b32 exec_lo, exec_lo, s2
	v_mov_b32_e32 v1, v19
	s_mov_b32 s2, exec_lo
	v_cmpx_lt_f32_e32 v24, v19
	s_cbranch_execz .LBB297_23
; %bb.22:
	v_mov_b32_e32 v90, v11
	v_mov_b32_e32 v50, v3
	v_dual_mov_b32 v80, v88 :: v_dual_mov_b32 v81, v89
	v_dual_mov_b32 v71, v55 :: v_dual_mov_b32 v70, v54
	v_dual_mov_b32 v69, v53 :: v_dual_mov_b32 v64, v48
	s_delay_alu instid0(VALU_DEP_4)
	v_dual_mov_b32 v83, v91 :: v_dual_mov_b32 v66, v50
	v_dual_mov_b32 v65, v49 :: v_dual_mov_b32 v68, v52
	;; [unrolled: 1-line block ×3, first 2 shown]
	v_mov_b32_e32 v67, v2
	v_dual_mov_b32 v82, v90 :: v_dual_mov_b32 v87, v95
	v_dual_mov_b32 v85, v93 :: v_dual_mov_b32 v86, v94
	;; [unrolled: 1-line block ×11, first 2 shown]
	v_mov_b32_e32 v44, v4
	v_dual_mov_b32 v56, v72 :: v_dual_mov_b32 v57, v73
	v_dual_mov_b32 v32, v40 :: v_dual_mov_b32 v35, v43
	;; [unrolled: 1-line block ×3, first 2 shown]
	s_delay_alu instid0(VALU_DEP_4)
	v_dual_mov_b32 v37, v45 :: v_dual_mov_b32 v36, v44
	v_dual_mov_b32 v39, v47 :: v_dual_mov_b32 v38, v46
	;; [unrolled: 1-line block ×3, first 2 shown]
	v_mov_b32_e32 v63, v79
	v_dual_mov_b32 v61, v77 :: v_dual_mov_b32 v62, v78
	v_mov_b32_e32 v39, v7
	v_dual_mov_b32 v18, v19 :: v_dual_mov_b32 v19, v24
	v_dual_mov_b32 v60, v76 :: v_dual_mov_b32 v37, v5
	;; [unrolled: 1-line block ×4, first 2 shown]
	v_mov_b32_e32 v1, v24
	v_mov_b32_e32 v11, v10
	;; [unrolled: 1-line block ×3, first 2 shown]
.LBB297_23:
	s_or_b32 exec_lo, exec_lo, s2
	v_mov_b32_e32 v2, v20
	s_mov_b32 s2, exec_lo
	v_cmpx_lt_f32_e32 v1, v20
	s_cbranch_execz .LBB297_25
; %bb.24:
	v_mov_b32_e32 v91, v12
	v_mov_b32_e32 v51, v4
	v_mov_b32_e32 v72, v88
	v_mov_b32_e32 v74, v90
	v_dual_mov_b32 v40, v48 :: v_dual_mov_b32 v41, v49
	v_dual_mov_b32 v42, v50 :: v_dual_mov_b32 v47, v55
	;; [unrolled: 1-line block ×4, first 2 shown]
	v_mov_b32_e32 v44, v3
	v_dual_mov_b32 v76, v11 :: v_dual_mov_b32 v19, v20
	v_dual_mov_b32 v45, v53 :: v_dual_mov_b32 v46, v54
	;; [unrolled: 1-line block ×4, first 2 shown]
	v_mov_b32_e32 v73, v89
	v_mov_b32_e32 v56, v72
	v_dual_mov_b32 v32, v40 :: v_dual_mov_b32 v33, v41
	v_dual_mov_b32 v60, v76 :: v_dual_mov_b32 v61, v77
	;; [unrolled: 1-line block ×9, first 2 shown]
	v_mov_b32_e32 v59, v75
	v_dual_mov_b32 v37, v5 :: v_dual_mov_b32 v38, v6
	v_dual_mov_b32 v39, v7 :: v_dual_mov_b32 v62, v14
	;; [unrolled: 1-line block ×10, first 2 shown]
	v_mov_b32_e32 v4, v3
.LBB297_25:
	s_or_b32 exec_lo, exec_lo, s2
	v_mov_b32_e32 v1, v21
	s_mov_b32 s2, exec_lo
	v_cmpx_lt_f32_e32 v2, v21
	s_cbranch_execz .LBB297_27
; %bb.26:
	v_mov_b32_e32 v68, v5
	v_dual_mov_b32 v20, v21 :: v_dual_mov_b32 v21, v2
	v_mov_b32_e32 v84, v13
	v_dual_mov_b32 v32, v64 :: v_dual_mov_b32 v33, v65
	v_dual_mov_b32 v39, v71 :: v_dual_mov_b32 v56, v80
	;; [unrolled: 1-line block ×7, first 2 shown]
	v_mov_b32_e32 v61, v12
	v_dual_mov_b32 v72, v80 :: v_dual_mov_b32 v73, v81
	v_dual_mov_b32 v40, v64 :: v_dual_mov_b32 v41, v65
	;; [unrolled: 1-line block ×9, first 2 shown]
	v_mov_b32_e32 v45, v69
	v_mov_b32_e32 v1, v2
	;; [unrolled: 1-line block ×3, first 2 shown]
	v_dual_mov_b32 v5, v4 :: v_dual_mov_b32 v78, v86
	v_dual_mov_b32 v79, v87 :: v_dual_mov_b32 v46, v70
	v_mov_b32_e32 v47, v71
.LBB297_27:
	s_or_b32 exec_lo, exec_lo, s2
	v_mov_b32_e32 v2, v22
	s_mov_b32 s2, exec_lo
	v_cmpx_lt_f32_e32 v1, v22
	s_cbranch_execz .LBB297_29
; %bb.28:
	v_dual_mov_b32 v77, v14 :: v_dual_mov_b32 v78, v13
	v_dual_mov_b32 v45, v6 :: v_dual_mov_b32 v46, v5
	v_mov_b32_e32 v79, v15
	v_dual_mov_b32 v21, v22 :: v_dual_mov_b32 v22, v1
	v_dual_mov_b32 v47, v7 :: v_dual_mov_b32 v56, v72
	;; [unrolled: 1-line block ×10, first 2 shown]
.LBB297_29:
	s_or_b32 exec_lo, exec_lo, s2
	s_delay_alu instid0(VALU_DEP_1)
	v_cmp_lt_f32_e32 vcc_lo, v2, v23
	v_mov_b32_e32 v43, v59
	v_cmp_lt_f32_e64 s2, v16, v17
	v_dual_mov_b32 v41, v57 :: v_dual_mov_b32 v42, v58
	v_dual_cndmask_b32 v9, v23, v2 :: v_dual_mov_b32 v44, v60
	v_dual_cndmask_b32 v22, v22, v23 :: v_dual_cndmask_b32 v47, v63, v62
	s_delay_alu instid0(VALU_DEP_2)
	v_dual_mov_b32 v40, v56 :: v_dual_mov_b32 v23, v9
	v_dual_cndmask_b32 v46, v62, v63 :: v_dual_mov_b32 v1, v16
	v_dual_mov_b32 v4, v19 :: v_dual_mov_b32 v45, v61
	v_dual_cndmask_b32 v54, v38, v39 :: v_dual_cndmask_b32 v55, v39, v38
	v_dual_mov_b32 v2, v17 :: v_dual_mov_b32 v3, v18
	v_dual_mov_b32 v6, v21 :: v_dual_mov_b32 v5, v20
	;; [unrolled: 1-line block ×6, first 2 shown]
	s_and_saveexec_b32 s3, s2
	s_delay_alu instid0(SALU_CYCLE_1)
	s_xor_b32 s2, exec_lo, s3
	s_cbranch_execz .LBB297_31
; %bb.30:
	v_dual_mov_b32 v2, v17 :: v_dual_mov_b32 v3, v16
	v_dual_mov_b32 v4, v18 :: v_dual_mov_b32 v5, v19
	;; [unrolled: 1-line block ×4, first 2 shown]
	s_delay_alu instid0(VALU_DEP_4)
	v_dual_mov_b32 v1, v2 :: v_dual_mov_b32 v40, v57
	v_dual_mov_b32 v2, v3 :: v_dual_mov_b32 v41, v56
	;; [unrolled: 1-line block ×10, first 2 shown]
.LBB297_31:
	s_or_b32 exec_lo, exec_lo, s2
	v_dual_mov_b32 v26, v40 :: v_dual_mov_b32 v27, v41
	v_dual_mov_b32 v79, v47 :: v_dual_mov_b32 v78, v46
	;; [unrolled: 1-line block ×22, first 2 shown]
	v_mov_b32_e32 v34, v3
	s_mov_b32 s2, exec_lo
	v_dual_mov_b32 v77, v45 :: v_dual_mov_b32 v76, v44
	v_dual_mov_b32 v69, v53 :: v_dual_mov_b32 v68, v52
	v_cmpx_lt_f32_e32 v17, v3
	s_cbranch_execz .LBB297_33
; %bb.32:
	v_dual_mov_b32 v9, v48 :: v_dual_mov_b32 v10, v49
	v_dual_mov_b32 v15, v54 :: v_dual_mov_b32 v16, v55
	v_mov_b32_e32 v10, v50
	v_dual_mov_b32 v11, v50 :: v_dual_mov_b32 v12, v51
	v_dual_mov_b32 v13, v52 :: v_dual_mov_b32 v14, v53
	;; [unrolled: 1-line block ×3, first 2 shown]
	v_mov_b32_e32 v11, v49
	v_dual_mov_b32 v59, v43 :: v_dual_mov_b32 v58, v42
	v_dual_mov_b32 v57, v41 :: v_dual_mov_b32 v56, v40
	v_dual_mov_b32 v61, v45 :: v_dual_mov_b32 v60, v44
	v_dual_mov_b32 v57, v42 :: v_dual_mov_b32 v58, v41
	v_dual_mov_b32 v71, v16 :: v_dual_mov_b32 v70, v15
	v_dual_mov_b32 v65, v10 :: v_dual_mov_b32 v64, v9
	v_dual_mov_b32 v69, v14 :: v_dual_mov_b32 v68, v13
	v_dual_mov_b32 v79, v63 :: v_dual_mov_b32 v76, v60
	v_dual_mov_b32 v67, v12 :: v_dual_mov_b32 v66, v11
	v_dual_mov_b32 v75, v59 :: v_dual_mov_b32 v72, v56
	v_dual_mov_b32 v67, v51 :: v_dual_mov_b32 v78, v62
	v_dual_mov_b32 v77, v61 :: v_dual_mov_b32 v74, v58
	v_dual_mov_b32 v73, v57 :: v_dual_mov_b32 v18, v64
	v_dual_mov_b32 v75, v43 :: v_dual_mov_b32 v20, v66
	v_mov_b32_e32 v23, v69
	v_dual_mov_b32 v23, v53 :: v_dual_mov_b32 v26, v72
	v_dual_mov_b32 v19, v65 :: v_dual_mov_b32 v22, v68
	;; [unrolled: 1-line block ×12, first 2 shown]
	v_mov_b32_e32 v42, v41
	v_mov_b32_e32 v50, v49
.LBB297_33:
	s_or_b32 exec_lo, exec_lo, s2
	v_mov_b32_e32 v17, v4
	s_mov_b32 s2, exec_lo
	v_cmpx_lt_f32_e32 v34, v4
	s_cbranch_execz .LBB297_35
; %bb.34:
	v_mov_b32_e32 v11, v51
	v_dual_mov_b32 v3, v4 :: v_dual_mov_b32 v4, v34
	v_dual_mov_b32 v58, v43 :: v_dual_mov_b32 v71, v16
	v_mov_b32_e32 v64, v9
	v_dual_mov_b32 v70, v15 :: v_dual_mov_b32 v69, v14
	v_dual_mov_b32 v79, v63 :: v_dual_mov_b32 v76, v60
	;; [unrolled: 1-line block ×5, first 2 shown]
	v_mov_b32_e32 v67, v50
	v_dual_mov_b32 v78, v62 :: v_dual_mov_b32 v77, v61
	v_dual_mov_b32 v74, v58 :: v_dual_mov_b32 v73, v57
	;; [unrolled: 1-line block ×14, first 2 shown]
	v_mov_b32_e32 v33, v47
	v_mov_b32_e32 v17, v34
	;; [unrolled: 1-line block ×4, first 2 shown]
.LBB297_35:
	s_or_b32 exec_lo, exec_lo, s2
	v_mov_b32_e32 v12, v5
	s_mov_b32 s2, exec_lo
	v_cmpx_lt_f32_e32 v17, v5
	s_cbranch_execz .LBB297_37
; %bb.36:
	v_mov_b32_e32 v12, v52
	v_dual_mov_b32 v4, v5 :: v_dual_mov_b32 v59, v44
	v_mov_b32_e32 v5, v17
	v_dual_mov_b32 v25, v16 :: v_dual_mov_b32 v24, v15
	v_dual_mov_b32 v26, v56 :: v_dual_mov_b32 v27, v57
	;; [unrolled: 1-line block ×19, first 2 shown]
	v_mov_b32_e32 v12, v17
	v_mov_b32_e32 v44, v43
	v_dual_mov_b32 v52, v51 :: v_dual_mov_b32 v77, v61
	v_mov_b32_e32 v76, v60
.LBB297_37:
	s_or_b32 exec_lo, exec_lo, s2
	v_mov_b32_e32 v9, v6
	s_mov_b32 s2, exec_lo
	v_cmpx_lt_f32_e32 v12, v6
	s_cbranch_execz .LBB297_39
; %bb.38:
	v_dual_mov_b32 v68, v53 :: v_dual_mov_b32 v69, v52
	v_dual_mov_b32 v70, v54 :: v_dual_mov_b32 v77, v44
	;; [unrolled: 1-line block ×13, first 2 shown]
	v_mov_b32_e32 v9, v12
.LBB297_39:
	s_or_b32 exec_lo, exec_lo, s2
	s_delay_alu instid0(VALU_DEP_1)
	v_cmp_lt_f32_e32 vcc_lo, v9, v7
	v_mov_b32_e32 v11, v3
	v_mov_b32_e32 v13, v5
	s_mov_b32 s2, exec_lo
	v_dual_mov_b32 v10, v2 :: v_dual_cndmask_b32 v17, v32, v31
	v_dual_cndmask_b32 v31, v31, v32 :: v_dual_cndmask_b32 v66, v24, v23
	v_dual_cndmask_b32 v23, v23, v24 :: v_dual_cndmask_b32 v14, v6, v7
	v_dual_cndmask_b32 v15, v7, v9 :: v_dual_mov_b32 v12, v4
	v_dual_mov_b32 v9, v1 :: v_dual_mov_b32 v16, v8
	v_cmpx_lt_f32_e32 v1, v2
	s_cbranch_execz .LBB297_41
; %bb.40:
	s_delay_alu instid0(VALU_DEP_2) | instskip(NEXT) | instid1(VALU_DEP_3)
	v_dual_mov_b32 v2, v10 :: v_dual_mov_b32 v3, v9
	v_dual_mov_b32 v8, v15 :: v_dual_mov_b32 v9, v16
	;; [unrolled: 1-line block ×4, first 2 shown]
	s_delay_alu instid0(VALU_DEP_3) | instskip(NEXT) | instid1(VALU_DEP_4)
	v_mov_b32_e32 v16, v9
	v_dual_mov_b32 v24, v26 :: v_dual_mov_b32 v15, v8
	s_delay_alu instid0(VALU_DEP_4)
	v_dual_mov_b32 v32, v18 :: v_dual_mov_b32 v11, v4
	v_swap_b32 v26, v27
	v_swap_b32 v18, v19
	v_dual_mov_b32 v14, v7 :: v_dual_mov_b32 v13, v6
	v_mov_b32_e32 v12, v5
	v_dual_mov_b32 v10, v3 :: v_dual_mov_b32 v9, v2
	v_mov_b32_e32 v2, v1
.LBB297_41:
	s_or_b32 exec_lo, exec_lo, s2
	v_mov_b32_e32 v24, v66
	v_mov_b32_e32 v32, v17
	;; [unrolled: 1-line block ×4, first 2 shown]
	s_delay_alu instid0(VALU_DEP_4)
	v_dual_mov_b32 v41, v33 :: v_dual_mov_b32 v48, v24
	v_dual_mov_b32 v34, v26 :: v_dual_mov_b32 v65, v33
	;; [unrolled: 1-line block ×15, first 2 shown]
	v_mov_b32_e32 v50, v18
	s_mov_b32 s2, exec_lo
	v_cmpx_lt_f32_e32 v2, v11
	s_cbranch_execz .LBB297_43
; %bb.42:
	v_dual_mov_b32 v57, v25 :: v_dual_mov_b32 v56, v24
	v_dual_mov_b32 v53, v21 :: v_dual_mov_b32 v52, v20
	;; [unrolled: 1-line block ×7, first 2 shown]
	s_delay_alu instid0(VALU_DEP_4)
	v_dual_mov_b32 v42, v50 :: v_dual_mov_b32 v43, v51
	v_dual_mov_b32 v63, v31 :: v_dual_mov_b32 v62, v30
	;; [unrolled: 1-line block ×18, first 2 shown]
	v_mov_b32_e32 v1, v2
.LBB297_43:
	s_or_b32 exec_lo, exec_lo, s2
	v_mov_b32_e32 v2, v12
	s_mov_b32 s2, exec_lo
	s_delay_alu instid0(VALU_DEP_2)
	v_cmpx_lt_f32_e32 v1, v12
	s_cbranch_execz .LBB297_45
; %bb.44:
	v_dual_mov_b32 v52, v21 :: v_dual_mov_b32 v11, v12
	v_mov_b32_e32 v60, v29
	v_dual_mov_b32 v42, v50 :: v_dual_mov_b32 v45, v53
	v_dual_mov_b32 v47, v55 :: v_dual_mov_b32 v34, v58
	s_delay_alu instid0(VALU_DEP_4)
	v_dual_mov_b32 v37, v61 :: v_dual_mov_b32 v44, v52
	v_dual_mov_b32 v49, v57 :: v_dual_mov_b32 v46, v54
	v_mov_b32_e32 v45, v20
	v_dual_mov_b32 v48, v56 :: v_dual_mov_b32 v47, v23
	v_dual_mov_b32 v36, v60 :: v_dual_mov_b32 v39, v63
	;; [unrolled: 1-line block ×9, first 2 shown]
	v_mov_b32_e32 v41, v33
	v_dual_mov_b32 v2, v1 :: v_dual_mov_b32 v21, v20
.LBB297_45:
	s_or_b32 exec_lo, exec_lo, s2
	v_mov_b32_e32 v1, v13
	s_mov_b32 s2, exec_lo
	s_delay_alu instid0(VALU_DEP_2)
	v_cmpx_lt_f32_e32 v2, v13
	s_cbranch_execz .LBB297_47
; %bb.46:
	v_dual_mov_b32 v53, v22 :: v_dual_mov_b32 v54, v21
	v_dual_mov_b32 v55, v23 :: v_dual_mov_b32 v56, v66
	;; [unrolled: 1-line block ×4, first 2 shown]
	v_mov_b32_e32 v57, v25
	v_dual_mov_b32 v65, v33 :: v_dual_mov_b32 v42, v50
	v_mov_b32_e32 v34, v58
	v_dual_mov_b32 v12, v13 :: v_dual_mov_b32 v13, v2
	v_dual_mov_b32 v35, v59 :: v_dual_mov_b32 v36, v60
	;; [unrolled: 1-line block ×7, first 2 shown]
	v_mov_b32_e32 v47, v55
	v_mov_b32_e32 v49, v57
	;; [unrolled: 1-line block ×3, first 2 shown]
.LBB297_47:
	s_or_b32 exec_lo, exec_lo, s2
	s_delay_alu instid0(VALU_DEP_1)
	v_cmp_lt_f32_e32 vcc_lo, v1, v14
	v_dual_mov_b32 v20, v10 :: v_dual_mov_b32 v25, v15
	v_mov_b32_e32 v22, v12
	v_dual_mov_b32 v26, v16 :: v_dual_cndmask_b32 v27, v39, v38
	v_cndmask_b32_e32 v38, v38, v39, vcc_lo
	v_dual_cndmask_b32 v28, v47, v46 :: v_dual_mov_b32 v19, v9
	v_dual_cndmask_b32 v46, v46, v47 :: v_dual_cndmask_b32 v23, v13, v14
	v_dual_cndmask_b32 v24, v14, v1 :: v_dual_mov_b32 v21, v11
	s_mov_b32 s2, exec_lo
	v_cmpx_lt_f32_e32 v9, v10
	s_cbranch_execz .LBB297_49
; %bb.48:
	v_dual_mov_b32 v7, v25 :: v_dual_mov_b32 v8, v26
	v_dual_mov_b32 v1, v20 :: v_dual_mov_b32 v2, v19
	;; [unrolled: 1-line block ×4, first 2 shown]
	s_delay_alu instid0(VALU_DEP_4)
	v_dual_mov_b32 v11, v34 :: v_dual_mov_b32 v26, v8
	v_dual_mov_b32 v12, v42 :: v_dual_mov_b32 v25, v7
	v_swap_b32 v34, v35
	v_swap_b32 v42, v43
	v_dual_mov_b32 v24, v6 :: v_dual_mov_b32 v23, v5
	v_dual_mov_b32 v22, v4 :: v_dual_mov_b32 v21, v3
	;; [unrolled: 1-line block ×3, first 2 shown]
	v_mov_b32_e32 v10, v9
.LBB297_49:
	s_or_b32 exec_lo, exec_lo, s2
	v_mov_b32_e32 v47, v28
	v_mov_b32_e32 v39, v27
	v_dual_mov_b32 v1, v42 :: v_dual_mov_b32 v4, v45
	v_dual_mov_b32 v11, v34 :: v_dual_mov_b32 v14, v37
	;; [unrolled: 1-line block ×3, first 2 shown]
	s_delay_alu instid0(VALU_DEP_4)
	v_dual_mov_b32 v16, v39 :: v_dual_mov_b32 v15, v38
	v_dual_mov_b32 v18, v41 :: v_dual_mov_b32 v17, v40
	;; [unrolled: 1-line block ×5, first 2 shown]
	v_mov_b32_e32 v9, v21
	s_mov_b32 s2, exec_lo
	v_cmpx_lt_f32_e32 v10, v21
	s_cbranch_execz .LBB297_51
; %bb.50:
	v_dual_mov_b32 v1, v42 :: v_dual_mov_b32 v2, v43
	v_dual_mov_b32 v5, v46 :: v_dual_mov_b32 v6, v47
	;; [unrolled: 1-line block ×16, first 2 shown]
	v_mov_b32_e32 v18, v41
	v_mov_b32_e32 v36, v35
	;; [unrolled: 1-line block ×3, first 2 shown]
.LBB297_51:
	s_or_b32 exec_lo, exec_lo, s2
	v_mov_b32_e32 v29, v22
	s_mov_b32 s2, exec_lo
	v_cmpx_lt_f32_e32 v9, v22
; %bb.52:
	v_dual_mov_b32 v21, v22 :: v_dual_mov_b32 v22, v9
	v_dual_mov_b32 v3, v45 :: v_dual_mov_b32 v4, v44
	;; [unrolled: 1-line block ×7, first 2 shown]
	v_mov_b32_e32 v29, v9
; %bb.53:
	s_or_b32 exec_lo, exec_lo, s2
	s_delay_alu instid0(VALU_DEP_1)
	v_cmp_lt_f32_e32 vcc_lo, v29, v23
	v_dual_mov_b32 v28, v20 :: v_dual_mov_b32 v33, v25
	v_mov_b32_e32 v32, v24
	v_dual_mov_b32 v34, v26 :: v_dual_cndmask_b32 v9, v15, v14
	v_cndmask_b32_e32 v14, v14, v15, vcc_lo
	v_dual_cndmask_b32 v10, v5, v4 :: v_dual_cndmask_b32 v31, v23, v29
	v_dual_cndmask_b32 v4, v4, v5 :: v_dual_mov_b32 v27, v19
	v_dual_cndmask_b32 v30, v22, v23 :: v_dual_mov_b32 v29, v21
	s_mov_b32 s2, exec_lo
	v_cmpx_lt_f32_e32 v19, v20
	s_cbranch_execz .LBB297_55
; %bb.54:
	v_dual_mov_b32 v20, v28 :: v_dual_mov_b32 v21, v27
	v_dual_mov_b32 v26, v33 :: v_dual_mov_b32 v27, v34
	;; [unrolled: 1-line block ×4, first 2 shown]
	s_delay_alu instid0(VALU_DEP_3) | instskip(SKIP_2) | instid1(VALU_DEP_4)
	v_dual_mov_b32 v15, v1 :: v_dual_mov_b32 v34, v27
	v_mov_b32_e32 v5, v11
	v_swap_b32 v11, v12
	v_mov_b32_e32 v32, v25
	v_swap_b32 v1, v2
	v_dual_mov_b32 v33, v26 :: v_dual_mov_b32 v30, v23
	v_dual_mov_b32 v31, v24 :: v_dual_mov_b32 v28, v21
	v_mov_b32_e32 v29, v22
	v_dual_mov_b32 v27, v20 :: v_dual_mov_b32 v20, v19
.LBB297_55:
	s_or_b32 exec_lo, exec_lo, s2
	v_mov_b32_e32 v5, v10
	v_mov_b32_e32 v15, v9
	;; [unrolled: 1-line block ×3, first 2 shown]
	s_mov_b32 s2, exec_lo
	v_cmpx_lt_f32_e32 v20, v29
	s_cbranch_execz .LBB297_57
; %bb.56:
	v_dual_mov_b32 v50, v18 :: v_dual_mov_b32 v49, v17
	v_dual_mov_b32 v42, v8 :: v_dual_mov_b32 v41, v7
	;; [unrolled: 1-line block ×14, first 2 shown]
	v_mov_b32_e32 v50, v18
	v_dual_mov_b32 v28, v29 :: v_dual_mov_b32 v29, v20
	v_dual_mov_b32 v42, v8 :: v_dual_mov_b32 v11, v43
	;; [unrolled: 1-line block ×10, first 2 shown]
.LBB297_57:
	s_or_b32 exec_lo, exec_lo, s2
	s_delay_alu instid0(VALU_DEP_1) | instskip(NEXT) | instid1(VALU_DEP_3)
	v_cmp_lt_f32_e32 vcc_lo, v19, v30
	v_dual_mov_b32 v20, v5 :: v_dual_mov_b32 v21, v6
	s_delay_alu instid0(VALU_DEP_3)
	v_dual_mov_b32 v22, v7 :: v_dual_mov_b32 v23, v8
	v_dual_cndmask_b32 v9, v14, v13 :: v_dual_cndmask_b32 v10, v4, v3
	v_dual_cndmask_b32 v35, v13, v14 :: v_dual_cndmask_b32 v36, v3, v4
	v_dual_cndmask_b32 v3, v30, v19 :: v_dual_cndmask_b32 v30, v29, v30
	v_dual_mov_b32 v4, v15 :: v_dual_mov_b32 v13, v16
	v_dual_mov_b32 v14, v17 :: v_dual_mov_b32 v19, v18
	;; [unrolled: 1-line block ×4, first 2 shown]
	v_mov_b32_e32 v29, v34
	s_mov_b32 s2, exec_lo
	v_cmpx_lt_f32_e32 v27, v28
	s_cbranch_execz .LBB297_59
; %bb.58:
	v_dual_mov_b32 v24, v28 :: v_dual_mov_b32 v19, v18
	v_dual_mov_b32 v4, v11 :: v_dual_mov_b32 v13, v16
	;; [unrolled: 1-line block ×3, first 2 shown]
	v_swap_b32 v11, v12
	v_swap_b32 v1, v2
	v_dual_mov_b32 v28, v27 :: v_dual_mov_b32 v21, v6
	v_dual_mov_b32 v4, v15 :: v_dual_mov_b32 v23, v8
	;; [unrolled: 1-line block ×5, first 2 shown]
	v_mov_b32_e32 v24, v31
	v_mov_b32_e32 v26, v33
.LBB297_59:
	s_or_b32 exec_lo, exec_lo, s2
	s_clause 0x1
	s_load_b32 s8, s[0:1], 0x28
	s_load_b128 s[4:7], s[0:1], 0x10
	v_mov_b32_e32 v6, 0
	s_waitcnt lgkmcnt(0)
	s_cmp_lt_i32 s8, 1
	s_cbranch_scc1 .LBB297_65
; %bb.60:
	v_cmp_lt_f32_e32 vcc_lo, v28, v30
	s_mov_b32 s9, 0x76543210
	s_mov_b32 s10, s8
	v_dual_mov_b32 v7, 0 :: v_dual_mov_b32 v6, 0
	v_cndmask_b32_e32 v18, v37, v30, vcc_lo
	v_dual_cndmask_b32 v5, v36, v2 :: v_dual_cndmask_b32 v2, v2, v36
	v_cndmask_b32_e32 v8, v30, v28, vcc_lo
	v_dual_cndmask_b32 v15, v35, v12 :: v_dual_cndmask_b32 v28, v12, v35
	s_delay_alu instid0(VALU_DEP_4) | instskip(NEXT) | instid1(VALU_DEP_1)
	v_cmp_lt_f32_e64 s2, v27, v18
	v_cndmask_b32_e64 v12, v2, v1, s2
	v_cndmask_b32_e64 v16, v1, v2, s2
	;; [unrolled: 1-line block ×6, first 2 shown]
	v_dual_mov_b32 v28, v0 :: v_dual_mov_b32 v1, 0
	v_mov_b32_e32 v2, 0
.LBB297_61:                             ; =>This Inner Loop Header: Depth=1
	v_cmp_eq_u32_e32 vcc_lo, 1, v7
	v_cmp_eq_u32_e64 s2, 2, v7
	v_dual_cndmask_b32 v30, v18, v17 :: v_dual_cndmask_b32 v31, v16, v12
	v_cndmask_b32_e32 v32, v11, v27, vcc_lo
	v_cmp_eq_u32_e32 vcc_lo, 3, v7
	s_delay_alu instid0(VALU_DEP_3) | instskip(NEXT) | instid1(VALU_DEP_4)
	v_cndmask_b32_e64 v30, v30, v8, s2
	v_cndmask_b32_e64 v31, v31, v5, s2
	s_delay_alu instid0(VALU_DEP_4) | instskip(SKIP_1) | instid1(VALU_DEP_3)
	v_cndmask_b32_e64 v32, v32, v15, s2
	v_cmp_eq_u32_e64 s2, 4, v7
	v_dual_cndmask_b32 v30, v30, v3 :: v_dual_cndmask_b32 v31, v31, v10
	s_delay_alu instid0(VALU_DEP_3) | instskip(SKIP_1) | instid1(VALU_DEP_3)
	v_cndmask_b32_e32 v32, v32, v9, vcc_lo
	v_cmp_eq_u32_e32 vcc_lo, 5, v7
	v_cndmask_b32_e64 v30, v30, v24, s2
	s_delay_alu instid0(VALU_DEP_4) | instskip(NEXT) | instid1(VALU_DEP_4)
	v_cndmask_b32_e64 v31, v31, v20, s2
	v_cndmask_b32_e64 v32, v32, v4, s2
	v_cmp_eq_u32_e64 s2, 6, v7
	s_delay_alu instid0(VALU_DEP_4) | instskip(NEXT) | instid1(VALU_DEP_4)
	v_cndmask_b32_e32 v30, v30, v25, vcc_lo
	v_cndmask_b32_e32 v31, v31, v21, vcc_lo
	s_delay_alu instid0(VALU_DEP_4) | instskip(SKIP_1) | instid1(VALU_DEP_4)
	v_cndmask_b32_e32 v32, v32, v13, vcc_lo
	v_cmp_eq_u32_e32 vcc_lo, 7, v7
	v_cndmask_b32_e64 v30, v30, v26, s2
	s_delay_alu instid0(VALU_DEP_4) | instskip(NEXT) | instid1(VALU_DEP_4)
	v_cndmask_b32_e64 v31, v31, v22, s2
	v_cndmask_b32_e64 v32, v32, v14, s2
	v_cmp_gt_u32_e64 s2, 8, v7
	s_delay_alu instid0(VALU_DEP_3) | instskip(NEXT) | instid1(VALU_DEP_1)
	v_dual_cndmask_b32 v30, v30, v29 :: v_dual_cndmask_b32 v31, v31, v23
	v_cndmask_b32_e64 v30, 0xff800000, v30, s2
	;;#ASMSTART
	v_max_f32 v34, v30, v30 quad_perm:[1,0,3,2] row_mask:0xf bank_mask:0xf bound_ctrl:1
	;;#ASMEND
	;;#ASMSTART
	v_max_f32 v35, v34, v34 quad_perm:[2,3,0,1] row_mask:0xf bank_mask:0xf bound_ctrl:1
	;;#ASMEND
	;;#ASMSTART
	v_max_f32 v34, v35, v35 row_half_mirror row_mask:0xf bank_mask:0xf bound_ctrl:1
	;;#ASMEND
	;;#ASMSTART
	v_max_f32 v35, v34, v34 row_mirror row_mask:0xf bank_mask:0xf bound_ctrl:1
	;;#ASMEND
	v_permlanex16_b32 v34, v35, s9, 0xfedcba98 op_sel:[1,1]
	v_max_f32_e32 v35, v35, v35
	v_cndmask_b32_e64 v33, 0, v31, s2
	s_delay_alu instid0(VALU_DEP_3) | instskip(NEXT) | instid1(VALU_DEP_1)
	v_max_f32_e32 v34, v34, v34
	v_max_f32_e32 v34, v35, v34
	s_delay_alu instid0(VALU_DEP_1) | instskip(SKIP_1) | instid1(VALU_DEP_2)
	v_cmp_eq_f32_e64 s3, v30, v34
	v_cndmask_b32_e32 v30, v32, v19, vcc_lo
	s_ctz_i32_b32 s11, s3
	s_cmp_lg_u32 s3, 0
	s_cselect_b32 s3, s11, 0
	s_add_i32 s10, s10, -1
	v_readlane_b32 s3, v33, s3
	s_delay_alu instid0(VALU_DEP_1)
	v_cmp_eq_u32_e32 vcc_lo, s3, v31
	s_and_b32 vcc_lo, s2, vcc_lo
	s_and_b32 s2, s3, 31
	v_cndmask_b32_e32 v30, 0, v30, vcc_lo
	v_add_co_ci_u32_e32 v7, vcc_lo, 0, v7, vcc_lo
	s_cmp_eq_u32 s10, 0
	s_delay_alu instid0(VALU_DEP_2) | instskip(SKIP_2) | instid1(VALU_DEP_3)
	v_readlane_b32 s11, v30, s2
	v_cmp_eq_u32_e64 s2, 0, v28
	v_add_nc_u32_e32 v28, -1, v28
	v_add_f32_e32 v6, s11, v6
	s_delay_alu instid0(VALU_DEP_3)
	v_cndmask_b32_e64 v2, v2, s11, s2
	v_cndmask_b32_e64 v1, v1, s3, s2
	s_cbranch_scc0 .LBB297_61
; %bb.62:
	s_mov_b32 s2, exec_lo
	v_cmpx_gt_i32_e64 s8, v0
	s_cbranch_execz .LBB297_64
.LBB297_63:
	s_load_b32 s2, s[0:1], 0x30
	v_max_f32_e32 v3, v6, v6
	s_load_b64 s[0:1], s[0:1], 0x20
	s_ashr_i32 s3, s15, 31
	s_delay_alu instid0(VALU_DEP_1) | instskip(SKIP_1) | instid1(VALU_DEP_1)
	v_dual_max_f32 v3, 0x1e3ce508, v3 :: v_dual_lshlrev_b32 v0, 2, v0
	s_waitcnt lgkmcnt(0)
	v_div_scale_f32 v4, null, v3, v3, s2
	v_div_scale_f32 v7, vcc_lo, s2, v3, s2
	s_mul_i32 s1, s15, s1
	s_delay_alu instid0(VALU_DEP_2)
	v_rcp_f32_e32 v5, v4
	s_mul_hi_u32 s8, s15, s0
	s_mul_i32 s3, s3, s0
	s_add_i32 s1, s8, s1
	s_mul_i32 s0, s15, s0
	s_add_i32 s1, s1, s3
	s_delay_alu instid0(SALU_CYCLE_1) | instskip(SKIP_2) | instid1(VALU_DEP_1)
	s_lshl_b64 s[0:1], s[0:1], 2
	s_waitcnt_depctr 0xfff
	v_fma_f32 v6, -v4, v5, 1.0
	v_fmac_f32_e32 v5, v6, v5
	s_delay_alu instid0(VALU_DEP_1) | instskip(NEXT) | instid1(VALU_DEP_1)
	v_mul_f32_e32 v6, v7, v5
	v_fma_f32 v8, -v4, v6, v7
	s_delay_alu instid0(VALU_DEP_1) | instskip(NEXT) | instid1(VALU_DEP_1)
	v_fmac_f32_e32 v6, v8, v5
	v_fma_f32 v4, -v4, v6, v7
	s_delay_alu instid0(VALU_DEP_1) | instskip(NEXT) | instid1(VALU_DEP_1)
	v_div_fmas_f32 v4, v4, v5, v6
	v_div_fixup_f32 v3, v4, v3, s2
	s_add_u32 s2, s4, s0
	s_addc_u32 s3, s5, s1
	s_add_u32 s0, s6, s0
	s_addc_u32 s1, s7, s1
	v_mul_f32_e32 v2, v2, v3
	s_clause 0x1
	global_store_b32 v0, v2, s[2:3]
	global_store_b32 v0, v1, s[0:1]
.LBB297_64:
	s_nop 0
	s_sendmsg sendmsg(MSG_DEALLOC_VGPRS)
	s_endpgm
.LBB297_65:
	v_dual_mov_b32 v1, 0 :: v_dual_mov_b32 v2, 0
	s_mov_b32 s2, exec_lo
	v_cmpx_gt_i32_e64 s8, v0
	s_cbranch_execnz .LBB297_63
	s_branch .LBB297_64
	.section	.rodata,"a",@progbits
	.p2align	6, 0x0
	.amdhsa_kernel _ZN5aiter24topk_softplus_kernel_optI12hip_bfloat16S1_Li256ELb1ELi0EEEvPKT_PKT0_PfPimiif
		.amdhsa_group_segment_fixed_size 0
		.amdhsa_private_segment_fixed_size 0
		.amdhsa_kernarg_size 52
		.amdhsa_user_sgpr_count 15
		.amdhsa_user_sgpr_dispatch_ptr 0
		.amdhsa_user_sgpr_queue_ptr 0
		.amdhsa_user_sgpr_kernarg_segment_ptr 1
		.amdhsa_user_sgpr_dispatch_id 0
		.amdhsa_user_sgpr_private_segment_size 0
		.amdhsa_wavefront_size32 1
		.amdhsa_uses_dynamic_stack 0
		.amdhsa_enable_private_segment 0
		.amdhsa_system_sgpr_workgroup_id_x 1
		.amdhsa_system_sgpr_workgroup_id_y 0
		.amdhsa_system_sgpr_workgroup_id_z 0
		.amdhsa_system_sgpr_workgroup_info 0
		.amdhsa_system_vgpr_workitem_id 0
		.amdhsa_next_free_vgpr 96
		.amdhsa_next_free_sgpr 16
		.amdhsa_reserve_vcc 1
		.amdhsa_float_round_mode_32 0
		.amdhsa_float_round_mode_16_64 0
		.amdhsa_float_denorm_mode_32 3
		.amdhsa_float_denorm_mode_16_64 3
		.amdhsa_dx10_clamp 1
		.amdhsa_ieee_mode 1
		.amdhsa_fp16_overflow 0
		.amdhsa_workgroup_processor_mode 1
		.amdhsa_memory_ordered 1
		.amdhsa_forward_progress 0
		.amdhsa_shared_vgpr_count 0
		.amdhsa_exception_fp_ieee_invalid_op 0
		.amdhsa_exception_fp_denorm_src 0
		.amdhsa_exception_fp_ieee_div_zero 0
		.amdhsa_exception_fp_ieee_overflow 0
		.amdhsa_exception_fp_ieee_underflow 0
		.amdhsa_exception_fp_ieee_inexact 0
		.amdhsa_exception_int_div_zero 0
	.end_amdhsa_kernel
	.section	.text._ZN5aiter24topk_softplus_kernel_optI12hip_bfloat16S1_Li256ELb1ELi0EEEvPKT_PKT0_PfPimiif,"axG",@progbits,_ZN5aiter24topk_softplus_kernel_optI12hip_bfloat16S1_Li256ELb1ELi0EEEvPKT_PKT0_PfPimiif,comdat
.Lfunc_end297:
	.size	_ZN5aiter24topk_softplus_kernel_optI12hip_bfloat16S1_Li256ELb1ELi0EEEvPKT_PKT0_PfPimiif, .Lfunc_end297-_ZN5aiter24topk_softplus_kernel_optI12hip_bfloat16S1_Li256ELb1ELi0EEEvPKT_PKT0_PfPimiif
                                        ; -- End function
	.section	.AMDGPU.csdata,"",@progbits
; Kernel info:
; codeLenInByte = 8620
; NumSgprs: 18
; NumVgprs: 96
; ScratchSize: 0
; MemoryBound: 0
; FloatMode: 240
; IeeeMode: 1
; LDSByteSize: 0 bytes/workgroup (compile time only)
; SGPRBlocks: 2
; VGPRBlocks: 11
; NumSGPRsForWavesPerEU: 18
; NumVGPRsForWavesPerEU: 96
; Occupancy: 16
; WaveLimiterHint : 0
; COMPUTE_PGM_RSRC2:SCRATCH_EN: 0
; COMPUTE_PGM_RSRC2:USER_SGPR: 15
; COMPUTE_PGM_RSRC2:TRAP_HANDLER: 0
; COMPUTE_PGM_RSRC2:TGID_X_EN: 1
; COMPUTE_PGM_RSRC2:TGID_Y_EN: 0
; COMPUTE_PGM_RSRC2:TGID_Z_EN: 0
; COMPUTE_PGM_RSRC2:TIDIG_COMP_CNT: 0
	.section	.text._ZN5aiter24topk_softplus_kernel_optI12hip_bfloat16S1_Li256ELb0ELi0EEEvPKT_PKT0_PfPimiif,"axG",@progbits,_ZN5aiter24topk_softplus_kernel_optI12hip_bfloat16S1_Li256ELb0ELi0EEEvPKT_PKT0_PfPimiif,comdat
	.protected	_ZN5aiter24topk_softplus_kernel_optI12hip_bfloat16S1_Li256ELb0ELi0EEEvPKT_PKT0_PfPimiif ; -- Begin function _ZN5aiter24topk_softplus_kernel_optI12hip_bfloat16S1_Li256ELb0ELi0EEEvPKT_PKT0_PfPimiif
	.globl	_ZN5aiter24topk_softplus_kernel_optI12hip_bfloat16S1_Li256ELb0ELi0EEEvPKT_PKT0_PfPimiif
	.p2align	8
	.type	_ZN5aiter24topk_softplus_kernel_optI12hip_bfloat16S1_Li256ELb0ELi0EEEvPKT_PKT0_PfPimiif,@function
_ZN5aiter24topk_softplus_kernel_optI12hip_bfloat16S1_Li256ELb0ELi0EEEvPKT_PKT0_PfPimiif: ; @_ZN5aiter24topk_softplus_kernel_optI12hip_bfloat16S1_Li256ELb0ELi0EEEvPKT_PKT0_PfPimiif
; %bb.0:
	s_load_b128 s[4:7], s[0:1], 0x0
	s_lshl_b32 s2, s15, 8
	v_lshlrev_b32_e32 v3, 1, v0
	s_ashr_i32 s3, s2, 31
	s_delay_alu instid0(SALU_CYCLE_1)
	s_lshl_b64 s[2:3], s[2:3], 1
	s_waitcnt lgkmcnt(0)
	s_add_u32 s4, s4, s2
	s_addc_u32 s5, s5, s3
	s_cmp_lg_u64 s[6:7], 0
	global_load_u16 v1, v3, s[4:5]
	s_cselect_b32 s3, -1, 0
	s_waitcnt vmcnt(0)
	v_lshlrev_b32_e32 v1, 16, v1
	s_delay_alu instid0(VALU_DEP_1) | instskip(NEXT) | instid1(VALU_DEP_1)
	v_mul_f32_e32 v2, 0x3fb8aa3b, v1
	v_cmp_gt_f32_e32 vcc_lo, 0xc2fc0000, v2
	v_cndmask_b32_e64 v2, 0, 0x42800000, vcc_lo
	v_cndmask_b32_e64 v4, 1.0, 0x1f800000, vcc_lo
	s_delay_alu instid0(VALU_DEP_2) | instskip(NEXT) | instid1(VALU_DEP_1)
	v_fmac_f32_e32 v2, 0x3fb8aa3b, v1
	v_exp_f32_e32 v2, v2
	s_waitcnt_depctr 0xfff
	v_fma_f32 v2, v2, v4, 1.0
	s_delay_alu instid0(VALU_DEP_1) | instskip(SKIP_1) | instid1(VALU_DEP_1)
	v_cmp_gt_f32_e32 vcc_lo, 0x800000, v2
	v_cndmask_b32_e64 v4, 1.0, 0x4f800000, vcc_lo
	v_mul_f32_e32 v2, v2, v4
	v_cndmask_b32_e64 v4, 0, 0x42000000, vcc_lo
	v_cmp_lt_f32_e32 vcc_lo, 0x41a00000, v1
	s_delay_alu instid0(VALU_DEP_3) | instskip(SKIP_2) | instid1(VALU_DEP_1)
	v_log_f32_e32 v2, v2
	s_waitcnt_depctr 0xfff
	v_sub_f32_e32 v2, v2, v4
	v_mul_f32_e32 v2, 0x3f317218, v2
	s_delay_alu instid0(VALU_DEP_1) | instskip(NEXT) | instid1(VALU_DEP_1)
	v_cndmask_b32_e32 v1, v2, v1, vcc_lo
	v_mul_f32_e32 v2, 0x4f800000, v1
	v_cmp_gt_f32_e32 vcc_lo, 0xf800000, v1
	s_delay_alu instid0(VALU_DEP_2) | instskip(NEXT) | instid1(VALU_DEP_1)
	v_cndmask_b32_e32 v1, v1, v2, vcc_lo
	v_sqrt_f32_e32 v2, v1
	s_waitcnt_depctr 0xfff
	v_add_nc_u32_e32 v4, -1, v2
	v_add_nc_u32_e32 v5, 1, v2
	s_delay_alu instid0(VALU_DEP_2) | instskip(NEXT) | instid1(VALU_DEP_2)
	v_fma_f32 v6, -v4, v2, v1
	v_fma_f32 v7, -v5, v2, v1
	s_delay_alu instid0(VALU_DEP_2) | instskip(NEXT) | instid1(VALU_DEP_1)
	v_cmp_ge_f32_e64 s2, 0, v6
	v_cndmask_b32_e64 v2, v2, v4, s2
	s_delay_alu instid0(VALU_DEP_3) | instskip(NEXT) | instid1(VALU_DEP_1)
	v_cmp_lt_f32_e64 s2, 0, v7
	v_cndmask_b32_e64 v2, v2, v5, s2
	s_delay_alu instid0(VALU_DEP_1) | instskip(NEXT) | instid1(VALU_DEP_1)
	v_mul_f32_e32 v4, 0x37800000, v2
	v_cndmask_b32_e32 v2, v2, v4, vcc_lo
	v_cmp_class_f32_e64 vcc_lo, v1, 0x260
	s_delay_alu instid0(VALU_DEP_2) | instskip(SKIP_1) | instid1(VALU_DEP_1)
	v_cndmask_b32_e32 v56, v2, v1, vcc_lo
	v_add_co_u32 v1, s2, s4, v3
	v_add_co_ci_u32_e64 v2, null, s5, 0, s2
	s_delay_alu instid0(VALU_DEP_3)
	v_mov_b32_e32 v24, v56
	s_and_b32 vcc_lo, exec_lo, s3
	s_cbranch_vccz .LBB298_2
; %bb.1:
	global_load_u16 v4, v3, s[6:7]
	s_waitcnt vmcnt(0)
	v_lshlrev_b32_e32 v4, 16, v4
	s_delay_alu instid0(VALU_DEP_1)
	v_add_f32_e32 v24, v56, v4
.LBB298_2:
	global_load_u16 v4, v[1:2], off offset:64
	s_waitcnt vmcnt(0)
	v_lshlrev_b32_e32 v4, 16, v4
	s_delay_alu instid0(VALU_DEP_1) | instskip(NEXT) | instid1(VALU_DEP_1)
	v_mul_f32_e32 v5, 0x3fb8aa3b, v4
	v_cmp_gt_f32_e32 vcc_lo, 0xc2fc0000, v5
	v_cndmask_b32_e64 v5, 0, 0x42800000, vcc_lo
	v_cndmask_b32_e64 v6, 1.0, 0x1f800000, vcc_lo
	s_delay_alu instid0(VALU_DEP_2) | instskip(NEXT) | instid1(VALU_DEP_1)
	v_fmac_f32_e32 v5, 0x3fb8aa3b, v4
	v_exp_f32_e32 v5, v5
	s_waitcnt_depctr 0xfff
	v_fma_f32 v5, v5, v6, 1.0
	s_delay_alu instid0(VALU_DEP_1) | instskip(SKIP_1) | instid1(VALU_DEP_1)
	v_cmp_gt_f32_e32 vcc_lo, 0x800000, v5
	v_cndmask_b32_e64 v6, 1.0, 0x4f800000, vcc_lo
	v_mul_f32_e32 v5, v5, v6
	v_cndmask_b32_e64 v6, 0, 0x42000000, vcc_lo
	v_cmp_lt_f32_e32 vcc_lo, 0x41a00000, v4
	s_delay_alu instid0(VALU_DEP_3) | instskip(SKIP_2) | instid1(VALU_DEP_1)
	v_log_f32_e32 v5, v5
	s_waitcnt_depctr 0xfff
	v_sub_f32_e32 v5, v5, v6
	v_mul_f32_e32 v5, 0x3f317218, v5
	s_delay_alu instid0(VALU_DEP_1) | instskip(NEXT) | instid1(VALU_DEP_1)
	v_cndmask_b32_e32 v4, v5, v4, vcc_lo
	v_mul_f32_e32 v5, 0x4f800000, v4
	v_cmp_gt_f32_e32 vcc_lo, 0xf800000, v4
	s_delay_alu instid0(VALU_DEP_2) | instskip(NEXT) | instid1(VALU_DEP_1)
	v_cndmask_b32_e32 v5, v4, v5, vcc_lo
	v_sqrt_f32_e32 v4, v5
	s_waitcnt_depctr 0xfff
	v_add_nc_u32_e32 v6, -1, v4
	v_add_nc_u32_e32 v7, 1, v4
	s_delay_alu instid0(VALU_DEP_2) | instskip(NEXT) | instid1(VALU_DEP_2)
	v_fma_f32 v8, -v6, v4, v5
	v_fma_f32 v9, -v7, v4, v5
	s_delay_alu instid0(VALU_DEP_2) | instskip(NEXT) | instid1(VALU_DEP_1)
	v_cmp_ge_f32_e64 s2, 0, v8
	v_cndmask_b32_e64 v4, v4, v6, s2
	s_delay_alu instid0(VALU_DEP_3) | instskip(NEXT) | instid1(VALU_DEP_1)
	v_cmp_lt_f32_e64 s2, 0, v9
	v_cndmask_b32_e64 v4, v4, v7, s2
	s_delay_alu instid0(VALU_DEP_1) | instskip(NEXT) | instid1(VALU_DEP_1)
	v_mul_f32_e32 v6, 0x37800000, v4
	v_cndmask_b32_e32 v6, v4, v6, vcc_lo
	v_cmp_class_f32_e64 vcc_lo, v5, 0x260
	v_cndmask_b32_e64 v4, 0, 1, s3
	s_delay_alu instid0(VALU_DEP_3) | instskip(SKIP_1) | instid1(VALU_DEP_1)
	v_cndmask_b32_e32 v9, v6, v5, vcc_lo
	s_and_not1_b32 vcc_lo, exec_lo, s3
	v_mov_b32_e32 v25, v9
	s_cbranch_vccnz .LBB298_4
; %bb.3:
	global_load_u16 v5, v3, s[6:7] offset:64
	s_waitcnt vmcnt(0)
	v_lshlrev_b32_e32 v5, 16, v5
	s_delay_alu instid0(VALU_DEP_1)
	v_add_f32_e32 v25, v9, v5
.LBB298_4:
	global_load_u16 v5, v[1:2], off offset:128
	s_waitcnt vmcnt(0)
	v_lshlrev_b32_e32 v5, 16, v5
	s_delay_alu instid0(VALU_DEP_1) | instskip(NEXT) | instid1(VALU_DEP_1)
	v_mul_f32_e32 v6, 0x3fb8aa3b, v5
	v_cmp_gt_f32_e32 vcc_lo, 0xc2fc0000, v6
	v_cndmask_b32_e64 v6, 0, 0x42800000, vcc_lo
	v_cndmask_b32_e64 v7, 1.0, 0x1f800000, vcc_lo
	s_delay_alu instid0(VALU_DEP_2) | instskip(NEXT) | instid1(VALU_DEP_1)
	v_fmac_f32_e32 v6, 0x3fb8aa3b, v5
	v_exp_f32_e32 v6, v6
	s_waitcnt_depctr 0xfff
	v_fma_f32 v6, v6, v7, 1.0
	s_delay_alu instid0(VALU_DEP_1) | instskip(SKIP_1) | instid1(VALU_DEP_1)
	v_cmp_gt_f32_e32 vcc_lo, 0x800000, v6
	v_cndmask_b32_e64 v7, 1.0, 0x4f800000, vcc_lo
	v_mul_f32_e32 v6, v6, v7
	v_cndmask_b32_e64 v7, 0, 0x42000000, vcc_lo
	v_cmp_lt_f32_e32 vcc_lo, 0x41a00000, v5
	s_delay_alu instid0(VALU_DEP_3) | instskip(SKIP_2) | instid1(VALU_DEP_1)
	v_log_f32_e32 v6, v6
	s_waitcnt_depctr 0xfff
	v_sub_f32_e32 v6, v6, v7
	v_mul_f32_e32 v6, 0x3f317218, v6
	s_delay_alu instid0(VALU_DEP_1) | instskip(NEXT) | instid1(VALU_DEP_1)
	v_cndmask_b32_e32 v5, v6, v5, vcc_lo
	v_mul_f32_e32 v6, 0x4f800000, v5
	v_cmp_gt_f32_e32 vcc_lo, 0xf800000, v5
	s_delay_alu instid0(VALU_DEP_2) | instskip(NEXT) | instid1(VALU_DEP_1)
	v_cndmask_b32_e32 v5, v5, v6, vcc_lo
	v_sqrt_f32_e32 v6, v5
	s_waitcnt_depctr 0xfff
	v_add_nc_u32_e32 v7, -1, v6
	v_add_nc_u32_e32 v8, 1, v6
	s_delay_alu instid0(VALU_DEP_2) | instskip(NEXT) | instid1(VALU_DEP_2)
	v_fma_f32 v10, -v7, v6, v5
	v_fma_f32 v11, -v8, v6, v5
	s_delay_alu instid0(VALU_DEP_2) | instskip(NEXT) | instid1(VALU_DEP_1)
	v_cmp_ge_f32_e64 s2, 0, v10
	v_cndmask_b32_e64 v6, v6, v7, s2
	s_delay_alu instid0(VALU_DEP_3) | instskip(NEXT) | instid1(VALU_DEP_1)
	v_cmp_lt_f32_e64 s2, 0, v11
	v_cndmask_b32_e64 v6, v6, v8, s2
	s_delay_alu instid0(VALU_DEP_1) | instskip(NEXT) | instid1(VALU_DEP_1)
	v_mul_f32_e32 v7, 0x37800000, v6
	v_cndmask_b32_e32 v6, v6, v7, vcc_lo
	v_cmp_class_f32_e64 vcc_lo, v5, 0x260
	s_delay_alu instid0(VALU_DEP_2) | instskip(SKIP_1) | instid1(VALU_DEP_2)
	v_cndmask_b32_e32 v10, v6, v5, vcc_lo
	v_cmp_ne_u32_e32 vcc_lo, 1, v4
	v_mov_b32_e32 v26, v10
	s_cbranch_vccnz .LBB298_6
; %bb.5:
	global_load_u16 v5, v3, s[6:7] offset:128
	s_waitcnt vmcnt(0)
	v_lshlrev_b32_e32 v5, 16, v5
	s_delay_alu instid0(VALU_DEP_1)
	v_add_f32_e32 v26, v10, v5
.LBB298_6:
	global_load_u16 v5, v[1:2], off offset:192
	s_waitcnt vmcnt(0)
	v_lshlrev_b32_e32 v5, 16, v5
	s_delay_alu instid0(VALU_DEP_1) | instskip(NEXT) | instid1(VALU_DEP_1)
	v_mul_f32_e32 v6, 0x3fb8aa3b, v5
	v_cmp_gt_f32_e32 vcc_lo, 0xc2fc0000, v6
	v_cndmask_b32_e64 v6, 0, 0x42800000, vcc_lo
	v_cndmask_b32_e64 v7, 1.0, 0x1f800000, vcc_lo
	s_delay_alu instid0(VALU_DEP_2) | instskip(NEXT) | instid1(VALU_DEP_1)
	v_fmac_f32_e32 v6, 0x3fb8aa3b, v5
	v_exp_f32_e32 v6, v6
	s_waitcnt_depctr 0xfff
	v_fma_f32 v6, v6, v7, 1.0
	s_delay_alu instid0(VALU_DEP_1) | instskip(SKIP_1) | instid1(VALU_DEP_1)
	v_cmp_gt_f32_e32 vcc_lo, 0x800000, v6
	v_cndmask_b32_e64 v7, 1.0, 0x4f800000, vcc_lo
	v_mul_f32_e32 v6, v6, v7
	v_cndmask_b32_e64 v7, 0, 0x42000000, vcc_lo
	v_cmp_lt_f32_e32 vcc_lo, 0x41a00000, v5
	s_delay_alu instid0(VALU_DEP_3) | instskip(SKIP_2) | instid1(VALU_DEP_1)
	v_log_f32_e32 v6, v6
	s_waitcnt_depctr 0xfff
	v_sub_f32_e32 v6, v6, v7
	v_mul_f32_e32 v6, 0x3f317218, v6
	s_delay_alu instid0(VALU_DEP_1) | instskip(NEXT) | instid1(VALU_DEP_1)
	v_cndmask_b32_e32 v5, v6, v5, vcc_lo
	v_mul_f32_e32 v6, 0x4f800000, v5
	v_cmp_gt_f32_e32 vcc_lo, 0xf800000, v5
	s_delay_alu instid0(VALU_DEP_2) | instskip(NEXT) | instid1(VALU_DEP_1)
	v_cndmask_b32_e32 v5, v5, v6, vcc_lo
	v_sqrt_f32_e32 v6, v5
	s_waitcnt_depctr 0xfff
	v_add_nc_u32_e32 v7, -1, v6
	v_add_nc_u32_e32 v8, 1, v6
	s_delay_alu instid0(VALU_DEP_2) | instskip(NEXT) | instid1(VALU_DEP_2)
	v_fma_f32 v11, -v7, v6, v5
	v_fma_f32 v12, -v8, v6, v5
	s_delay_alu instid0(VALU_DEP_2) | instskip(NEXT) | instid1(VALU_DEP_1)
	v_cmp_ge_f32_e64 s2, 0, v11
	v_cndmask_b32_e64 v6, v6, v7, s2
	s_delay_alu instid0(VALU_DEP_3) | instskip(NEXT) | instid1(VALU_DEP_1)
	v_cmp_lt_f32_e64 s2, 0, v12
	v_cndmask_b32_e64 v6, v6, v8, s2
	s_delay_alu instid0(VALU_DEP_1) | instskip(NEXT) | instid1(VALU_DEP_1)
	v_mul_f32_e32 v7, 0x37800000, v6
	v_cndmask_b32_e32 v6, v6, v7, vcc_lo
	v_cmp_class_f32_e64 vcc_lo, v5, 0x260
	s_delay_alu instid0(VALU_DEP_2) | instskip(SKIP_1) | instid1(VALU_DEP_2)
	v_cndmask_b32_e32 v11, v6, v5, vcc_lo
	v_cmp_ne_u32_e32 vcc_lo, 1, v4
	;; [unrolled: 59-line block ×5, first 2 shown]
	v_mov_b32_e32 v30, v14
	s_cbranch_vccnz .LBB298_14
; %bb.13:
	global_load_u16 v5, v3, s[6:7] offset:384
	s_waitcnt vmcnt(0)
	v_lshlrev_b32_e32 v5, 16, v5
	s_delay_alu instid0(VALU_DEP_1)
	v_add_f32_e32 v30, v14, v5
.LBB298_14:
	global_load_u16 v1, v[1:2], off offset:448
	s_waitcnt vmcnt(0)
	v_lshlrev_b32_e32 v1, 16, v1
	s_delay_alu instid0(VALU_DEP_1) | instskip(NEXT) | instid1(VALU_DEP_1)
	v_mul_f32_e32 v2, 0x3fb8aa3b, v1
	v_cmp_gt_f32_e32 vcc_lo, 0xc2fc0000, v2
	v_cndmask_b32_e64 v2, 0, 0x42800000, vcc_lo
	v_cndmask_b32_e64 v5, 1.0, 0x1f800000, vcc_lo
	s_delay_alu instid0(VALU_DEP_2) | instskip(NEXT) | instid1(VALU_DEP_1)
	v_fmac_f32_e32 v2, 0x3fb8aa3b, v1
	v_exp_f32_e32 v2, v2
	s_waitcnt_depctr 0xfff
	v_fma_f32 v2, v2, v5, 1.0
	s_delay_alu instid0(VALU_DEP_1) | instskip(SKIP_1) | instid1(VALU_DEP_1)
	v_cmp_gt_f32_e32 vcc_lo, 0x800000, v2
	v_cndmask_b32_e64 v5, 1.0, 0x4f800000, vcc_lo
	v_mul_f32_e32 v2, v2, v5
	v_cndmask_b32_e64 v5, 0, 0x42000000, vcc_lo
	s_delay_alu instid0(VALU_DEP_2) | instskip(SKIP_2) | instid1(VALU_DEP_1)
	v_log_f32_e32 v2, v2
	s_waitcnt_depctr 0xfff
	v_sub_f32_e32 v2, v2, v5
	v_mul_f32_e32 v2, 0x3f317218, v2
	v_cmp_lt_f32_e32 vcc_lo, 0x41a00000, v1
	s_delay_alu instid0(VALU_DEP_2) | instskip(NEXT) | instid1(VALU_DEP_1)
	v_cndmask_b32_e32 v1, v2, v1, vcc_lo
	v_mul_f32_e32 v2, 0x4f800000, v1
	v_cmp_gt_f32_e32 vcc_lo, 0xf800000, v1
	s_delay_alu instid0(VALU_DEP_2) | instskip(NEXT) | instid1(VALU_DEP_1)
	v_cndmask_b32_e32 v1, v1, v2, vcc_lo
	v_sqrt_f32_e32 v2, v1
	s_waitcnt_depctr 0xfff
	v_add_nc_u32_e32 v5, -1, v2
	v_add_nc_u32_e32 v6, 1, v2
	s_delay_alu instid0(VALU_DEP_2) | instskip(NEXT) | instid1(VALU_DEP_2)
	v_fma_f32 v7, -v5, v2, v1
	v_fma_f32 v8, -v6, v2, v1
	s_delay_alu instid0(VALU_DEP_2) | instskip(NEXT) | instid1(VALU_DEP_1)
	v_cmp_ge_f32_e64 s2, 0, v7
	v_cndmask_b32_e64 v2, v2, v5, s2
	s_delay_alu instid0(VALU_DEP_3) | instskip(NEXT) | instid1(VALU_DEP_1)
	v_cmp_lt_f32_e64 s2, 0, v8
	v_cndmask_b32_e64 v2, v2, v6, s2
	s_delay_alu instid0(VALU_DEP_1) | instskip(NEXT) | instid1(VALU_DEP_1)
	v_mul_f32_e32 v5, 0x37800000, v2
	v_cndmask_b32_e32 v2, v2, v5, vcc_lo
	v_cmp_class_f32_e64 vcc_lo, v1, 0x260
	s_delay_alu instid0(VALU_DEP_2)
	v_cndmask_b32_e32 v15, v2, v1, vcc_lo
	v_cmp_ne_u32_e32 vcc_lo, 1, v4
	s_cbranch_vccnz .LBB298_16
; %bb.15:
	global_load_u16 v1, v3, s[6:7] offset:448
	s_waitcnt vmcnt(0)
	v_lshlrev_b32_e32 v1, 16, v1
	s_delay_alu instid0(VALU_DEP_1)
	v_add_f32_e32 v31, v15, v1
	s_branch .LBB298_17
.LBB298_16:
	s_delay_alu instid0(VALU_DEP_2)
	v_mov_b32_e32 v31, v15
.LBB298_17:
	v_add_nc_u32_e32 v7, 0xe0, v0
	v_dual_mov_b32 v16, v24 :: v_dual_add_nc_u32 v1, 32, v0
	v_dual_mov_b32 v17, v25 :: v_dual_add_nc_u32 v2, 64, v0
	v_dual_mov_b32 v18, v26 :: v_dual_add_nc_u32 v3, 0x60, v0
	v_dual_mov_b32 v19, v27 :: v_dual_add_nc_u32 v4, 0x80, v0
	v_dual_mov_b32 v20, v28 :: v_dual_add_nc_u32 v5, 0xa0, v0
	v_dual_mov_b32 v21, v29 :: v_dual_add_nc_u32 v6, 0xc0, v0
	v_dual_mov_b32 v22, v30 :: v_dual_mov_b32 v39, v7
	s_delay_alu instid0(VALU_DEP_2)
	v_dual_mov_b32 v47, v7 :: v_dual_mov_b32 v46, v6
	v_dual_mov_b32 v71, v7 :: v_dual_mov_b32 v70, v6
	;; [unrolled: 1-line block ×16, first 2 shown]
	v_mov_b32_e32 v8, v56
	s_mov_b32 s2, exec_lo
	v_cmpx_lt_f32_e32 v24, v25
	s_xor_b32 s2, exec_lo, s2
	s_cbranch_execz .LBB298_19
; %bb.18:
	v_dual_mov_b32 v38, v6 :: v_dual_mov_b32 v39, v7
	v_dual_mov_b32 v32, v1 :: v_dual_mov_b32 v33, v0
	;; [unrolled: 1-line block ×4, first 2 shown]
	s_delay_alu instid0(VALU_DEP_4)
	v_dual_mov_b32 v47, v39 :: v_dual_mov_b32 v46, v38
	v_dual_mov_b32 v71, v39 :: v_dual_mov_b32 v70, v38
	;; [unrolled: 1-line block ×17, first 2 shown]
	v_mov_b32_e32 v9, v56
	v_mov_b32_e32 v1, v0
.LBB298_19:
	s_or_b32 exec_lo, exec_lo, s2
	v_dual_mov_b32 v63, v15 :: v_dual_mov_b32 v62, v14
	v_dual_mov_b32 v79, v15 :: v_dual_mov_b32 v78, v14
	;; [unrolled: 1-line block ×16, first 2 shown]
	v_mov_b32_e32 v24, v18
	s_mov_b32 s2, exec_lo
	v_cmpx_lt_f32_e32 v25, v18
	s_cbranch_execz .LBB298_21
; %bb.20:
	v_dual_mov_b32 v55, v39 :: v_dual_mov_b32 v54, v38
	v_dual_mov_b32 v51, v35 :: v_dual_mov_b32 v50, v34
	;; [unrolled: 1-line block ×16, first 2 shown]
	v_mov_b32_e32 v83, v11
	v_dual_mov_b32 v85, v93 :: v_dual_mov_b32 v86, v94
	v_dual_mov_b32 v87, v95 :: v_dual_mov_b32 v40, v64
	;; [unrolled: 1-line block ×3, first 2 shown]
	v_mov_b32_e32 v42, v66
	v_dual_mov_b32 v17, v18 :: v_dual_mov_b32 v72, v80
	v_dual_mov_b32 v41, v65 :: v_dual_mov_b32 v44, v68
	;; [unrolled: 1-line block ×10, first 2 shown]
	s_delay_alu instid0(VALU_DEP_2)
	v_dual_mov_b32 v56, v72 :: v_dual_mov_b32 v57, v73
	v_dual_mov_b32 v36, v44 :: v_dual_mov_b32 v37, v45
	;; [unrolled: 1-line block ×11, first 2 shown]
	v_mov_b32_e32 v2, v1
.LBB298_21:
	s_or_b32 exec_lo, exec_lo, s2
	v_mov_b32_e32 v1, v19
	s_mov_b32 s2, exec_lo
	v_cmpx_lt_f32_e32 v24, v19
	s_cbranch_execz .LBB298_23
; %bb.22:
	v_mov_b32_e32 v90, v11
	v_mov_b32_e32 v50, v3
	v_dual_mov_b32 v80, v88 :: v_dual_mov_b32 v81, v89
	v_dual_mov_b32 v71, v55 :: v_dual_mov_b32 v70, v54
	;; [unrolled: 1-line block ×3, first 2 shown]
	s_delay_alu instid0(VALU_DEP_4)
	v_dual_mov_b32 v83, v91 :: v_dual_mov_b32 v66, v50
	v_dual_mov_b32 v65, v49 :: v_dual_mov_b32 v68, v52
	;; [unrolled: 1-line block ×3, first 2 shown]
	v_mov_b32_e32 v67, v2
	v_dual_mov_b32 v82, v90 :: v_dual_mov_b32 v87, v95
	v_dual_mov_b32 v85, v93 :: v_dual_mov_b32 v86, v94
	;; [unrolled: 1-line block ×11, first 2 shown]
	v_mov_b32_e32 v44, v4
	v_dual_mov_b32 v56, v72 :: v_dual_mov_b32 v57, v73
	v_dual_mov_b32 v32, v40 :: v_dual_mov_b32 v35, v43
	;; [unrolled: 1-line block ×3, first 2 shown]
	s_delay_alu instid0(VALU_DEP_4)
	v_dual_mov_b32 v37, v45 :: v_dual_mov_b32 v36, v44
	v_dual_mov_b32 v39, v47 :: v_dual_mov_b32 v38, v46
	;; [unrolled: 1-line block ×3, first 2 shown]
	v_mov_b32_e32 v63, v79
	v_dual_mov_b32 v61, v77 :: v_dual_mov_b32 v62, v78
	v_mov_b32_e32 v39, v7
	v_dual_mov_b32 v18, v19 :: v_dual_mov_b32 v19, v24
	v_dual_mov_b32 v60, v76 :: v_dual_mov_b32 v37, v5
	v_dual_mov_b32 v38, v6 :: v_dual_mov_b32 v61, v13
	v_dual_mov_b32 v62, v14 :: v_dual_mov_b32 v63, v15
	v_mov_b32_e32 v1, v24
	v_mov_b32_e32 v11, v10
	;; [unrolled: 1-line block ×3, first 2 shown]
.LBB298_23:
	s_or_b32 exec_lo, exec_lo, s2
	v_mov_b32_e32 v2, v20
	s_mov_b32 s2, exec_lo
	v_cmpx_lt_f32_e32 v1, v20
	s_cbranch_execz .LBB298_25
; %bb.24:
	v_mov_b32_e32 v91, v12
	v_mov_b32_e32 v51, v4
	;; [unrolled: 1-line block ×4, first 2 shown]
	v_dual_mov_b32 v40, v48 :: v_dual_mov_b32 v41, v49
	v_dual_mov_b32 v42, v50 :: v_dual_mov_b32 v47, v55
	;; [unrolled: 1-line block ×4, first 2 shown]
	v_mov_b32_e32 v44, v3
	v_dual_mov_b32 v76, v11 :: v_dual_mov_b32 v19, v20
	v_dual_mov_b32 v45, v53 :: v_dual_mov_b32 v46, v54
	;; [unrolled: 1-line block ×4, first 2 shown]
	v_mov_b32_e32 v73, v89
	v_mov_b32_e32 v56, v72
	v_dual_mov_b32 v32, v40 :: v_dual_mov_b32 v33, v41
	v_dual_mov_b32 v60, v76 :: v_dual_mov_b32 v61, v77
	;; [unrolled: 1-line block ×9, first 2 shown]
	v_mov_b32_e32 v59, v75
	v_dual_mov_b32 v37, v5 :: v_dual_mov_b32 v38, v6
	v_dual_mov_b32 v39, v7 :: v_dual_mov_b32 v62, v14
	;; [unrolled: 1-line block ×10, first 2 shown]
	v_mov_b32_e32 v4, v3
.LBB298_25:
	s_or_b32 exec_lo, exec_lo, s2
	v_mov_b32_e32 v1, v21
	s_mov_b32 s2, exec_lo
	v_cmpx_lt_f32_e32 v2, v21
	s_cbranch_execz .LBB298_27
; %bb.26:
	v_mov_b32_e32 v68, v5
	v_dual_mov_b32 v20, v21 :: v_dual_mov_b32 v21, v2
	v_mov_b32_e32 v84, v13
	v_dual_mov_b32 v32, v64 :: v_dual_mov_b32 v33, v65
	v_dual_mov_b32 v39, v71 :: v_dual_mov_b32 v56, v80
	;; [unrolled: 1-line block ×7, first 2 shown]
	v_mov_b32_e32 v61, v12
	v_dual_mov_b32 v72, v80 :: v_dual_mov_b32 v73, v81
	v_dual_mov_b32 v40, v64 :: v_dual_mov_b32 v41, v65
	;; [unrolled: 1-line block ×9, first 2 shown]
	v_mov_b32_e32 v45, v69
	v_mov_b32_e32 v1, v2
	;; [unrolled: 1-line block ×3, first 2 shown]
	v_dual_mov_b32 v5, v4 :: v_dual_mov_b32 v78, v86
	v_dual_mov_b32 v79, v87 :: v_dual_mov_b32 v46, v70
	v_mov_b32_e32 v47, v71
.LBB298_27:
	s_or_b32 exec_lo, exec_lo, s2
	v_mov_b32_e32 v2, v22
	s_mov_b32 s2, exec_lo
	v_cmpx_lt_f32_e32 v1, v22
	s_cbranch_execz .LBB298_29
; %bb.28:
	v_dual_mov_b32 v77, v14 :: v_dual_mov_b32 v78, v13
	v_dual_mov_b32 v45, v6 :: v_dual_mov_b32 v46, v5
	v_mov_b32_e32 v79, v15
	v_dual_mov_b32 v21, v22 :: v_dual_mov_b32 v22, v1
	v_dual_mov_b32 v47, v7 :: v_dual_mov_b32 v56, v72
	;; [unrolled: 1-line block ×10, first 2 shown]
.LBB298_29:
	s_or_b32 exec_lo, exec_lo, s2
	s_delay_alu instid0(VALU_DEP_1)
	v_cmp_lt_f32_e32 vcc_lo, v2, v23
	v_mov_b32_e32 v43, v59
	v_cmp_lt_f32_e64 s2, v16, v17
	v_dual_mov_b32 v41, v57 :: v_dual_mov_b32 v42, v58
	v_dual_cndmask_b32 v9, v23, v2 :: v_dual_mov_b32 v44, v60
	v_dual_cndmask_b32 v22, v22, v23 :: v_dual_cndmask_b32 v47, v63, v62
	s_delay_alu instid0(VALU_DEP_2)
	v_dual_mov_b32 v40, v56 :: v_dual_mov_b32 v23, v9
	v_dual_cndmask_b32 v46, v62, v63 :: v_dual_mov_b32 v1, v16
	v_dual_mov_b32 v4, v19 :: v_dual_mov_b32 v45, v61
	v_dual_cndmask_b32 v54, v38, v39 :: v_dual_cndmask_b32 v55, v39, v38
	v_dual_mov_b32 v2, v17 :: v_dual_mov_b32 v3, v18
	v_dual_mov_b32 v6, v21 :: v_dual_mov_b32 v5, v20
	;; [unrolled: 1-line block ×6, first 2 shown]
	s_and_saveexec_b32 s3, s2
	s_delay_alu instid0(SALU_CYCLE_1)
	s_xor_b32 s2, exec_lo, s3
	s_cbranch_execz .LBB298_31
; %bb.30:
	v_dual_mov_b32 v2, v17 :: v_dual_mov_b32 v3, v16
	v_dual_mov_b32 v4, v18 :: v_dual_mov_b32 v5, v19
	;; [unrolled: 1-line block ×4, first 2 shown]
	s_delay_alu instid0(VALU_DEP_4)
	v_dual_mov_b32 v1, v2 :: v_dual_mov_b32 v40, v57
	v_dual_mov_b32 v2, v3 :: v_dual_mov_b32 v41, v56
	v_dual_mov_b32 v3, v4 :: v_dual_mov_b32 v42, v58
	v_dual_mov_b32 v4, v5 :: v_dual_mov_b32 v43, v59
	v_dual_mov_b32 v5, v6 :: v_dual_mov_b32 v44, v60
	v_dual_mov_b32 v6, v7 :: v_dual_mov_b32 v45, v61
	v_dual_mov_b32 v7, v8 :: v_dual_mov_b32 v48, v33
	v_dual_mov_b32 v8, v9 :: v_dual_mov_b32 v49, v32
	v_dual_mov_b32 v50, v34 :: v_dual_mov_b32 v51, v35
	v_dual_mov_b32 v52, v36 :: v_dual_mov_b32 v53, v37
.LBB298_31:
	s_or_b32 exec_lo, exec_lo, s2
	v_dual_mov_b32 v26, v40 :: v_dual_mov_b32 v27, v41
	v_dual_mov_b32 v79, v47 :: v_dual_mov_b32 v78, v46
	;; [unrolled: 1-line block ×22, first 2 shown]
	v_mov_b32_e32 v34, v3
	s_mov_b32 s2, exec_lo
	v_dual_mov_b32 v77, v45 :: v_dual_mov_b32 v76, v44
	v_dual_mov_b32 v69, v53 :: v_dual_mov_b32 v68, v52
	v_cmpx_lt_f32_e32 v17, v3
	s_cbranch_execz .LBB298_33
; %bb.32:
	v_dual_mov_b32 v9, v48 :: v_dual_mov_b32 v10, v49
	v_dual_mov_b32 v15, v54 :: v_dual_mov_b32 v16, v55
	v_mov_b32_e32 v10, v50
	v_dual_mov_b32 v11, v50 :: v_dual_mov_b32 v12, v51
	v_dual_mov_b32 v13, v52 :: v_dual_mov_b32 v14, v53
	;; [unrolled: 1-line block ×3, first 2 shown]
	v_mov_b32_e32 v11, v49
	v_dual_mov_b32 v59, v43 :: v_dual_mov_b32 v58, v42
	v_dual_mov_b32 v57, v41 :: v_dual_mov_b32 v56, v40
	;; [unrolled: 1-line block ×14, first 2 shown]
	v_mov_b32_e32 v23, v69
	v_dual_mov_b32 v23, v53 :: v_dual_mov_b32 v26, v72
	v_dual_mov_b32 v19, v65 :: v_dual_mov_b32 v22, v68
	;; [unrolled: 1-line block ×12, first 2 shown]
	v_mov_b32_e32 v42, v41
	v_mov_b32_e32 v50, v49
.LBB298_33:
	s_or_b32 exec_lo, exec_lo, s2
	v_mov_b32_e32 v17, v4
	s_mov_b32 s2, exec_lo
	v_cmpx_lt_f32_e32 v34, v4
	s_cbranch_execz .LBB298_35
; %bb.34:
	v_mov_b32_e32 v11, v51
	v_dual_mov_b32 v3, v4 :: v_dual_mov_b32 v4, v34
	v_dual_mov_b32 v58, v43 :: v_dual_mov_b32 v71, v16
	v_mov_b32_e32 v64, v9
	v_dual_mov_b32 v70, v15 :: v_dual_mov_b32 v69, v14
	v_dual_mov_b32 v79, v63 :: v_dual_mov_b32 v76, v60
	;; [unrolled: 1-line block ×5, first 2 shown]
	v_mov_b32_e32 v67, v50
	v_dual_mov_b32 v78, v62 :: v_dual_mov_b32 v77, v61
	v_dual_mov_b32 v74, v58 :: v_dual_mov_b32 v73, v57
	;; [unrolled: 1-line block ×14, first 2 shown]
	v_mov_b32_e32 v33, v47
	v_mov_b32_e32 v17, v34
	;; [unrolled: 1-line block ×4, first 2 shown]
.LBB298_35:
	s_or_b32 exec_lo, exec_lo, s2
	v_mov_b32_e32 v12, v5
	s_mov_b32 s2, exec_lo
	v_cmpx_lt_f32_e32 v17, v5
	s_cbranch_execz .LBB298_37
; %bb.36:
	v_mov_b32_e32 v12, v52
	v_dual_mov_b32 v4, v5 :: v_dual_mov_b32 v59, v44
	v_mov_b32_e32 v5, v17
	v_dual_mov_b32 v25, v16 :: v_dual_mov_b32 v24, v15
	v_dual_mov_b32 v26, v56 :: v_dual_mov_b32 v27, v57
	;; [unrolled: 1-line block ×19, first 2 shown]
	v_mov_b32_e32 v12, v17
	v_mov_b32_e32 v44, v43
	v_dual_mov_b32 v52, v51 :: v_dual_mov_b32 v77, v61
	v_mov_b32_e32 v76, v60
.LBB298_37:
	s_or_b32 exec_lo, exec_lo, s2
	v_mov_b32_e32 v9, v6
	s_mov_b32 s2, exec_lo
	v_cmpx_lt_f32_e32 v12, v6
	s_cbranch_execz .LBB298_39
; %bb.38:
	v_dual_mov_b32 v68, v53 :: v_dual_mov_b32 v69, v52
	v_dual_mov_b32 v70, v54 :: v_dual_mov_b32 v77, v44
	;; [unrolled: 1-line block ×13, first 2 shown]
	v_mov_b32_e32 v9, v12
.LBB298_39:
	s_or_b32 exec_lo, exec_lo, s2
	s_delay_alu instid0(VALU_DEP_1)
	v_cmp_lt_f32_e32 vcc_lo, v9, v7
	v_mov_b32_e32 v11, v3
	v_mov_b32_e32 v13, v5
	s_mov_b32 s2, exec_lo
	v_dual_mov_b32 v10, v2 :: v_dual_cndmask_b32 v17, v32, v31
	v_dual_cndmask_b32 v31, v31, v32 :: v_dual_cndmask_b32 v66, v24, v23
	v_dual_cndmask_b32 v23, v23, v24 :: v_dual_cndmask_b32 v14, v6, v7
	v_dual_cndmask_b32 v15, v7, v9 :: v_dual_mov_b32 v12, v4
	v_dual_mov_b32 v9, v1 :: v_dual_mov_b32 v16, v8
	v_cmpx_lt_f32_e32 v1, v2
	s_cbranch_execz .LBB298_41
; %bb.40:
	s_delay_alu instid0(VALU_DEP_2) | instskip(NEXT) | instid1(VALU_DEP_3)
	v_dual_mov_b32 v2, v10 :: v_dual_mov_b32 v3, v9
	v_dual_mov_b32 v8, v15 :: v_dual_mov_b32 v9, v16
	;; [unrolled: 1-line block ×4, first 2 shown]
	s_delay_alu instid0(VALU_DEP_3) | instskip(NEXT) | instid1(VALU_DEP_4)
	v_mov_b32_e32 v16, v9
	v_dual_mov_b32 v24, v26 :: v_dual_mov_b32 v15, v8
	s_delay_alu instid0(VALU_DEP_4)
	v_dual_mov_b32 v32, v18 :: v_dual_mov_b32 v11, v4
	v_swap_b32 v26, v27
	v_swap_b32 v18, v19
	v_dual_mov_b32 v14, v7 :: v_dual_mov_b32 v13, v6
	v_mov_b32_e32 v12, v5
	v_dual_mov_b32 v10, v3 :: v_dual_mov_b32 v9, v2
	v_mov_b32_e32 v2, v1
.LBB298_41:
	s_or_b32 exec_lo, exec_lo, s2
	v_mov_b32_e32 v24, v66
	v_mov_b32_e32 v32, v17
	;; [unrolled: 1-line block ×4, first 2 shown]
	s_delay_alu instid0(VALU_DEP_4)
	v_dual_mov_b32 v41, v33 :: v_dual_mov_b32 v48, v24
	v_dual_mov_b32 v34, v26 :: v_dual_mov_b32 v65, v33
	;; [unrolled: 1-line block ×15, first 2 shown]
	v_mov_b32_e32 v50, v18
	s_mov_b32 s2, exec_lo
	v_cmpx_lt_f32_e32 v2, v11
	s_cbranch_execz .LBB298_43
; %bb.42:
	v_dual_mov_b32 v57, v25 :: v_dual_mov_b32 v56, v24
	v_dual_mov_b32 v53, v21 :: v_dual_mov_b32 v52, v20
	;; [unrolled: 1-line block ×7, first 2 shown]
	s_delay_alu instid0(VALU_DEP_4)
	v_dual_mov_b32 v42, v50 :: v_dual_mov_b32 v43, v51
	v_dual_mov_b32 v63, v31 :: v_dual_mov_b32 v62, v30
	;; [unrolled: 1-line block ×18, first 2 shown]
	v_mov_b32_e32 v1, v2
.LBB298_43:
	s_or_b32 exec_lo, exec_lo, s2
	v_mov_b32_e32 v2, v12
	s_mov_b32 s2, exec_lo
	s_delay_alu instid0(VALU_DEP_2)
	v_cmpx_lt_f32_e32 v1, v12
	s_cbranch_execz .LBB298_45
; %bb.44:
	v_dual_mov_b32 v52, v21 :: v_dual_mov_b32 v11, v12
	v_mov_b32_e32 v60, v29
	v_dual_mov_b32 v42, v50 :: v_dual_mov_b32 v45, v53
	v_dual_mov_b32 v47, v55 :: v_dual_mov_b32 v34, v58
	s_delay_alu instid0(VALU_DEP_4)
	v_dual_mov_b32 v37, v61 :: v_dual_mov_b32 v44, v52
	v_dual_mov_b32 v49, v57 :: v_dual_mov_b32 v46, v54
	v_mov_b32_e32 v45, v20
	v_dual_mov_b32 v48, v56 :: v_dual_mov_b32 v47, v23
	v_dual_mov_b32 v36, v60 :: v_dual_mov_b32 v39, v63
	;; [unrolled: 1-line block ×9, first 2 shown]
	v_mov_b32_e32 v41, v33
	v_dual_mov_b32 v2, v1 :: v_dual_mov_b32 v21, v20
.LBB298_45:
	s_or_b32 exec_lo, exec_lo, s2
	v_mov_b32_e32 v1, v13
	s_mov_b32 s2, exec_lo
	s_delay_alu instid0(VALU_DEP_2)
	v_cmpx_lt_f32_e32 v2, v13
	s_cbranch_execz .LBB298_47
; %bb.46:
	v_dual_mov_b32 v53, v22 :: v_dual_mov_b32 v54, v21
	v_dual_mov_b32 v55, v23 :: v_dual_mov_b32 v56, v66
	v_dual_mov_b32 v61, v30 :: v_dual_mov_b32 v62, v29
	v_dual_mov_b32 v63, v31 :: v_dual_mov_b32 v64, v17
	v_mov_b32_e32 v57, v25
	v_dual_mov_b32 v65, v33 :: v_dual_mov_b32 v42, v50
	v_mov_b32_e32 v34, v58
	v_dual_mov_b32 v12, v13 :: v_dual_mov_b32 v13, v2
	v_dual_mov_b32 v35, v59 :: v_dual_mov_b32 v36, v60
	;; [unrolled: 1-line block ×7, first 2 shown]
	v_mov_b32_e32 v47, v55
	v_mov_b32_e32 v49, v57
	;; [unrolled: 1-line block ×3, first 2 shown]
.LBB298_47:
	s_or_b32 exec_lo, exec_lo, s2
	s_delay_alu instid0(VALU_DEP_1)
	v_cmp_lt_f32_e32 vcc_lo, v1, v14
	v_dual_mov_b32 v20, v10 :: v_dual_mov_b32 v25, v15
	v_mov_b32_e32 v22, v12
	v_dual_mov_b32 v26, v16 :: v_dual_cndmask_b32 v27, v39, v38
	v_cndmask_b32_e32 v38, v38, v39, vcc_lo
	v_dual_cndmask_b32 v28, v47, v46 :: v_dual_mov_b32 v19, v9
	v_dual_cndmask_b32 v46, v46, v47 :: v_dual_cndmask_b32 v23, v13, v14
	v_dual_cndmask_b32 v24, v14, v1 :: v_dual_mov_b32 v21, v11
	s_mov_b32 s2, exec_lo
	v_cmpx_lt_f32_e32 v9, v10
	s_cbranch_execz .LBB298_49
; %bb.48:
	v_dual_mov_b32 v7, v25 :: v_dual_mov_b32 v8, v26
	v_dual_mov_b32 v1, v20 :: v_dual_mov_b32 v2, v19
	;; [unrolled: 1-line block ×4, first 2 shown]
	s_delay_alu instid0(VALU_DEP_4)
	v_dual_mov_b32 v11, v34 :: v_dual_mov_b32 v26, v8
	v_dual_mov_b32 v12, v42 :: v_dual_mov_b32 v25, v7
	v_swap_b32 v34, v35
	v_swap_b32 v42, v43
	v_dual_mov_b32 v24, v6 :: v_dual_mov_b32 v23, v5
	v_dual_mov_b32 v22, v4 :: v_dual_mov_b32 v21, v3
	;; [unrolled: 1-line block ×3, first 2 shown]
	v_mov_b32_e32 v10, v9
.LBB298_49:
	s_or_b32 exec_lo, exec_lo, s2
	v_mov_b32_e32 v47, v28
	v_mov_b32_e32 v39, v27
	v_dual_mov_b32 v1, v42 :: v_dual_mov_b32 v4, v45
	v_dual_mov_b32 v11, v34 :: v_dual_mov_b32 v14, v37
	;; [unrolled: 1-line block ×3, first 2 shown]
	s_delay_alu instid0(VALU_DEP_4)
	v_dual_mov_b32 v16, v39 :: v_dual_mov_b32 v15, v38
	v_dual_mov_b32 v18, v41 :: v_dual_mov_b32 v17, v40
	;; [unrolled: 1-line block ×5, first 2 shown]
	v_mov_b32_e32 v9, v21
	s_mov_b32 s2, exec_lo
	v_cmpx_lt_f32_e32 v10, v21
	s_cbranch_execz .LBB298_51
; %bb.50:
	v_dual_mov_b32 v1, v42 :: v_dual_mov_b32 v2, v43
	v_dual_mov_b32 v5, v46 :: v_dual_mov_b32 v6, v47
	;; [unrolled: 1-line block ×16, first 2 shown]
	v_mov_b32_e32 v18, v41
	v_mov_b32_e32 v36, v35
	;; [unrolled: 1-line block ×3, first 2 shown]
.LBB298_51:
	s_or_b32 exec_lo, exec_lo, s2
	v_mov_b32_e32 v29, v22
	s_mov_b32 s2, exec_lo
	v_cmpx_lt_f32_e32 v9, v22
; %bb.52:
	v_dual_mov_b32 v21, v22 :: v_dual_mov_b32 v22, v9
	v_dual_mov_b32 v3, v45 :: v_dual_mov_b32 v4, v44
	v_dual_mov_b32 v5, v46 :: v_dual_mov_b32 v6, v28
	v_dual_mov_b32 v7, v48 :: v_dual_mov_b32 v8, v49
	v_dual_mov_b32 v13, v37 :: v_dual_mov_b32 v14, v36
	v_dual_mov_b32 v15, v38 :: v_dual_mov_b32 v16, v27
	v_dual_mov_b32 v17, v40 :: v_dual_mov_b32 v18, v41
	v_mov_b32_e32 v29, v9
; %bb.53:
	s_or_b32 exec_lo, exec_lo, s2
	s_delay_alu instid0(VALU_DEP_1)
	v_cmp_lt_f32_e32 vcc_lo, v29, v23
	v_dual_mov_b32 v28, v20 :: v_dual_mov_b32 v33, v25
	v_mov_b32_e32 v32, v24
	v_dual_mov_b32 v34, v26 :: v_dual_cndmask_b32 v9, v15, v14
	v_cndmask_b32_e32 v14, v14, v15, vcc_lo
	v_dual_cndmask_b32 v10, v5, v4 :: v_dual_cndmask_b32 v31, v23, v29
	v_dual_cndmask_b32 v4, v4, v5 :: v_dual_mov_b32 v27, v19
	v_dual_cndmask_b32 v30, v22, v23 :: v_dual_mov_b32 v29, v21
	s_mov_b32 s2, exec_lo
	v_cmpx_lt_f32_e32 v19, v20
	s_cbranch_execz .LBB298_55
; %bb.54:
	v_dual_mov_b32 v20, v28 :: v_dual_mov_b32 v21, v27
	v_dual_mov_b32 v26, v33 :: v_dual_mov_b32 v27, v34
	;; [unrolled: 1-line block ×4, first 2 shown]
	s_delay_alu instid0(VALU_DEP_3) | instskip(SKIP_2) | instid1(VALU_DEP_4)
	v_dual_mov_b32 v15, v1 :: v_dual_mov_b32 v34, v27
	v_mov_b32_e32 v5, v11
	v_swap_b32 v11, v12
	v_mov_b32_e32 v32, v25
	v_swap_b32 v1, v2
	v_dual_mov_b32 v33, v26 :: v_dual_mov_b32 v30, v23
	v_dual_mov_b32 v31, v24 :: v_dual_mov_b32 v28, v21
	v_mov_b32_e32 v29, v22
	v_dual_mov_b32 v27, v20 :: v_dual_mov_b32 v20, v19
.LBB298_55:
	s_or_b32 exec_lo, exec_lo, s2
	v_mov_b32_e32 v5, v10
	v_mov_b32_e32 v15, v9
	;; [unrolled: 1-line block ×3, first 2 shown]
	s_mov_b32 s2, exec_lo
	v_cmpx_lt_f32_e32 v20, v29
	s_cbranch_execz .LBB298_57
; %bb.56:
	v_dual_mov_b32 v50, v18 :: v_dual_mov_b32 v49, v17
	v_dual_mov_b32 v42, v8 :: v_dual_mov_b32 v41, v7
	;; [unrolled: 1-line block ×14, first 2 shown]
	v_mov_b32_e32 v50, v18
	v_dual_mov_b32 v28, v29 :: v_dual_mov_b32 v29, v20
	v_dual_mov_b32 v42, v8 :: v_dual_mov_b32 v11, v43
	;; [unrolled: 1-line block ×10, first 2 shown]
.LBB298_57:
	s_or_b32 exec_lo, exec_lo, s2
	s_delay_alu instid0(VALU_DEP_1) | instskip(NEXT) | instid1(VALU_DEP_3)
	v_cmp_lt_f32_e32 vcc_lo, v19, v30
	v_dual_mov_b32 v20, v5 :: v_dual_mov_b32 v21, v6
	s_delay_alu instid0(VALU_DEP_3)
	v_dual_mov_b32 v22, v7 :: v_dual_mov_b32 v23, v8
	v_dual_cndmask_b32 v9, v14, v13 :: v_dual_cndmask_b32 v10, v4, v3
	v_dual_cndmask_b32 v35, v13, v14 :: v_dual_cndmask_b32 v36, v3, v4
	;; [unrolled: 1-line block ×3, first 2 shown]
	v_dual_mov_b32 v4, v15 :: v_dual_mov_b32 v13, v16
	v_dual_mov_b32 v14, v17 :: v_dual_mov_b32 v19, v18
	;; [unrolled: 1-line block ×4, first 2 shown]
	v_mov_b32_e32 v29, v34
	s_mov_b32 s2, exec_lo
	v_cmpx_lt_f32_e32 v27, v28
	s_cbranch_execz .LBB298_59
; %bb.58:
	v_dual_mov_b32 v24, v28 :: v_dual_mov_b32 v19, v18
	v_dual_mov_b32 v4, v11 :: v_dual_mov_b32 v13, v16
	;; [unrolled: 1-line block ×3, first 2 shown]
	v_swap_b32 v11, v12
	v_swap_b32 v1, v2
	v_dual_mov_b32 v28, v27 :: v_dual_mov_b32 v21, v6
	v_dual_mov_b32 v4, v15 :: v_dual_mov_b32 v23, v8
	;; [unrolled: 1-line block ×5, first 2 shown]
	v_mov_b32_e32 v24, v31
	v_mov_b32_e32 v26, v33
.LBB298_59:
	s_or_b32 exec_lo, exec_lo, s2
	s_clause 0x1
	s_load_b32 s8, s[0:1], 0x28
	s_load_b128 s[4:7], s[0:1], 0x10
	s_waitcnt lgkmcnt(0)
	s_cmp_lt_i32 s8, 1
	s_cbranch_scc1 .LBB298_65
; %bb.60:
	v_cmp_lt_f32_e32 vcc_lo, v28, v30
	v_mov_b32_e32 v7, 0
	s_mov_b32 s9, 0x76543210
	s_mov_b32 s10, s8
	v_mov_b32_e32 v6, 0
	v_dual_cndmask_b32 v8, v35, v12 :: v_dual_cndmask_b32 v17, v37, v30
	v_cndmask_b32_e32 v5, v36, v2, vcc_lo
	v_cndmask_b32_e32 v15, v2, v36, vcc_lo
	;; [unrolled: 1-line block ×4, first 2 shown]
	v_cmp_lt_f32_e64 s2, v27, v17
	s_delay_alu instid0(VALU_DEP_1)
	v_cndmask_b32_e64 v12, v15, v1, s2
	v_cndmask_b32_e64 v15, v1, v15, s2
	;; [unrolled: 1-line block ×6, first 2 shown]
	v_mov_b32_e32 v27, v0
	v_mov_b32_e32 v1, 0
.LBB298_61:                             ; =>This Inner Loop Header: Depth=1
	v_cmp_eq_u32_e32 vcc_lo, 1, v7
	v_cmp_eq_u32_e64 s2, 2, v7
	v_cmp_gt_u32_e64 s3, 8, v7
	v_dual_cndmask_b32 v28, v17, v16 :: v_dual_cndmask_b32 v31, v11, v18
	v_cndmask_b32_e32 v30, v15, v12, vcc_lo
	v_cmp_eq_u32_e32 vcc_lo, 3, v7
	s_delay_alu instid0(VALU_DEP_3) | instskip(NEXT) | instid1(VALU_DEP_4)
	v_cndmask_b32_e64 v28, v28, v2, s2
	v_cndmask_b32_e64 v31, v31, v8, s2
	s_delay_alu instid0(VALU_DEP_4) | instskip(SKIP_1) | instid1(VALU_DEP_3)
	v_cndmask_b32_e64 v30, v30, v5, s2
	v_cmp_eq_u32_e64 s2, 4, v7
	v_dual_cndmask_b32 v28, v28, v3 :: v_dual_cndmask_b32 v31, v31, v9
	s_delay_alu instid0(VALU_DEP_1) | instskip(NEXT) | instid1(VALU_DEP_2)
	v_cndmask_b32_e64 v28, v28, v24, s2
	v_cndmask_b32_e64 v31, v31, v4, s2
	v_cndmask_b32_e32 v30, v30, v10, vcc_lo
	v_cmp_eq_u32_e32 vcc_lo, 5, v7
	s_delay_alu instid0(VALU_DEP_3) | instskip(SKIP_1) | instid1(VALU_DEP_4)
	v_cndmask_b32_e32 v31, v31, v13, vcc_lo
	v_cndmask_b32_e32 v28, v28, v25, vcc_lo
	v_cndmask_b32_e64 v30, v30, v20, s2
	v_cmp_eq_u32_e64 s2, 6, v7
	s_delay_alu instid0(VALU_DEP_2) | instskip(NEXT) | instid1(VALU_DEP_2)
	v_cndmask_b32_e32 v30, v30, v21, vcc_lo
	v_cndmask_b32_e64 v28, v28, v26, s2
	v_cmp_eq_u32_e32 vcc_lo, 7, v7
	v_cndmask_b32_e64 v31, v31, v14, s2
	s_delay_alu instid0(VALU_DEP_4) | instskip(NEXT) | instid1(VALU_DEP_4)
	v_cndmask_b32_e64 v30, v30, v22, s2
	v_cndmask_b32_e32 v28, v28, v29, vcc_lo
	s_delay_alu instid0(VALU_DEP_2) | instskip(NEXT) | instid1(VALU_DEP_2)
	v_cndmask_b32_e32 v30, v30, v23, vcc_lo
	v_cndmask_b32_e64 v28, 0xff800000, v28, s3
	;;#ASMSTART
	v_max_f32 v32, v28, v28 quad_perm:[1,0,3,2] row_mask:0xf bank_mask:0xf bound_ctrl:1
	;;#ASMEND
	;;#ASMSTART
	v_max_f32 v33, v32, v32 quad_perm:[2,3,0,1] row_mask:0xf bank_mask:0xf bound_ctrl:1
	;;#ASMEND
	;;#ASMSTART
	v_max_f32 v32, v33, v33 row_half_mirror row_mask:0xf bank_mask:0xf bound_ctrl:1
	;;#ASMEND
	;;#ASMSTART
	v_max_f32 v33, v32, v32 row_mirror row_mask:0xf bank_mask:0xf bound_ctrl:1
	;;#ASMEND
	v_permlanex16_b32 v32, v33, s9, 0xfedcba98 op_sel:[1,1]
	s_delay_alu instid0(VALU_DEP_1) | instskip(NEXT) | instid1(VALU_DEP_1)
	v_dual_max_f32 v33, v33, v33 :: v_dual_max_f32 v32, v32, v32
	v_max_f32_e32 v32, v33, v32
	s_delay_alu instid0(VALU_DEP_1) | instskip(SKIP_1) | instid1(VALU_DEP_2)
	v_cmp_eq_f32_e64 s2, v28, v32
	v_cndmask_b32_e64 v28, 0, v30, s3
	s_ctz_i32_b32 s11, s2
	s_cmp_lg_u32 s2, 0
	s_cselect_b32 s2, s11, 0
	s_add_i32 s10, s10, -1
	v_readlane_b32 s11, v28, s2
	v_cndmask_b32_e32 v28, v31, v19, vcc_lo
	s_delay_alu instid0(VALU_DEP_2)
	v_cmp_eq_u32_e32 vcc_lo, s11, v30
	s_and_b32 s2, s11, 31
	s_and_b32 vcc_lo, s3, vcc_lo
	s_cmp_eq_u32 s10, 0
	v_cndmask_b32_e32 v28, 0, v28, vcc_lo
	v_add_co_ci_u32_e32 v7, vcc_lo, 0, v7, vcc_lo
	s_delay_alu instid0(VALU_DEP_2) | instskip(SKIP_2) | instid1(VALU_DEP_2)
	v_readlane_b32 s3, v28, s2
	v_cmp_eq_u32_e64 s2, 0, v27
	v_add_nc_u32_e32 v27, -1, v27
	v_cndmask_b32_e64 v6, v6, s3, s2
	v_cndmask_b32_e64 v1, v1, s11, s2
	s_cbranch_scc0 .LBB298_61
; %bb.62:
	s_mov_b32 s2, exec_lo
	v_cmpx_gt_i32_e64 s8, v0
	s_cbranch_execz .LBB298_64
.LBB298_63:
	s_clause 0x1
	s_load_b64 s[2:3], s[0:1], 0x20
	s_load_b32 s8, s[0:1], 0x30
	s_ashr_i32 s0, s15, 31
	v_lshlrev_b32_e32 v0, 2, v0
	s_waitcnt lgkmcnt(0)
	s_mul_i32 s1, s15, s3
	s_mul_hi_u32 s3, s15, s2
	s_mul_i32 s0, s0, s2
	s_add_i32 s1, s3, s1
	v_mul_f32_e32 v2, s8, v6
	s_add_i32 s1, s1, s0
	s_mul_i32 s0, s15, s2
	s_delay_alu instid0(SALU_CYCLE_1) | instskip(NEXT) | instid1(SALU_CYCLE_1)
	s_lshl_b64 s[0:1], s[0:1], 2
	s_add_u32 s2, s4, s0
	s_addc_u32 s3, s5, s1
	s_add_u32 s0, s6, s0
	s_addc_u32 s1, s7, s1
	s_clause 0x1
	global_store_b32 v0, v2, s[2:3]
	global_store_b32 v0, v1, s[0:1]
.LBB298_64:
	s_nop 0
	s_sendmsg sendmsg(MSG_DEALLOC_VGPRS)
	s_endpgm
.LBB298_65:
	v_dual_mov_b32 v1, 0 :: v_dual_mov_b32 v6, 0
	s_mov_b32 s2, exec_lo
	v_cmpx_gt_i32_e64 s8, v0
	s_cbranch_execnz .LBB298_63
	s_branch .LBB298_64
	.section	.rodata,"a",@progbits
	.p2align	6, 0x0
	.amdhsa_kernel _ZN5aiter24topk_softplus_kernel_optI12hip_bfloat16S1_Li256ELb0ELi0EEEvPKT_PKT0_PfPimiif
		.amdhsa_group_segment_fixed_size 0
		.amdhsa_private_segment_fixed_size 0
		.amdhsa_kernarg_size 52
		.amdhsa_user_sgpr_count 15
		.amdhsa_user_sgpr_dispatch_ptr 0
		.amdhsa_user_sgpr_queue_ptr 0
		.amdhsa_user_sgpr_kernarg_segment_ptr 1
		.amdhsa_user_sgpr_dispatch_id 0
		.amdhsa_user_sgpr_private_segment_size 0
		.amdhsa_wavefront_size32 1
		.amdhsa_uses_dynamic_stack 0
		.amdhsa_enable_private_segment 0
		.amdhsa_system_sgpr_workgroup_id_x 1
		.amdhsa_system_sgpr_workgroup_id_y 0
		.amdhsa_system_sgpr_workgroup_id_z 0
		.amdhsa_system_sgpr_workgroup_info 0
		.amdhsa_system_vgpr_workitem_id 0
		.amdhsa_next_free_vgpr 96
		.amdhsa_next_free_sgpr 16
		.amdhsa_reserve_vcc 1
		.amdhsa_float_round_mode_32 0
		.amdhsa_float_round_mode_16_64 0
		.amdhsa_float_denorm_mode_32 3
		.amdhsa_float_denorm_mode_16_64 3
		.amdhsa_dx10_clamp 1
		.amdhsa_ieee_mode 1
		.amdhsa_fp16_overflow 0
		.amdhsa_workgroup_processor_mode 1
		.amdhsa_memory_ordered 1
		.amdhsa_forward_progress 0
		.amdhsa_shared_vgpr_count 0
		.amdhsa_exception_fp_ieee_invalid_op 0
		.amdhsa_exception_fp_denorm_src 0
		.amdhsa_exception_fp_ieee_div_zero 0
		.amdhsa_exception_fp_ieee_overflow 0
		.amdhsa_exception_fp_ieee_underflow 0
		.amdhsa_exception_fp_ieee_inexact 0
		.amdhsa_exception_int_div_zero 0
	.end_amdhsa_kernel
	.section	.text._ZN5aiter24topk_softplus_kernel_optI12hip_bfloat16S1_Li256ELb0ELi0EEEvPKT_PKT0_PfPimiif,"axG",@progbits,_ZN5aiter24topk_softplus_kernel_optI12hip_bfloat16S1_Li256ELb0ELi0EEEvPKT_PKT0_PfPimiif,comdat
.Lfunc_end298:
	.size	_ZN5aiter24topk_softplus_kernel_optI12hip_bfloat16S1_Li256ELb0ELi0EEEvPKT_PKT0_PfPimiif, .Lfunc_end298-_ZN5aiter24topk_softplus_kernel_optI12hip_bfloat16S1_Li256ELb0ELi0EEEvPKT_PKT0_PfPimiif
                                        ; -- End function
	.section	.AMDGPU.csdata,"",@progbits
; Kernel info:
; codeLenInByte = 8496
; NumSgprs: 18
; NumVgprs: 96
; ScratchSize: 0
; MemoryBound: 0
; FloatMode: 240
; IeeeMode: 1
; LDSByteSize: 0 bytes/workgroup (compile time only)
; SGPRBlocks: 2
; VGPRBlocks: 11
; NumSGPRsForWavesPerEU: 18
; NumVGPRsForWavesPerEU: 96
; Occupancy: 16
; WaveLimiterHint : 0
; COMPUTE_PGM_RSRC2:SCRATCH_EN: 0
; COMPUTE_PGM_RSRC2:USER_SGPR: 15
; COMPUTE_PGM_RSRC2:TRAP_HANDLER: 0
; COMPUTE_PGM_RSRC2:TGID_X_EN: 1
; COMPUTE_PGM_RSRC2:TGID_Y_EN: 0
; COMPUTE_PGM_RSRC2:TGID_Z_EN: 0
; COMPUTE_PGM_RSRC2:TIDIG_COMP_CNT: 0
	.section	.text._ZN5aiter24topk_softplus_kernel_optI12hip_bfloat16S1_Li384ELb1ELi0EEEvPKT_PKT0_PfPimiif,"axG",@progbits,_ZN5aiter24topk_softplus_kernel_optI12hip_bfloat16S1_Li384ELb1ELi0EEEvPKT_PKT0_PfPimiif,comdat
	.protected	_ZN5aiter24topk_softplus_kernel_optI12hip_bfloat16S1_Li384ELb1ELi0EEEvPKT_PKT0_PfPimiif ; -- Begin function _ZN5aiter24topk_softplus_kernel_optI12hip_bfloat16S1_Li384ELb1ELi0EEEvPKT_PKT0_PfPimiif
	.globl	_ZN5aiter24topk_softplus_kernel_optI12hip_bfloat16S1_Li384ELb1ELi0EEEvPKT_PKT0_PfPimiif
	.p2align	8
	.type	_ZN5aiter24topk_softplus_kernel_optI12hip_bfloat16S1_Li384ELb1ELi0EEEvPKT_PKT0_PfPimiif,@function
_ZN5aiter24topk_softplus_kernel_optI12hip_bfloat16S1_Li384ELb1ELi0EEEvPKT_PKT0_PfPimiif: ; @_ZN5aiter24topk_softplus_kernel_optI12hip_bfloat16S1_Li384ELb1ELi0EEEvPKT_PKT0_PfPimiif
; %bb.0:
	s_load_b128 s[4:7], s[0:1], 0x0
	s_mul_i32 s2, s15, 0x180
	v_lshlrev_b32_e32 v1, 1, v0
	s_ashr_i32 s3, s2, 31
	s_delay_alu instid0(SALU_CYCLE_1)
	s_lshl_b64 s[2:3], s[2:3], 1
	s_waitcnt lgkmcnt(0)
	s_add_u32 s4, s4, s2
	s_addc_u32 s5, s5, s3
	s_cmp_lg_u64 s[6:7], 0
	global_load_u16 v2, v1, s[4:5]
	s_cselect_b32 s3, -1, 0
	s_waitcnt vmcnt(0)
	v_lshlrev_b32_e32 v2, 16, v2
	s_delay_alu instid0(VALU_DEP_1) | instskip(NEXT) | instid1(VALU_DEP_1)
	v_mul_f32_e32 v3, 0x3fb8aa3b, v2
	v_cmp_gt_f32_e32 vcc_lo, 0xc2fc0000, v3
	v_cndmask_b32_e64 v3, 0, 0x42800000, vcc_lo
	v_cndmask_b32_e64 v4, 1.0, 0x1f800000, vcc_lo
	s_delay_alu instid0(VALU_DEP_2) | instskip(NEXT) | instid1(VALU_DEP_1)
	v_fmac_f32_e32 v3, 0x3fb8aa3b, v2
	v_exp_f32_e32 v3, v3
	s_waitcnt_depctr 0xfff
	v_fma_f32 v3, v3, v4, 1.0
	s_delay_alu instid0(VALU_DEP_1) | instskip(SKIP_1) | instid1(VALU_DEP_1)
	v_cmp_gt_f32_e32 vcc_lo, 0x800000, v3
	v_cndmask_b32_e64 v4, 1.0, 0x4f800000, vcc_lo
	v_mul_f32_e32 v3, v3, v4
	v_cndmask_b32_e64 v4, 0, 0x42000000, vcc_lo
	v_cmp_lt_f32_e32 vcc_lo, 0x41a00000, v2
	s_delay_alu instid0(VALU_DEP_3) | instskip(SKIP_2) | instid1(VALU_DEP_1)
	v_log_f32_e32 v3, v3
	s_waitcnt_depctr 0xfff
	v_sub_f32_e32 v3, v3, v4
	v_mul_f32_e32 v3, 0x3f317218, v3
	s_delay_alu instid0(VALU_DEP_1) | instskip(NEXT) | instid1(VALU_DEP_1)
	v_cndmask_b32_e32 v2, v3, v2, vcc_lo
	v_mul_f32_e32 v3, 0x4f800000, v2
	v_cmp_gt_f32_e32 vcc_lo, 0xf800000, v2
	s_delay_alu instid0(VALU_DEP_2) | instskip(NEXT) | instid1(VALU_DEP_1)
	v_cndmask_b32_e32 v2, v2, v3, vcc_lo
	v_sqrt_f32_e32 v3, v2
	s_waitcnt_depctr 0xfff
	v_add_nc_u32_e32 v4, -1, v3
	v_add_nc_u32_e32 v5, 1, v3
	s_delay_alu instid0(VALU_DEP_2) | instskip(NEXT) | instid1(VALU_DEP_2)
	v_fma_f32 v6, -v4, v3, v2
	v_fma_f32 v7, -v5, v3, v2
	s_delay_alu instid0(VALU_DEP_2) | instskip(NEXT) | instid1(VALU_DEP_1)
	v_cmp_ge_f32_e64 s2, 0, v6
	v_cndmask_b32_e64 v3, v3, v4, s2
	s_delay_alu instid0(VALU_DEP_3) | instskip(NEXT) | instid1(VALU_DEP_1)
	v_cmp_lt_f32_e64 s2, 0, v7
	v_cndmask_b32_e64 v3, v3, v5, s2
	v_add_co_u32 v12, s2, s4, v1
	s_delay_alu instid0(VALU_DEP_1) | instskip(NEXT) | instid1(VALU_DEP_3)
	v_add_co_ci_u32_e64 v13, null, s5, 0, s2
	v_mul_f32_e32 v4, 0x37800000, v3
	s_delay_alu instid0(VALU_DEP_1) | instskip(SKIP_1) | instid1(VALU_DEP_2)
	v_cndmask_b32_e32 v3, v3, v4, vcc_lo
	v_cmp_class_f32_e64 vcc_lo, v2, 0x260
	v_cndmask_b32_e32 v49, v3, v2, vcc_lo
	s_and_b32 vcc_lo, exec_lo, s3
	s_delay_alu instid0(VALU_DEP_1)
	v_mov_b32_e32 v37, v49
	s_cbranch_vccz .LBB299_2
; %bb.1:
	global_load_u16 v2, v1, s[6:7]
	s_waitcnt vmcnt(0)
	v_lshlrev_b32_e32 v2, 16, v2
	s_delay_alu instid0(VALU_DEP_1)
	v_add_f32_e32 v37, v49, v2
.LBB299_2:
	global_load_u16 v2, v[12:13], off offset:64
	v_cndmask_b32_e64 v14, 0, 1, s3
	s_waitcnt vmcnt(0)
	v_lshlrev_b32_e32 v2, 16, v2
	s_delay_alu instid0(VALU_DEP_1) | instskip(NEXT) | instid1(VALU_DEP_1)
	v_mul_f32_e32 v3, 0x3fb8aa3b, v2
	v_cmp_gt_f32_e32 vcc_lo, 0xc2fc0000, v3
	v_cndmask_b32_e64 v3, 0, 0x42800000, vcc_lo
	v_cndmask_b32_e64 v4, 1.0, 0x1f800000, vcc_lo
	s_delay_alu instid0(VALU_DEP_2) | instskip(NEXT) | instid1(VALU_DEP_1)
	v_fmac_f32_e32 v3, 0x3fb8aa3b, v2
	v_exp_f32_e32 v3, v3
	s_waitcnt_depctr 0xfff
	v_fma_f32 v3, v3, v4, 1.0
	s_delay_alu instid0(VALU_DEP_1) | instskip(SKIP_1) | instid1(VALU_DEP_1)
	v_cmp_gt_f32_e32 vcc_lo, 0x800000, v3
	v_cndmask_b32_e64 v4, 1.0, 0x4f800000, vcc_lo
	v_mul_f32_e32 v3, v3, v4
	v_cndmask_b32_e64 v4, 0, 0x42000000, vcc_lo
	v_cmp_lt_f32_e32 vcc_lo, 0x41a00000, v2
	s_delay_alu instid0(VALU_DEP_3) | instskip(SKIP_2) | instid1(VALU_DEP_1)
	v_log_f32_e32 v3, v3
	s_waitcnt_depctr 0xfff
	v_sub_f32_e32 v3, v3, v4
	v_mul_f32_e32 v3, 0x3f317218, v3
	s_delay_alu instid0(VALU_DEP_1) | instskip(NEXT) | instid1(VALU_DEP_1)
	v_cndmask_b32_e32 v2, v3, v2, vcc_lo
	v_mul_f32_e32 v3, 0x4f800000, v2
	v_cmp_gt_f32_e32 vcc_lo, 0xf800000, v2
	s_delay_alu instid0(VALU_DEP_2) | instskip(NEXT) | instid1(VALU_DEP_1)
	v_cndmask_b32_e32 v2, v2, v3, vcc_lo
	v_sqrt_f32_e32 v3, v2
	s_waitcnt_depctr 0xfff
	v_add_nc_u32_e32 v4, -1, v3
	v_add_nc_u32_e32 v5, 1, v3
	s_delay_alu instid0(VALU_DEP_2) | instskip(NEXT) | instid1(VALU_DEP_2)
	v_fma_f32 v6, -v4, v3, v2
	v_fma_f32 v7, -v5, v3, v2
	s_delay_alu instid0(VALU_DEP_2) | instskip(NEXT) | instid1(VALU_DEP_1)
	v_cmp_ge_f32_e64 s2, 0, v6
	v_cndmask_b32_e64 v3, v3, v4, s2
	s_delay_alu instid0(VALU_DEP_3) | instskip(NEXT) | instid1(VALU_DEP_1)
	v_cmp_lt_f32_e64 s2, 0, v7
	v_cndmask_b32_e64 v3, v3, v5, s2
	s_delay_alu instid0(VALU_DEP_1) | instskip(NEXT) | instid1(VALU_DEP_1)
	v_mul_f32_e32 v4, 0x37800000, v3
	v_cndmask_b32_e32 v3, v3, v4, vcc_lo
	v_cmp_class_f32_e64 vcc_lo, v2, 0x260
	s_delay_alu instid0(VALU_DEP_2) | instskip(SKIP_1) | instid1(VALU_DEP_1)
	v_cndmask_b32_e32 v2, v3, v2, vcc_lo
	s_and_not1_b32 vcc_lo, exec_lo, s3
	v_mov_b32_e32 v38, v2
	s_cbranch_vccnz .LBB299_4
; %bb.3:
	global_load_u16 v3, v1, s[6:7] offset:64
	s_waitcnt vmcnt(0)
	v_lshlrev_b32_e32 v3, 16, v3
	s_delay_alu instid0(VALU_DEP_1)
	v_add_f32_e32 v38, v2, v3
.LBB299_4:
	global_load_u16 v3, v[12:13], off offset:128
	s_waitcnt vmcnt(0)
	v_lshlrev_b32_e32 v3, 16, v3
	s_delay_alu instid0(VALU_DEP_1) | instskip(NEXT) | instid1(VALU_DEP_1)
	v_mul_f32_e32 v4, 0x3fb8aa3b, v3
	v_cmp_gt_f32_e32 vcc_lo, 0xc2fc0000, v4
	v_cndmask_b32_e64 v4, 0, 0x42800000, vcc_lo
	v_cndmask_b32_e64 v5, 1.0, 0x1f800000, vcc_lo
	s_delay_alu instid0(VALU_DEP_2) | instskip(NEXT) | instid1(VALU_DEP_1)
	v_fmac_f32_e32 v4, 0x3fb8aa3b, v3
	v_exp_f32_e32 v4, v4
	s_waitcnt_depctr 0xfff
	v_fma_f32 v4, v4, v5, 1.0
	s_delay_alu instid0(VALU_DEP_1) | instskip(SKIP_1) | instid1(VALU_DEP_1)
	v_cmp_gt_f32_e32 vcc_lo, 0x800000, v4
	v_cndmask_b32_e64 v5, 1.0, 0x4f800000, vcc_lo
	v_mul_f32_e32 v4, v4, v5
	v_cndmask_b32_e64 v5, 0, 0x42000000, vcc_lo
	v_cmp_lt_f32_e32 vcc_lo, 0x41a00000, v3
	s_delay_alu instid0(VALU_DEP_3) | instskip(SKIP_2) | instid1(VALU_DEP_1)
	v_log_f32_e32 v4, v4
	s_waitcnt_depctr 0xfff
	v_sub_f32_e32 v4, v4, v5
	v_mul_f32_e32 v4, 0x3f317218, v4
	s_delay_alu instid0(VALU_DEP_1) | instskip(NEXT) | instid1(VALU_DEP_1)
	v_cndmask_b32_e32 v3, v4, v3, vcc_lo
	v_mul_f32_e32 v4, 0x4f800000, v3
	v_cmp_gt_f32_e32 vcc_lo, 0xf800000, v3
	s_delay_alu instid0(VALU_DEP_2) | instskip(NEXT) | instid1(VALU_DEP_1)
	v_cndmask_b32_e32 v3, v3, v4, vcc_lo
	v_sqrt_f32_e32 v4, v3
	s_waitcnt_depctr 0xfff
	v_add_nc_u32_e32 v5, -1, v4
	v_add_nc_u32_e32 v6, 1, v4
	s_delay_alu instid0(VALU_DEP_2) | instskip(NEXT) | instid1(VALU_DEP_2)
	v_fma_f32 v7, -v5, v4, v3
	v_fma_f32 v8, -v6, v4, v3
	s_delay_alu instid0(VALU_DEP_2) | instskip(NEXT) | instid1(VALU_DEP_1)
	v_cmp_ge_f32_e64 s2, 0, v7
	v_cndmask_b32_e64 v4, v4, v5, s2
	s_delay_alu instid0(VALU_DEP_3) | instskip(NEXT) | instid1(VALU_DEP_1)
	v_cmp_lt_f32_e64 s2, 0, v8
	v_cndmask_b32_e64 v4, v4, v6, s2
	s_delay_alu instid0(VALU_DEP_1) | instskip(NEXT) | instid1(VALU_DEP_1)
	v_mul_f32_e32 v5, 0x37800000, v4
	v_cndmask_b32_e32 v4, v4, v5, vcc_lo
	v_cmp_class_f32_e64 vcc_lo, v3, 0x260
	s_delay_alu instid0(VALU_DEP_2) | instskip(SKIP_1) | instid1(VALU_DEP_2)
	v_cndmask_b32_e32 v3, v4, v3, vcc_lo
	v_cmp_ne_u32_e32 vcc_lo, 1, v14
	v_mov_b32_e32 v39, v3
	s_cbranch_vccnz .LBB299_6
; %bb.5:
	global_load_u16 v4, v1, s[6:7] offset:128
	s_waitcnt vmcnt(0)
	v_lshlrev_b32_e32 v4, 16, v4
	s_delay_alu instid0(VALU_DEP_1)
	v_add_f32_e32 v39, v3, v4
.LBB299_6:
	global_load_u16 v4, v[12:13], off offset:192
	s_waitcnt vmcnt(0)
	v_lshlrev_b32_e32 v4, 16, v4
	s_delay_alu instid0(VALU_DEP_1) | instskip(NEXT) | instid1(VALU_DEP_1)
	v_mul_f32_e32 v5, 0x3fb8aa3b, v4
	v_cmp_gt_f32_e32 vcc_lo, 0xc2fc0000, v5
	v_cndmask_b32_e64 v5, 0, 0x42800000, vcc_lo
	v_cndmask_b32_e64 v6, 1.0, 0x1f800000, vcc_lo
	s_delay_alu instid0(VALU_DEP_2) | instskip(NEXT) | instid1(VALU_DEP_1)
	v_fmac_f32_e32 v5, 0x3fb8aa3b, v4
	v_exp_f32_e32 v5, v5
	s_waitcnt_depctr 0xfff
	v_fma_f32 v5, v5, v6, 1.0
	s_delay_alu instid0(VALU_DEP_1) | instskip(SKIP_1) | instid1(VALU_DEP_1)
	v_cmp_gt_f32_e32 vcc_lo, 0x800000, v5
	v_cndmask_b32_e64 v6, 1.0, 0x4f800000, vcc_lo
	v_mul_f32_e32 v5, v5, v6
	v_cndmask_b32_e64 v6, 0, 0x42000000, vcc_lo
	v_cmp_lt_f32_e32 vcc_lo, 0x41a00000, v4
	s_delay_alu instid0(VALU_DEP_3) | instskip(SKIP_2) | instid1(VALU_DEP_1)
	v_log_f32_e32 v5, v5
	s_waitcnt_depctr 0xfff
	v_sub_f32_e32 v5, v5, v6
	v_mul_f32_e32 v5, 0x3f317218, v5
	s_delay_alu instid0(VALU_DEP_1) | instskip(NEXT) | instid1(VALU_DEP_1)
	v_cndmask_b32_e32 v4, v5, v4, vcc_lo
	v_mul_f32_e32 v5, 0x4f800000, v4
	v_cmp_gt_f32_e32 vcc_lo, 0xf800000, v4
	s_delay_alu instid0(VALU_DEP_2) | instskip(NEXT) | instid1(VALU_DEP_1)
	v_cndmask_b32_e32 v4, v4, v5, vcc_lo
	v_sqrt_f32_e32 v5, v4
	s_waitcnt_depctr 0xfff
	v_add_nc_u32_e32 v6, -1, v5
	v_add_nc_u32_e32 v7, 1, v5
	s_delay_alu instid0(VALU_DEP_2) | instskip(NEXT) | instid1(VALU_DEP_2)
	v_fma_f32 v8, -v6, v5, v4
	v_fma_f32 v9, -v7, v5, v4
	s_delay_alu instid0(VALU_DEP_2) | instskip(NEXT) | instid1(VALU_DEP_1)
	v_cmp_ge_f32_e64 s2, 0, v8
	v_cndmask_b32_e64 v5, v5, v6, s2
	s_delay_alu instid0(VALU_DEP_3) | instskip(NEXT) | instid1(VALU_DEP_1)
	v_cmp_lt_f32_e64 s2, 0, v9
	v_cndmask_b32_e64 v5, v5, v7, s2
	s_delay_alu instid0(VALU_DEP_1) | instskip(NEXT) | instid1(VALU_DEP_1)
	v_mul_f32_e32 v6, 0x37800000, v5
	v_cndmask_b32_e32 v5, v5, v6, vcc_lo
	v_cmp_class_f32_e64 vcc_lo, v4, 0x260
	s_delay_alu instid0(VALU_DEP_2) | instskip(SKIP_1) | instid1(VALU_DEP_2)
	v_cndmask_b32_e32 v4, v5, v4, vcc_lo
	v_cmp_ne_u32_e32 vcc_lo, 1, v14
	;; [unrolled: 59-line block ×9, first 2 shown]
	v_mov_b32_e32 v47, v11
	s_cbranch_vccnz .LBB299_22
; %bb.21:
	global_load_u16 v15, v1, s[6:7] offset:640
	s_waitcnt vmcnt(0)
	v_lshlrev_b32_e32 v15, 16, v15
	s_delay_alu instid0(VALU_DEP_1)
	v_add_f32_e32 v47, v11, v15
.LBB299_22:
	global_load_u16 v12, v[12:13], off offset:704
	s_waitcnt vmcnt(0)
	v_lshlrev_b32_e32 v12, 16, v12
	s_delay_alu instid0(VALU_DEP_1) | instskip(NEXT) | instid1(VALU_DEP_1)
	v_mul_f32_e32 v13, 0x3fb8aa3b, v12
	v_cmp_gt_f32_e32 vcc_lo, 0xc2fc0000, v13
	v_cndmask_b32_e64 v13, 0, 0x42800000, vcc_lo
	v_cndmask_b32_e64 v15, 1.0, 0x1f800000, vcc_lo
	s_delay_alu instid0(VALU_DEP_2) | instskip(NEXT) | instid1(VALU_DEP_1)
	v_fmac_f32_e32 v13, 0x3fb8aa3b, v12
	v_exp_f32_e32 v13, v13
	s_waitcnt_depctr 0xfff
	v_fma_f32 v13, v13, v15, 1.0
	s_delay_alu instid0(VALU_DEP_1) | instskip(SKIP_1) | instid1(VALU_DEP_1)
	v_cmp_gt_f32_e32 vcc_lo, 0x800000, v13
	v_cndmask_b32_e64 v15, 1.0, 0x4f800000, vcc_lo
	v_mul_f32_e32 v13, v13, v15
	v_cndmask_b32_e64 v15, 0, 0x42000000, vcc_lo
	v_cmp_lt_f32_e32 vcc_lo, 0x41a00000, v12
	s_delay_alu instid0(VALU_DEP_3) | instskip(SKIP_2) | instid1(VALU_DEP_1)
	v_log_f32_e32 v13, v13
	s_waitcnt_depctr 0xfff
	v_sub_f32_e32 v13, v13, v15
	v_mul_f32_e32 v13, 0x3f317218, v13
	s_delay_alu instid0(VALU_DEP_1) | instskip(NEXT) | instid1(VALU_DEP_1)
	v_cndmask_b32_e32 v12, v13, v12, vcc_lo
	v_mul_f32_e32 v13, 0x4f800000, v12
	v_cmp_gt_f32_e32 vcc_lo, 0xf800000, v12
	s_delay_alu instid0(VALU_DEP_2) | instskip(NEXT) | instid1(VALU_DEP_1)
	v_cndmask_b32_e32 v12, v12, v13, vcc_lo
	v_sqrt_f32_e32 v13, v12
	s_waitcnt_depctr 0xfff
	v_add_nc_u32_e32 v15, -1, v13
	v_add_nc_u32_e32 v16, 1, v13
	s_delay_alu instid0(VALU_DEP_2) | instskip(NEXT) | instid1(VALU_DEP_2)
	v_fma_f32 v17, -v15, v13, v12
	v_fma_f32 v18, -v16, v13, v12
	s_delay_alu instid0(VALU_DEP_2) | instskip(NEXT) | instid1(VALU_DEP_1)
	v_cmp_ge_f32_e64 s2, 0, v17
	v_cndmask_b32_e64 v13, v13, v15, s2
	s_delay_alu instid0(VALU_DEP_3) | instskip(NEXT) | instid1(VALU_DEP_1)
	v_cmp_lt_f32_e64 s2, 0, v18
	v_cndmask_b32_e64 v13, v13, v16, s2
	s_delay_alu instid0(VALU_DEP_1) | instskip(NEXT) | instid1(VALU_DEP_1)
	v_mul_f32_e32 v15, 0x37800000, v13
	v_cndmask_b32_e32 v13, v13, v15, vcc_lo
	v_cmp_class_f32_e64 vcc_lo, v12, 0x260
	s_delay_alu instid0(VALU_DEP_2)
	v_cndmask_b32_e32 v12, v13, v12, vcc_lo
	v_cmp_ne_u32_e32 vcc_lo, 1, v14
	s_cbranch_vccnz .LBB299_24
; %bb.23:
	global_load_u16 v1, v1, s[6:7] offset:704
	s_waitcnt vmcnt(0)
	v_lshlrev_b32_e32 v1, 16, v1
	s_delay_alu instid0(VALU_DEP_1)
	v_add_f32_e32 v48, v12, v1
	s_branch .LBB299_25
.LBB299_24:
	s_delay_alu instid0(VALU_DEP_2)
	v_mov_b32_e32 v48, v12
.LBB299_25:
	v_dual_mov_b32 v13, v37 :: v_dual_add_nc_u32 v26, 32, v0
	v_dual_mov_b32 v14, v38 :: v_dual_add_nc_u32 v27, 64, v0
	v_dual_mov_b32 v15, v39 :: v_dual_add_nc_u32 v28, 0x60, v0
	v_dual_mov_b32 v16, v40 :: v_dual_add_nc_u32 v29, 0x80, v0
	v_dual_mov_b32 v17, v41 :: v_dual_add_nc_u32 v30, 0xa0, v0
	v_dual_mov_b32 v18, v42 :: v_dual_add_nc_u32 v31, 0xc0, v0
	v_dual_mov_b32 v19, v43 :: v_dual_add_nc_u32 v32, 0xe0, v0
	v_dual_mov_b32 v20, v44 :: v_dual_add_nc_u32 v33, 0x100, v0
	v_dual_mov_b32 v21, v45 :: v_dual_add_nc_u32 v34, 0x120, v0
	v_dual_mov_b32 v22, v46 :: v_dual_add_nc_u32 v35, 0x140, v0
	v_dual_mov_b32 v23, v47 :: v_dual_add_nc_u32 v36, 0x160, v0
	v_dual_mov_b32 v24, v48 :: v_dual_mov_b32 v1, v49
	v_mov_b32_e32 v25, v0
	s_mov_b32 s2, exec_lo
	v_cmpx_lt_f32_e32 v37, v38
	s_xor_b32 s2, exec_lo, s2
; %bb.26:
	v_dual_mov_b32 v13, v38 :: v_dual_mov_b32 v14, v37
	v_dual_mov_b32 v15, v39 :: v_dual_mov_b32 v16, v40
	v_dual_mov_b32 v17, v41 :: v_dual_mov_b32 v18, v42
	v_dual_mov_b32 v19, v43 :: v_dual_mov_b32 v20, v44
	v_dual_mov_b32 v21, v45 :: v_dual_mov_b32 v22, v46
	v_dual_mov_b32 v23, v47 :: v_dual_mov_b32 v24, v48
	v_dual_mov_b32 v38, v37 :: v_dual_mov_b32 v1, v2
	v_dual_mov_b32 v2, v49 :: v_dual_mov_b32 v25, v26
	v_mov_b32_e32 v26, v0
; %bb.27:
	s_or_b32 exec_lo, exec_lo, s2
	v_dual_mov_b32 v37, v15 :: v_dual_mov_b32 v86, v12
	v_dual_mov_b32 v75, v1 :: v_dual_mov_b32 v146, v12
	v_dual_mov_b32 v135, v1 :: v_dual_mov_b32 v122, v12
	v_dual_mov_b32 v111, v1 :: v_dual_mov_b32 v62, v12
	v_dual_mov_b32 v51, v1 :: v_dual_mov_b32 v134, v12
	v_dual_mov_b32 v123, v1 :: v_dual_mov_b32 v74, v36
	v_dual_mov_b32 v63, v25 :: v_dual_mov_b32 v98, v36
	v_dual_mov_b32 v87, v25 :: v_dual_mov_b32 v50, v36
	v_dual_mov_b32 v39, v25 :: v_dual_mov_b32 v110, v36
	v_dual_mov_b32 v99, v25 :: v_dual_mov_b32 v158, v36
	v_dual_mov_b32 v147, v25 :: v_dual_mov_b32 v170, v36
	v_dual_mov_b32 v85, v11 :: v_dual_mov_b32 v84, v10
	v_dual_mov_b32 v83, v9 :: v_dual_mov_b32 v82, v8
	v_dual_mov_b32 v81, v7 :: v_dual_mov_b32 v80, v6
	v_dual_mov_b32 v79, v5 :: v_dual_mov_b32 v78, v4
	v_dual_mov_b32 v77, v3 :: v_dual_mov_b32 v76, v2
	v_dual_mov_b32 v145, v11 :: v_dual_mov_b32 v144, v10
	v_dual_mov_b32 v143, v9 :: v_dual_mov_b32 v142, v8
	v_dual_mov_b32 v141, v7 :: v_dual_mov_b32 v140, v6
	v_dual_mov_b32 v139, v5 :: v_dual_mov_b32 v138, v4
	v_dual_mov_b32 v137, v3 :: v_dual_mov_b32 v136, v2
	v_dual_mov_b32 v121, v11 :: v_dual_mov_b32 v120, v10
	v_dual_mov_b32 v119, v9 :: v_dual_mov_b32 v118, v8
	v_dual_mov_b32 v117, v7 :: v_dual_mov_b32 v116, v6
	v_dual_mov_b32 v115, v5 :: v_dual_mov_b32 v114, v4
	v_dual_mov_b32 v113, v3 :: v_dual_mov_b32 v112, v2
	v_dual_mov_b32 v61, v11 :: v_dual_mov_b32 v60, v10
	v_dual_mov_b32 v59, v9 :: v_dual_mov_b32 v58, v8
	v_dual_mov_b32 v57, v7 :: v_dual_mov_b32 v56, v6
	v_dual_mov_b32 v55, v5 :: v_dual_mov_b32 v54, v4
	v_dual_mov_b32 v53, v3 :: v_dual_mov_b32 v52, v2
	v_dual_mov_b32 v133, v11 :: v_dual_mov_b32 v132, v10
	v_dual_mov_b32 v131, v9 :: v_dual_mov_b32 v130, v8
	v_dual_mov_b32 v129, v7 :: v_dual_mov_b32 v128, v6
	v_dual_mov_b32 v127, v5 :: v_dual_mov_b32 v126, v4
	v_dual_mov_b32 v125, v3 :: v_dual_mov_b32 v124, v2
	s_clause 0x8
	scratch_store_b128 off, v[1:4], off
	scratch_store_b128 off, v[5:8], off offset:16
	scratch_store_b128 off, v[9:12], off offset:32
	;; [unrolled: 1-line block ×8, first 2 shown]
	v_dual_mov_b32 v73, v35 :: v_dual_mov_b32 v72, v34
	v_dual_mov_b32 v71, v33 :: v_dual_mov_b32 v70, v32
	;; [unrolled: 1-line block ×30, first 2 shown]
	v_mov_b32_e32 v159, v25
	s_clause 0x2
	scratch_store_b128 off, v[25:28], off offset:144
	scratch_store_b128 off, v[29:32], off offset:160
	;; [unrolled: 1-line block ×3, first 2 shown]
	s_mov_b32 s2, exec_lo
	v_dual_mov_b32 v182, v36 :: v_dual_mov_b32 v181, v35
	v_dual_mov_b32 v180, v34 :: v_dual_mov_b32 v179, v33
	;; [unrolled: 1-line block ×6, first 2 shown]
	v_cmpx_lt_f32_e32 v38, v15
	s_cbranch_execz .LBB299_29
; %bb.28:
	v_dual_mov_b32 v37, v38 :: v_dual_mov_b32 v182, v36
	v_dual_mov_b32 v173, v27 :: v_dual_mov_b32 v172, v26
	;; [unrolled: 1-line block ×14, first 2 shown]
	v_mov_b32_e32 v125, v2
	v_dual_mov_b32 v159, v171 :: v_dual_mov_b32 v162, v174
	v_dual_mov_b32 v161, v173 :: v_dual_mov_b32 v164, v176
	;; [unrolled: 1-line block ×6, first 2 shown]
	v_mov_b32_e32 v162, v28
	s_clause 0x2
	scratch_store_b128 off, v[123:126], off offset:96
	scratch_store_b128 off, v[127:130], off offset:112
	scratch_store_b128 off, v[131:134], off offset:128
	v_dual_mov_b32 v14, v15 :: v_dual_mov_b32 v15, v38
	v_dual_mov_b32 v43, v164 :: v_dual_mov_b32 v44, v165
	;; [unrolled: 1-line block ×7, first 2 shown]
	s_clause 0x2
	scratch_store_b128 off, v[38:41], off offset:144
	scratch_store_b128 off, v[42:45], off offset:160
	;; [unrolled: 1-line block ×3, first 2 shown]
	v_mov_b32_e32 v163, v29
	v_mov_b32_e32 v27, v26
	v_dual_mov_b32 v43, v128 :: v_dual_mov_b32 v44, v129
	v_dual_mov_b32 v47, v132 :: v_dual_mov_b32 v38, v123
	;; [unrolled: 1-line block ×5, first 2 shown]
	v_mov_b32_e32 v41, v126
	v_dual_mov_b32 v147, v159 :: v_dual_mov_b32 v154, v166
	v_mov_b32_e32 v148, v160
	v_mov_b32_e32 v150, v162
	s_clause 0x2
	scratch_store_b128 off, v[38:41], off offset:48
	scratch_store_b128 off, v[42:45], off offset:64
	scratch_store_b128 off, v[46:49], off offset:80
	v_dual_mov_b32 v127, v5 :: v_dual_mov_b32 v152, v164
	v_dual_mov_b32 v153, v165 :: v_dual_mov_b32 v152, v30
	;; [unrolled: 1-line block ×7, first 2 shown]
	v_mov_b32_e32 v41, v126
	v_dual_mov_b32 v128, v6 :: v_dual_mov_b32 v99, v147
	v_dual_mov_b32 v105, v153 :: v_dual_mov_b32 v106, v154
	;; [unrolled: 1-line block ×3, first 2 shown]
	v_mov_b32_e32 v105, v31
	v_dual_mov_b32 v103, v151 :: v_dual_mov_b32 v104, v152
	v_dual_mov_b32 v107, v155 :: v_dual_mov_b32 v108, v156
	;; [unrolled: 1-line block ×6, first 2 shown]
	v_mov_b32_e32 v60, v132
	v_dual_mov_b32 v52, v124 :: v_dual_mov_b32 v55, v127
	v_dual_mov_b32 v58, v130 :: v_dual_mov_b32 v61, v133
	v_mov_b32_e32 v57, v7
	v_dual_mov_b32 v53, v125 :: v_dual_mov_b32 v56, v128
	s_clause 0x2
	scratch_store_b128 off, v[38:41], off
	scratch_store_b128 off, v[42:45], off offset:16
	scratch_store_b128 off, v[46:49], off offset:32
	v_dual_mov_b32 v39, v99 :: v_dual_mov_b32 v44, v104
	v_dual_mov_b32 v45, v105 :: v_dual_mov_b32 v50, v110
	;; [unrolled: 1-line block ×6, first 2 shown]
	v_mov_b32_e32 v122, v62
	v_dual_mov_b32 v46, v32 :: v_dual_mov_b32 v111, v51
	v_dual_mov_b32 v121, v61 :: v_dual_mov_b32 v120, v60
	;; [unrolled: 1-line block ×6, first 2 shown]
	v_mov_b32_e32 v118, v8
	v_dual_mov_b32 v98, v50 :: v_dual_mov_b32 v97, v49
	v_dual_mov_b32 v96, v48 :: v_dual_mov_b32 v95, v47
	;; [unrolled: 1-line block ×7, first 2 shown]
	v_mov_b32_e32 v135, v111
	v_dual_mov_b32 v3, v2 :: v_dual_mov_b32 v144, v120
	v_dual_mov_b32 v145, v121 :: v_dual_mov_b32 v142, v118
	;; [unrolled: 1-line block ×5, first 2 shown]
	v_mov_b32_e32 v137, v113
	v_mov_b32_e32 v143, v9
	v_dual_mov_b32 v63, v87 :: v_dual_mov_b32 v70, v94
	v_mov_b32_e32 v64, v88
	v_mov_b32_e32 v66, v90
	v_dual_mov_b32 v68, v92 :: v_dual_mov_b32 v75, v135
	v_dual_mov_b32 v80, v140 :: v_dual_mov_b32 v65, v89
	;; [unrolled: 1-line block ×13, first 2 shown]
.LBB299_29:
	s_or_b32 exec_lo, exec_lo, s2
	v_mov_b32_e32 v1, v16
	s_mov_b32 s2, exec_lo
	v_cmpx_lt_f32_e32 v37, v16
	s_cbranch_execz .LBB299_31
; %bb.30:
	s_clause 0x2
	scratch_load_b128 v[38:41], off, off offset:96
	scratch_load_b128 v[42:45], off, off offset:112
	;; [unrolled: 1-line block ×3, first 2 shown]
	v_mov_b32_e32 v173, v28
	v_dual_mov_b32 v15, v16 :: v_dual_mov_b32 v16, v37
	v_dual_mov_b32 v1, v37 :: v_dual_mov_b32 v28, v27
	s_waitcnt vmcnt(2)
	v_dual_mov_b32 v124, v39 :: v_dual_mov_b32 v123, v38
	s_waitcnt vmcnt(0)
	v_dual_mov_b32 v134, v49 :: v_dual_mov_b32 v125, v4
	v_dual_mov_b32 v159, v171 :: v_dual_mov_b32 v160, v172
	v_mov_b32_e32 v162, v174
	v_dual_mov_b32 v38, v123 :: v_dual_mov_b32 v39, v124
	v_dual_mov_b32 v161, v173 :: v_dual_mov_b32 v164, v176
	;; [unrolled: 1-line block ×10, first 2 shown]
	v_mov_b32_e32 v126, v41
	s_clause 0x2
	scratch_store_b128 off, v[38:41], off offset:96
	scratch_store_b128 off, v[42:45], off offset:112
	;; [unrolled: 1-line block ×3, first 2 shown]
	v_dual_mov_b32 v43, v164 :: v_dual_mov_b32 v38, v159
	v_dual_mov_b32 v41, v162 :: v_dual_mov_b32 v126, v3
	;; [unrolled: 1-line block ×7, first 2 shown]
	s_clause 0x2
	scratch_store_b128 off, v[38:41], off offset:144
	scratch_store_b128 off, v[42:45], off offset:160
	;; [unrolled: 1-line block ×3, first 2 shown]
	v_dual_mov_b32 v43, v128 :: v_dual_mov_b32 v46, v131
	v_dual_mov_b32 v49, v134 :: v_dual_mov_b32 v38, v123
	;; [unrolled: 1-line block ×5, first 2 shown]
	v_mov_b32_e32 v41, v126
	v_dual_mov_b32 v147, v159 :: v_dual_mov_b32 v152, v164
	v_dual_mov_b32 v148, v160 :: v_dual_mov_b32 v127, v5
	;; [unrolled: 1-line block ×7, first 2 shown]
	s_clause 0x2
	scratch_store_b128 off, v[38:41], off offset:48
	scratch_store_b128 off, v[42:45], off offset:64
	;; [unrolled: 1-line block ×3, first 2 shown]
	v_dual_mov_b32 v38, v123 :: v_dual_mov_b32 v39, v124
	v_dual_mov_b32 v40, v125 :: v_dual_mov_b32 v41, v126
	v_mov_b32_e32 v42, v127
	v_dual_mov_b32 v128, v6 :: v_dual_mov_b32 v99, v147
	v_dual_mov_b32 v106, v154 :: v_dual_mov_b32 v107, v155
	;; [unrolled: 1-line block ×3, first 2 shown]
	v_mov_b32_e32 v52, v124
	v_dual_mov_b32 v100, v148 :: v_dual_mov_b32 v101, v149
	v_dual_mov_b32 v102, v150 :: v_dual_mov_b32 v103, v151
	;; [unrolled: 1-line block ×6, first 2 shown]
	v_mov_b32_e32 v105, v31
	v_dual_mov_b32 v57, v129 :: v_dual_mov_b32 v58, v130
	v_dual_mov_b32 v53, v125 :: v_dual_mov_b32 v54, v126
	;; [unrolled: 1-line block ×3, first 2 shown]
	v_mov_b32_e32 v57, v7
	s_clause 0x2
	scratch_store_b128 off, v[38:41], off
	scratch_store_b128 off, v[42:45], off offset:16
	scratch_store_b128 off, v[46:49], off offset:32
	v_dual_mov_b32 v39, v99 :: v_dual_mov_b32 v42, v102
	v_dual_mov_b32 v47, v107 :: v_dual_mov_b32 v50, v110
	;; [unrolled: 1-line block ×9, first 2 shown]
	v_mov_b32_e32 v46, v32
	v_dual_mov_b32 v118, v58 :: v_dual_mov_b32 v117, v57
	v_dual_mov_b32 v116, v56 :: v_dual_mov_b32 v115, v55
	;; [unrolled: 1-line block ×3, first 2 shown]
	v_mov_b32_e32 v118, v8
	v_dual_mov_b32 v98, v50 :: v_dual_mov_b32 v95, v47
	v_dual_mov_b32 v97, v49 :: v_dual_mov_b32 v90, v42
	v_dual_mov_b32 v87, v39 :: v_dual_mov_b32 v146, v122
	v_dual_mov_b32 v145, v121 :: v_dual_mov_b32 v88, v40
	v_dual_mov_b32 v95, v33 :: v_dual_mov_b32 v144, v120
	v_dual_mov_b32 v143, v119 :: v_dual_mov_b32 v136, v112
	v_dual_mov_b32 v135, v111 :: v_dual_mov_b32 v96, v48
	v_dual_mov_b32 v93, v45 :: v_dual_mov_b32 v94, v46
	v_dual_mov_b32 v91, v43 :: v_dual_mov_b32 v92, v44
	v_mov_b32_e32 v89, v41
	v_dual_mov_b32 v143, v9 :: v_dual_mov_b32 v142, v118
	v_dual_mov_b32 v141, v117 :: v_dual_mov_b32 v140, v116
	v_dual_mov_b32 v139, v115 :: v_dual_mov_b32 v138, v114
	v_mov_b32_e32 v137, v113
	v_dual_mov_b32 v63, v87 :: v_dual_mov_b32 v66, v90
	v_dual_mov_b32 v64, v88 :: v_dual_mov_b32 v75, v135
	;; [unrolled: 1-line block ×13, first 2 shown]
	v_mov_b32_e32 v82, v142
	v_dual_mov_b32 v84, v10 :: v_dual_mov_b32 v85, v11
	v_mov_b32_e32 v86, v12
.LBB299_31:
	s_or_b32 exec_lo, exec_lo, s2
	v_mov_b32_e32 v2, v17
	s_mov_b32 s2, exec_lo
	v_cmpx_lt_f32_e32 v1, v17
	s_cbranch_execz .LBB299_33
; %bb.32:
	s_clause 0x2
	scratch_load_b128 v[37:40], off, off offset:96
	scratch_load_b128 v[41:44], off, off offset:112
	;; [unrolled: 1-line block ×3, first 2 shown]
	v_mov_b32_e32 v174, v29
	v_dual_mov_b32 v2, v1 :: v_dual_mov_b32 v29, v28
	v_mov_b32_e32 v16, v17
	s_waitcnt vmcnt(0)
	v_dual_mov_b32 v74, v48 :: v_dual_mov_b32 v71, v45
	v_dual_mov_b32 v68, v42 :: v_dual_mov_b32 v65, v39
	;; [unrolled: 1-line block ×18, first 2 shown]
	v_mov_b32_e32 v125, v65
	v_mov_b32_e32 v127, v4
	v_dual_mov_b32 v147, v159 :: v_dual_mov_b32 v148, v160
	v_dual_mov_b32 v153, v165 :: v_dual_mov_b32 v156, v168
	;; [unrolled: 1-line block ×3, first 2 shown]
	v_mov_b32_e32 v157, v169
	v_dual_mov_b32 v151, v163 :: v_dual_mov_b32 v154, v166
	v_dual_mov_b32 v149, v161 :: v_dual_mov_b32 v152, v164
	;; [unrolled: 1-line block ×4, first 2 shown]
	v_mov_b32_e32 v38, v124
	v_dual_mov_b32 v152, v30 :: v_dual_mov_b32 v45, v131
	v_dual_mov_b32 v46, v132 :: v_dual_mov_b32 v47, v133
	;; [unrolled: 1-line block ×13, first 2 shown]
	s_clause 0x2
	scratch_store_b128 off, v[37:40], off
	scratch_store_b128 off, v[41:44], off offset:16
	scratch_store_b128 off, v[45:48], off offset:32
	v_dual_mov_b32 v57, v129 :: v_dual_mov_b32 v60, v132
	v_dual_mov_b32 v55, v127 :: v_dual_mov_b32 v58, v130
	v_mov_b32_e32 v61, v133
	v_mov_b32_e32 v57, v7
	v_dual_mov_b32 v39, v99 :: v_dual_mov_b32 v44, v104
	v_dual_mov_b32 v17, v1 :: v_dual_mov_b32 v52, v124
	;; [unrolled: 1-line block ×8, first 2 shown]
	v_mov_b32_e32 v122, v62
	v_dual_mov_b32 v46, v32 :: v_dual_mov_b32 v119, v59
	v_dual_mov_b32 v118, v58 :: v_dual_mov_b32 v111, v51
	;; [unrolled: 1-line block ×6, first 2 shown]
	v_mov_b32_e32 v112, v52
	v_dual_mov_b32 v98, v50 :: v_dual_mov_b32 v97, v49
	v_dual_mov_b32 v96, v48 :: v_dual_mov_b32 v95, v47
	;; [unrolled: 1-line block ×8, first 2 shown]
	v_mov_b32_e32 v135, v111
	v_dual_mov_b32 v145, v121 :: v_dual_mov_b32 v144, v120
	v_dual_mov_b32 v141, v117 :: v_dual_mov_b32 v140, v116
	v_mov_b32_e32 v143, v9
	v_dual_mov_b32 v139, v115 :: v_dual_mov_b32 v138, v114
	v_dual_mov_b32 v137, v113 :: v_dual_mov_b32 v136, v112
	s_clause 0x5
	scratch_store_b128 off, v[63:66], off offset:48
	scratch_store_b128 off, v[67:70], off offset:64
	;; [unrolled: 1-line block ×6, first 2 shown]
	v_dual_mov_b32 v63, v87 :: v_dual_mov_b32 v68, v92
	v_mov_b32_e32 v64, v88
	v_dual_mov_b32 v66, v90 :: v_dual_mov_b32 v75, v135
	v_dual_mov_b32 v78, v138 :: v_dual_mov_b32 v67, v91
	v_dual_mov_b32 v72, v96 :: v_dual_mov_b32 v69, v93
	v_dual_mov_b32 v74, v98 :: v_dual_mov_b32 v73, v97
	v_dual_mov_b32 v74, v36 :: v_dual_mov_b32 v81, v141
	v_dual_mov_b32 v84, v144 :: v_dual_mov_b32 v83, v143
	v_dual_mov_b32 v86, v146 :: v_dual_mov_b32 v85, v145
	v_dual_mov_b32 v84, v10 :: v_dual_mov_b32 v5, v4
	v_dual_mov_b32 v65, v89 :: v_dual_mov_b32 v70, v94
	v_dual_mov_b32 v71, v95 :: v_dual_mov_b32 v72, v34
	v_dual_mov_b32 v73, v35 :: v_dual_mov_b32 v76, v136
	v_dual_mov_b32 v77, v137 :: v_dual_mov_b32 v80, v140
	v_dual_mov_b32 v79, v139 :: v_dual_mov_b32 v82, v142
	v_dual_mov_b32 v85, v11 :: v_dual_mov_b32 v86, v12
.LBB299_33:
	s_or_b32 exec_lo, exec_lo, s2
	v_mov_b32_e32 v1, v18
	s_mov_b32 s2, exec_lo
	v_cmpx_lt_f32_e32 v2, v18
	s_cbranch_execz .LBB299_35
; %bb.34:
	s_clause 0x2
	scratch_load_b128 v[37:40], off, off offset:144
	scratch_load_b128 v[41:44], off, off offset:160
	;; [unrolled: 1-line block ×3, first 2 shown]
	s_waitcnt vmcnt(0)
	v_dual_mov_b32 v17, v18 :: v_dual_mov_b32 v170, v48
	v_dual_mov_b32 v169, v47 :: v_dual_mov_b32 v162, v40
	;; [unrolled: 1-line block ×6, first 2 shown]
	s_clause 0x2
	scratch_load_b128 v[37:40], off, off offset:48
	scratch_load_b128 v[41:44], off, off offset:64
	;; [unrolled: 1-line block ×3, first 2 shown]
	v_dual_mov_b32 v163, v30 :: v_dual_mov_b32 v30, v29
	s_waitcnt vmcnt(0)
	v_mov_b32_e32 v74, v48
	v_dual_mov_b32 v66, v40 :: v_dual_mov_b32 v63, v37
	v_dual_mov_b32 v73, v47 :: v_dual_mov_b32 v64, v38
	;; [unrolled: 1-line block ×5, first 2 shown]
	v_mov_b32_e32 v69, v43
	v_dual_mov_b32 v67, v6 :: v_dual_mov_b32 v148, v160
	v_dual_mov_b32 v134, v74 :: v_dual_mov_b32 v133, v73
	v_dual_mov_b32 v124, v64 :: v_dual_mov_b32 v123, v63
	v_dual_mov_b32 v155, v167 :: v_dual_mov_b32 v156, v168
	v_dual_mov_b32 v157, v169 :: v_dual_mov_b32 v158, v170
	v_dual_mov_b32 v151, v163 :: v_dual_mov_b32 v152, v164
	v_dual_mov_b32 v128, v68 :: v_dual_mov_b32 v127, v67
	v_dual_mov_b32 v149, v161 :: v_dual_mov_b32 v150, v162
	v_dual_mov_b32 v153, v165 :: v_dual_mov_b32 v154, v166
	v_dual_mov_b32 v132, v72 :: v_dual_mov_b32 v131, v71
	v_dual_mov_b32 v130, v70 :: v_dual_mov_b32 v129, v69
	v_dual_mov_b32 v126, v66 :: v_dual_mov_b32 v125, v65
	v_mov_b32_e32 v128, v5
	v_dual_mov_b32 v152, v29 :: v_dual_mov_b32 v51, v123
	v_dual_mov_b32 v99, v147 :: v_dual_mov_b32 v108, v156
	;; [unrolled: 1-line block ×13, first 2 shown]
	v_mov_b32_e32 v57, v7
	v_dual_mov_b32 v39, v99 :: v_dual_mov_b32 v40, v100
	v_dual_mov_b32 v49, v109 :: v_dual_mov_b32 v50, v110
	s_delay_alu instid0(VALU_DEP_4)
	v_dual_mov_b32 v122, v62 :: v_dual_mov_b32 v121, v61
	v_dual_mov_b32 v43, v103 :: v_dual_mov_b32 v44, v104
	;; [unrolled: 1-line block ×10, first 2 shown]
	v_mov_b32_e32 v46, v32
	v_mov_b32_e32 v118, v8
	v_dual_mov_b32 v98, v50 :: v_dual_mov_b32 v93, v45
	v_dual_mov_b32 v97, v49 :: v_dual_mov_b32 v146, v122
	;; [unrolled: 1-line block ×13, first 2 shown]
	v_mov_b32_e32 v137, v113
	s_clause 0x2
	scratch_store_b128 off, v[63:66], off
	scratch_store_b128 off, v[67:70], off offset:16
	scratch_store_b128 off, v[71:74], off offset:32
	v_dual_mov_b32 v63, v87 :: v_dual_mov_b32 v66, v90
	v_dual_mov_b32 v75, v135 :: v_dual_mov_b32 v78, v138
	;; [unrolled: 1-line block ×15, first 2 shown]
	v_mov_b32_e32 v86, v12
	v_mov_b32_e32 v6, v5
.LBB299_35:
	s_or_b32 exec_lo, exec_lo, s2
	v_mov_b32_e32 v2, v19
	s_mov_b32 s2, exec_lo
	v_cmpx_lt_f32_e32 v1, v19
	s_cbranch_execz .LBB299_37
; %bb.36:
	s_clause 0x2
	scratch_load_b128 v[37:40], off, off
	scratch_load_b128 v[41:44], off, off offset:16
	scratch_load_b128 v[45:48], off, off offset:32
	v_mov_b32_e32 v164, v31
	v_dual_mov_b32 v2, v1 :: v_dual_mov_b32 v31, v30
	v_mov_b32_e32 v18, v19
	s_waitcnt vmcnt(0)
	v_dual_mov_b32 v134, v48 :: v_dual_mov_b32 v133, v47
	v_dual_mov_b32 v130, v44 :: v_dual_mov_b32 v127, v41
	;; [unrolled: 1-line block ×17, first 2 shown]
	v_mov_b32_e32 v61, v133
	v_mov_b32_e32 v57, v6
	;; [unrolled: 1-line block ×3, first 2 shown]
	v_dual_mov_b32 v62, v134 :: v_dual_mov_b32 v39, v99
	v_dual_mov_b32 v147, v159 :: v_dual_mov_b32 v148, v160
	s_delay_alu instid0(VALU_DEP_2)
	v_dual_mov_b32 v149, v161 :: v_dual_mov_b32 v122, v62
	v_dual_mov_b32 v120, v60 :: v_dual_mov_b32 v49, v109
	v_mov_b32_e32 v50, v110
	v_dual_mov_b32 v40, v100 :: v_dual_mov_b32 v119, v59
	v_dual_mov_b32 v118, v58 :: v_dual_mov_b32 v115, v55
	;; [unrolled: 1-line block ×6, first 2 shown]
	v_mov_b32_e32 v121, v61
	v_dual_mov_b32 v117, v57 :: v_dual_mov_b32 v116, v56
	v_dual_mov_b32 v113, v53 :: v_dual_mov_b32 v112, v52
	;; [unrolled: 1-line block ×3, first 2 shown]
	v_mov_b32_e32 v46, v32
	v_mov_b32_e32 v118, v8
	v_dual_mov_b32 v98, v50 :: v_dual_mov_b32 v95, v47
	v_dual_mov_b32 v97, v49 :: v_dual_mov_b32 v146, v122
	;; [unrolled: 1-line block ×4, first 2 shown]
	v_mov_b32_e32 v87, v39
	v_dual_mov_b32 v143, v9 :: v_dual_mov_b32 v96, v48
	v_dual_mov_b32 v93, v45 :: v_dual_mov_b32 v88, v40
	;; [unrolled: 1-line block ×8, first 2 shown]
	v_mov_b32_e32 v137, v113
	v_dual_mov_b32 v75, v135 :: v_dual_mov_b32 v78, v138
	v_dual_mov_b32 v63, v87 :: v_dual_mov_b32 v66, v90
	;; [unrolled: 1-line block ×14, first 2 shown]
	v_mov_b32_e32 v74, v36
	v_dual_mov_b32 v84, v10 :: v_dual_mov_b32 v85, v11
	v_dual_mov_b32 v150, v162 :: v_dual_mov_b32 v151, v163
	;; [unrolled: 1-line block ×5, first 2 shown]
	v_mov_b32_e32 v158, v170
	v_mov_b32_e32 v7, v6
.LBB299_37:
	s_or_b32 exec_lo, exec_lo, s2
	v_mov_b32_e32 v1, v20
	s_mov_b32 s2, exec_lo
	v_cmpx_lt_f32_e32 v2, v20
	s_cbranch_execz .LBB299_39
; %bb.38:
	v_mov_b32_e32 v129, v8
	v_mov_b32_e32 v153, v32
	v_dual_mov_b32 v111, v123 :: v_dual_mov_b32 v114, v126
	v_dual_mov_b32 v39, v147 :: v_dual_mov_b32 v40, v148
	v_dual_mov_b32 v47, v155 :: v_dual_mov_b32 v50, v158
	v_dual_mov_b32 v42, v150 :: v_dual_mov_b32 v49, v157
	v_dual_mov_b32 v112, v124 :: v_dual_mov_b32 v117, v129
	v_dual_mov_b32 v122, v134 :: v_dual_mov_b32 v43, v151
	v_dual_mov_b32 v46, v154 :: v_dual_mov_b32 v113, v125
	v_dual_mov_b32 v118, v130 :: v_dual_mov_b32 v41, v149
	v_dual_mov_b32 v44, v152 :: v_dual_mov_b32 v45, v153
	v_dual_mov_b32 v48, v156 :: v_dual_mov_b32 v115, v127
	v_mov_b32_e32 v120, v132
	v_dual_mov_b32 v116, v128 :: v_dual_mov_b32 v121, v133
	v_mov_b32_e32 v46, v31
	v_dual_mov_b32 v119, v131 :: v_dual_mov_b32 v98, v50
	v_dual_mov_b32 v118, v7 :: v_dual_mov_b32 v97, v49
	;; [unrolled: 1-line block ×13, first 2 shown]
	v_mov_b32_e32 v95, v33
	v_dual_mov_b32 v19, v20 :: v_dual_mov_b32 v20, v2
	v_mov_b32_e32 v143, v9
	v_dual_mov_b32 v63, v87 :: v_dual_mov_b32 v68, v92
	v_dual_mov_b32 v64, v88 :: v_dual_mov_b32 v75, v135
	;; [unrolled: 1-line block ×11, first 2 shown]
	v_mov_b32_e32 v70, v94
	v_dual_mov_b32 v66, v90 :: v_dual_mov_b32 v71, v95
	v_dual_mov_b32 v76, v136 :: v_dual_mov_b32 v77, v137
	;; [unrolled: 1-line block ×15, first 2 shown]
	v_mov_b32_e32 v110, v158
	v_dual_mov_b32 v1, v2 :: v_dual_mov_b32 v8, v7
	v_mov_b32_e32 v32, v31
.LBB299_39:
	s_or_b32 exec_lo, exec_lo, s2
	v_mov_b32_e32 v2, v21
	s_mov_b32 s2, exec_lo
	v_cmpx_lt_f32_e32 v1, v21
	s_cbranch_execz .LBB299_41
; %bb.40:
	v_mov_b32_e32 v58, v9
	v_mov_b32_e32 v106, v33
	v_dual_mov_b32 v146, v62 :: v_dual_mov_b32 v143, v59
	v_mov_b32_e32 v87, v99
	s_delay_alu instid0(VALU_DEP_3)
	v_dual_mov_b32 v141, v57 :: v_dual_mov_b32 v94, v106
	v_dual_mov_b32 v95, v107 :: v_dual_mov_b32 v140, v56
	;; [unrolled: 1-line block ×6, first 2 shown]
	v_mov_b32_e32 v95, v32
	v_dual_mov_b32 v143, v8 :: v_dual_mov_b32 v20, v21
	v_dual_mov_b32 v88, v100 :: v_dual_mov_b32 v89, v101
	;; [unrolled: 1-line block ×7, first 2 shown]
	s_delay_alu instid0(VALU_DEP_2)
	v_dual_mov_b32 v75, v135 :: v_dual_mov_b32 v76, v136
	v_dual_mov_b32 v122, v62 :: v_dual_mov_b32 v117, v57
	;; [unrolled: 1-line block ×25, first 2 shown]
	v_mov_b32_e32 v48, v108
	v_dual_mov_b32 v50, v110 :: v_dual_mov_b32 v9, v8
	v_dual_mov_b32 v2, v1 :: v_dual_mov_b32 v33, v32
.LBB299_41:
	s_or_b32 exec_lo, exec_lo, s2
	v_mov_b32_e32 v3, v22
	s_mov_b32 s2, exec_lo
	s_delay_alu instid0(VALU_DEP_2)
	v_cmpx_lt_f32_e32 v2, v22
	s_cbranch_execz .LBB299_43
; %bb.42:
	v_mov_b32_e32 v47, v34
	v_mov_b32_e32 v74, v50
	v_dual_mov_b32 v21, v22 :: v_dual_mov_b32 v72, v48
	v_dual_mov_b32 v72, v33 :: v_dual_mov_b32 v119, v10
	;; [unrolled: 1-line block ×3, first 2 shown]
	v_mov_b32_e32 v78, v114
	v_dual_mov_b32 v22, v2 :: v_dual_mov_b32 v73, v49
	v_dual_mov_b32 v81, v117 :: v_dual_mov_b32 v84, v120
	;; [unrolled: 1-line block ×7, first 2 shown]
	v_mov_b32_e32 v69, v45
	v_dual_mov_b32 v67, v43 :: v_dual_mov_b32 v66, v42
	v_dual_mov_b32 v65, v41 :: v_dual_mov_b32 v64, v40
	;; [unrolled: 1-line block ×18, first 2 shown]
	v_mov_b32_e32 v34, v33
.LBB299_43:
	s_or_b32 exec_lo, exec_lo, s2
	v_mov_b32_e32 v1, v23
	s_mov_b32 s2, exec_lo
	v_cmpx_lt_f32_e32 v3, v23
	s_cbranch_execz .LBB299_45
; %bb.44:
	v_dual_mov_b32 v144, v11 :: v_dual_mov_b32 v145, v10
	v_dual_mov_b32 v96, v35 :: v_dual_mov_b32 v97, v34
	v_mov_b32_e32 v146, v12
	v_mov_b32_e32 v22, v23
	v_dual_mov_b32 v23, v3 :: v_dual_mov_b32 v98, v36
	v_dual_mov_b32 v75, v135 :: v_dual_mov_b32 v84, v144
	;; [unrolled: 1-line block ×3, first 2 shown]
	v_mov_b32_e32 v79, v139
	v_dual_mov_b32 v77, v137 :: v_dual_mov_b32 v78, v138
	v_dual_mov_b32 v81, v141 :: v_dual_mov_b32 v80, v140
	;; [unrolled: 1-line block ×10, first 2 shown]
.LBB299_45:
	s_or_b32 exec_lo, exec_lo, s2
	s_delay_alu instid0(VALU_DEP_1)
	v_cmp_lt_f32_e32 vcc_lo, v1, v24
	v_mov_b32_e32 v42, v78
	v_cmp_lt_f32_e64 s2, v13, v14
	v_dual_mov_b32 v40, v76 :: v_dual_mov_b32 v41, v77
	v_dual_cndmask_b32 v12, v24, v1 :: v_dual_mov_b32 v43, v79
	v_dual_cndmask_b32 v23, v23, v24 :: v_dual_cndmask_b32 v50, v86, v85
	s_delay_alu instid0(VALU_DEP_2) | instskip(SKIP_2) | instid1(VALU_DEP_3)
	v_dual_mov_b32 v39, v75 :: v_dual_mov_b32 v24, v12
	v_dual_cndmask_b32 v49, v85, v86 :: v_dual_mov_b32 v44, v80
	v_dual_cndmask_b32 v61, v73, v74 :: v_dual_cndmask_b32 v62, v74, v73
	v_dual_mov_b32 v38, v24 :: v_dual_mov_b32 v35, v21
	v_dual_mov_b32 v37, v23 :: v_dual_mov_b32 v36, v22
	;; [unrolled: 1-line block ×13, first 2 shown]
	s_and_saveexec_b32 s3, s2
	s_delay_alu instid0(SALU_CYCLE_1)
	s_xor_b32 s2, exec_lo, s3
	s_cbranch_execz .LBB299_47
; %bb.46:
	v_dual_mov_b32 v1, v14 :: v_dual_mov_b32 v2, v13
	v_dual_mov_b32 v3, v15 :: v_dual_mov_b32 v4, v16
	;; [unrolled: 1-line block ×6, first 2 shown]
	s_delay_alu instid0(VALU_DEP_2) | instskip(NEXT) | instid1(VALU_DEP_2)
	v_dual_mov_b32 v38, v12 :: v_dual_mov_b32 v35, v9
	v_dual_mov_b32 v36, v10 :: v_dual_mov_b32 v37, v11
	;; [unrolled: 1-line block ×16, first 2 shown]
.LBB299_47:
	s_or_b32 exec_lo, exec_lo, s2
	v_dual_mov_b32 v13, v29 :: v_dual_mov_b32 v122, v50
	v_dual_mov_b32 v15, v39 :: v_dual_mov_b32 v16, v40
	;; [unrolled: 1-line block ×30, first 2 shown]
	v_mov_b32_e32 v135, v39
	s_clause 0x2
	scratch_store_b128 off, v[39:42], off offset:48
	scratch_store_b128 off, v[43:46], off offset:64
	;; [unrolled: 1-line block ×3, first 2 shown]
	v_dual_mov_b32 v1, v51 :: v_dual_mov_b32 v4, v54
	v_dual_mov_b32 v11, v61 :: v_dual_mov_b32 v74, v62
	v_dual_mov_b32 v63, v51 :: v_dual_mov_b32 v98, v62
	v_dual_mov_b32 v87, v51 :: v_dual_mov_b32 v134, v62
	v_dual_mov_b32 v123, v51 :: v_dual_mov_b32 v158, v62
	v_dual_mov_b32 v147, v51 :: v_dual_mov_b32 v170, v62
	v_dual_mov_b32 v3, v53 :: v_dual_mov_b32 v6, v56
	v_dual_mov_b32 v5, v55 :: v_dual_mov_b32 v8, v58
	v_dual_mov_b32 v7, v57 :: v_dual_mov_b32 v10, v60
	v_dual_mov_b32 v9, v59 :: v_dual_mov_b32 v12, v62
	v_dual_mov_b32 v71, v59 :: v_dual_mov_b32 v70, v58
	v_dual_mov_b32 v69, v57 :: v_dual_mov_b32 v68, v56
	v_dual_mov_b32 v67, v55 :: v_dual_mov_b32 v66, v54
	v_dual_mov_b32 v65, v53 :: v_dual_mov_b32 v64, v52
	v_dual_mov_b32 v97, v61 :: v_dual_mov_b32 v96, v60
	v_dual_mov_b32 v95, v59 :: v_dual_mov_b32 v94, v58
	v_dual_mov_b32 v93, v57 :: v_dual_mov_b32 v92, v56
	v_dual_mov_b32 v91, v55 :: v_dual_mov_b32 v90, v54
	v_dual_mov_b32 v89, v53 :: v_dual_mov_b32 v88, v52
	v_dual_mov_b32 v133, v61 :: v_dual_mov_b32 v132, v60
	v_dual_mov_b32 v131, v59 :: v_dual_mov_b32 v130, v58
	v_dual_mov_b32 v129, v57 :: v_dual_mov_b32 v128, v56
	v_dual_mov_b32 v127, v55 :: v_dual_mov_b32 v126, v54
	v_dual_mov_b32 v125, v53 :: v_dual_mov_b32 v124, v52
	v_dual_mov_b32 v157, v61 :: v_dual_mov_b32 v156, v60
	v_dual_mov_b32 v155, v59 :: v_dual_mov_b32 v154, v58
	v_dual_mov_b32 v153, v57 :: v_dual_mov_b32 v152, v56
	v_dual_mov_b32 v151, v55 :: v_dual_mov_b32 v150, v54
	v_dual_mov_b32 v149, v53 :: v_dual_mov_b32 v148, v52
	v_dual_mov_b32 v169, v61 :: v_dual_mov_b32 v168, v60
	v_dual_mov_b32 v167, v59 :: v_dual_mov_b32 v166, v58
	v_dual_mov_b32 v165, v57 :: v_dual_mov_b32 v164, v56
	v_dual_mov_b32 v163, v55 :: v_dual_mov_b32 v162, v54
	v_dual_mov_b32 v161, v53 :: v_dual_mov_b32 v160, v52
	v_mov_b32_e32 v159, v51
	s_mov_b32 s2, exec_lo
	v_dual_mov_b32 v73, v61 :: v_dual_mov_b32 v72, v60
	v_mov_b32_e32 v2, v52
	s_clause 0x2
	scratch_store_b128 off, v[51:54], off
	scratch_store_b128 off, v[55:58], off offset:16
	scratch_store_b128 off, v[59:62], off offset:32
	v_dual_mov_b32 v182, v50 :: v_dual_mov_b32 v181, v49
	v_dual_mov_b32 v180, v48 :: v_dual_mov_b32 v179, v47
	;; [unrolled: 1-line block ×6, first 2 shown]
	v_cmpx_lt_f32_e32 v14, v29
	s_cbranch_execz .LBB299_49
; %bb.48:
	v_dual_mov_b32 v170, v62 :: v_dual_mov_b32 v169, v61
	v_dual_mov_b32 v162, v54 :: v_dual_mov_b32 v161, v53
	;; [unrolled: 1-line block ×7, first 2 shown]
	s_clause 0x2
	scratch_store_b128 off, v[159:162], off
	scratch_store_b128 off, v[163:166], off offset:16
	scratch_store_b128 off, v[167:170], off offset:32
	v_dual_mov_b32 v182, v50 :: v_dual_mov_b32 v181, v49
	v_dual_mov_b32 v172, v40 :: v_dual_mov_b32 v171, v39
	;; [unrolled: 1-line block ×8, first 2 shown]
	s_delay_alu instid0(VALU_DEP_3)
	v_dual_mov_b32 v140, v176 :: v_dual_mov_b32 v141, v177
	v_dual_mov_b32 v138, v174 :: v_dual_mov_b32 v139, v175
	;; [unrolled: 1-line block ×3, first 2 shown]
	v_mov_b32_e32 v146, v182
	v_dual_mov_b32 v136, v172 :: v_dual_mov_b32 v137, v173
	v_mov_b32_e32 v138, v42
	v_dual_mov_b32 v142, v178 :: v_dual_mov_b32 v143, v179
	v_mov_b32_e32 v53, v52
	v_mov_b32_e32 v139, v43
	;; [unrolled: 1-line block ×3, first 2 shown]
	v_dual_mov_b32 v147, v159 :: v_dual_mov_b32 v148, v160
	v_mov_b32_e32 v151, v163
	v_dual_mov_b32 v149, v161 :: v_dual_mov_b32 v150, v162
	v_dual_mov_b32 v153, v165 :: v_dual_mov_b32 v152, v164
	;; [unrolled: 1-line block ×16, first 2 shown]
	v_mov_b32_e32 v122, v146
	v_dual_mov_b32 v114, v138 :: v_dual_mov_b32 v117, v141
	v_dual_mov_b32 v116, v140 :: v_dual_mov_b32 v119, v143
	;; [unrolled: 1-line block ×14, first 2 shown]
	v_mov_b32_e32 v82, v118
	v_dual_mov_b32 v76, v112 :: v_dual_mov_b32 v81, v117
	v_dual_mov_b32 v80, v116 :: v_dual_mov_b32 v85, v121
	;; [unrolled: 1-line block ×6, first 2 shown]
	v_mov_b32_e32 v81, v45
	v_dual_mov_b32 v65, v89 :: v_dual_mov_b32 v72, v96
	v_mov_b32_e32 v29, v14
	s_delay_alu instid0(VALU_DEP_3)
	v_dual_mov_b32 v110, v86 :: v_dual_mov_b32 v105, v81
	v_dual_mov_b32 v70, v94 :: v_dual_mov_b32 v73, v97
	;; [unrolled: 1-line block ×11, first 2 shown]
	v_mov_b32_e32 v106, v46
	s_clause 0x2
	scratch_store_b128 off, v[1:4], off offset:48
	scratch_store_b128 off, v[5:8], off offset:64
	scratch_store_b128 off, v[9:12], off offset:80
	v_dual_mov_b32 v100, v76 :: v_dual_mov_b32 v1, v63
	v_dual_mov_b32 v10, v72 :: v_dual_mov_b32 v3, v65
	;; [unrolled: 1-line block ×16, first 2 shown]
	v_mov_b32_e32 v26, v50
.LBB299_49:
	s_or_b32 exec_lo, exec_lo, s2
	v_mov_b32_e32 v14, v30
	s_mov_b32 s2, exec_lo
	v_cmpx_lt_f32_e32 v13, v30
	s_cbranch_execz .LBB299_51
; %bb.50:
	s_clause 0x2
	scratch_load_b128 v[1:4], off, off
	scratch_load_b128 v[5:8], off, off offset:16
	scratch_load_b128 v[9:12], off, off offset:32
	v_mov_b32_e32 v161, v54
	v_dual_mov_b32 v29, v30 :: v_dual_mov_b32 v30, v13
	v_mov_b32_e32 v54, v53
	s_waitcnt vmcnt(0)
	v_dual_mov_b32 v170, v12 :: v_dual_mov_b32 v169, v11
	v_mov_b32_e32 v162, v4
	v_dual_mov_b32 v162, v53 :: v_dual_mov_b32 v173, v42
	v_dual_mov_b32 v160, v2 :: v_dual_mov_b32 v135, v171
	;; [unrolled: 1-line block ×4, first 2 shown]
	v_mov_b32_e32 v165, v7
	s_delay_alu instid0(VALU_DEP_3)
	v_dual_mov_b32 v1, v159 :: v_dual_mov_b32 v2, v160
	v_dual_mov_b32 v136, v172 :: v_dual_mov_b32 v3, v161
	v_mov_b32_e32 v138, v174
	v_dual_mov_b32 v164, v6 :: v_dual_mov_b32 v163, v5
	s_clause 0x2
	scratch_store_b128 off, v[1:4], off
	scratch_store_b128 off, v[5:8], off offset:16
	scratch_store_b128 off, v[9:12], off offset:32
	v_dual_mov_b32 v137, v173 :: v_dual_mov_b32 v140, v176
	v_dual_mov_b32 v138, v41 :: v_dual_mov_b32 v147, v159
	;; [unrolled: 1-line block ×12, first 2 shown]
	v_mov_b32_e32 v139, v43
	v_dual_mov_b32 v123, v147 :: v_dual_mov_b32 v126, v150
	v_dual_mov_b32 v124, v148 :: v_dual_mov_b32 v111, v135
	;; [unrolled: 1-line block ×3, first 2 shown]
	s_delay_alu instid0(VALU_DEP_4)
	v_dual_mov_b32 v128, v152 :: v_dual_mov_b32 v115, v139
	v_dual_mov_b32 v116, v140 :: v_dual_mov_b32 v121, v145
	;; [unrolled: 1-line block ×6, first 2 shown]
	v_mov_b32_e32 v128, v56
	v_dual_mov_b32 v116, v44 :: v_dual_mov_b32 v87, v123
	v_dual_mov_b32 v113, v137 :: v_dual_mov_b32 v114, v138
	;; [unrolled: 1-line block ×17, first 2 shown]
	v_mov_b32_e32 v81, v45
	v_dual_mov_b32 v7, v141 :: v_dual_mov_b32 v8, v142
	v_dual_mov_b32 v9, v143 :: v_dual_mov_b32 v10, v144
	;; [unrolled: 1-line block ×5, first 2 shown]
	v_mov_b32_e32 v64, v88
	v_dual_mov_b32 v110, v86 :: v_dual_mov_b32 v109, v85
	v_dual_mov_b32 v65, v89 :: v_dual_mov_b32 v68, v92
	;; [unrolled: 1-line block ×10, first 2 shown]
	v_mov_b32_e32 v102, v78
	v_dual_mov_b32 v42, v41 :: v_dual_mov_b32 v103, v79
	v_mov_b32_e32 v100, v76
	v_mov_b32_e32 v106, v46
	s_clause 0x2
	scratch_store_b128 off, v[1:4], off offset:48
	scratch_store_b128 off, v[5:8], off offset:64
	scratch_store_b128 off, v[9:12], off offset:80
	v_mov_b32_e32 v1, v63
	v_mov_b32_e32 v5, v67
	v_dual_mov_b32 v3, v65 :: v_dual_mov_b32 v12, v74
	v_dual_mov_b32 v15, v99 :: v_dual_mov_b32 v4, v66
	v_dual_mov_b32 v9, v71 :: v_dual_mov_b32 v6, v68
	v_dual_mov_b32 v11, v73 :: v_dual_mov_b32 v10, v72
	v_dual_mov_b32 v11, v61 :: v_dual_mov_b32 v18, v102
	v_dual_mov_b32 v23, v107 :: v_dual_mov_b32 v20, v104
	v_dual_mov_b32 v25, v109 :: v_dual_mov_b32 v24, v108
	v_dual_mov_b32 v25, v49 :: v_dual_mov_b32 v26, v110
	v_dual_mov_b32 v2, v64 :: v_dual_mov_b32 v7, v69
	v_dual_mov_b32 v8, v70 :: v_dual_mov_b32 v9, v59
	v_dual_mov_b32 v10, v60 :: v_dual_mov_b32 v17, v101
	v_dual_mov_b32 v12, v62 :: v_dual_mov_b32 v19, v103
	v_dual_mov_b32 v16, v100 :: v_dual_mov_b32 v21, v105
	v_dual_mov_b32 v22, v106 :: v_dual_mov_b32 v23, v47
	v_mov_b32_e32 v24, v48
	v_mov_b32_e32 v26, v50
.LBB299_51:
	s_or_b32 exec_lo, exec_lo, s2
	v_mov_b32_e32 v13, v31
	s_mov_b32 s2, exec_lo
	v_cmpx_lt_f32_e32 v14, v31
	s_cbranch_execz .LBB299_53
; %bb.52:
	s_clause 0x2
	scratch_load_b128 v[1:4], off, off
	scratch_load_b128 v[5:8], off, off offset:16
	scratch_load_b128 v[9:12], off, off offset:32
	v_dual_mov_b32 v30, v31 :: v_dual_mov_b32 v31, v14
	v_dual_mov_b32 v13, v14 :: v_dual_mov_b32 v162, v55
	v_mov_b32_e32 v55, v54
	s_waitcnt vmcnt(2)
	v_dual_mov_b32 v161, v3 :: v_dual_mov_b32 v160, v2
	s_waitcnt vmcnt(0)
	v_dual_mov_b32 v159, v1 :: v_dual_mov_b32 v170, v12
	v_dual_mov_b32 v169, v11 :: v_dual_mov_b32 v168, v10
	;; [unrolled: 1-line block ×8, first 2 shown]
	s_delay_alu instid0(VALU_DEP_4)
	v_dual_mov_b32 v151, v163 :: v_dual_mov_b32 v156, v168
	v_dual_mov_b32 v157, v169 :: v_dual_mov_b32 v136, v172
	;; [unrolled: 1-line block ×8, first 2 shown]
	v_mov_b32_e32 v145, v181
	v_mov_b32_e32 v139, v42
	v_mov_b32_e32 v151, v54
	v_dual_mov_b32 v146, v182 :: v_dual_mov_b32 v123, v147
	v_dual_mov_b32 v111, v135 :: v_dual_mov_b32 v112, v136
	;; [unrolled: 1-line block ×3, first 2 shown]
	s_delay_alu instid0(VALU_DEP_4)
	v_dual_mov_b32 v124, v148 :: v_dual_mov_b32 v127, v151
	v_dual_mov_b32 v128, v152 :: v_dual_mov_b32 v131, v155
	;; [unrolled: 1-line block ×9, first 2 shown]
	v_mov_b32_e32 v120, v144
	v_dual_mov_b32 v116, v44 :: v_dual_mov_b32 v87, v123
	v_mov_b32_e32 v114, v138
	v_dual_mov_b32 v98, v134 :: v_dual_mov_b32 v75, v111
	v_dual_mov_b32 v88, v124 :: v_dual_mov_b32 v89, v125
	;; [unrolled: 1-line block ×3, first 2 shown]
	v_mov_b32_e32 v86, v122
	v_dual_mov_b32 v90, v126 :: v_dual_mov_b32 v91, v127
	v_dual_mov_b32 v92, v128 :: v_dual_mov_b32 v93, v129
	;; [unrolled: 1-line block ×8, first 2 shown]
	v_mov_b32_e32 v79, v115
	v_mov_b32_e32 v81, v45
	v_dual_mov_b32 v63, v87 :: v_dual_mov_b32 v66, v90
	v_dual_mov_b32 v64, v88 :: v_dual_mov_b32 v73, v97
	;; [unrolled: 1-line block ×9, first 2 shown]
	v_mov_b32_e32 v108, v84
	v_dual_mov_b32 v106, v46 :: v_dual_mov_b32 v1, v63
	v_dual_mov_b32 v105, v81 :: v_dual_mov_b32 v104, v80
	;; [unrolled: 1-line block ×19, first 2 shown]
	v_mov_b32_e32 v26, v50
	v_mov_b32_e32 v43, v42
	s_clause 0x2
	scratch_store_b128 off, v[171:174], off offset:48
	scratch_store_b128 off, v[175:178], off offset:64
	;; [unrolled: 1-line block ×3, first 2 shown]
.LBB299_53:
	s_or_b32 exec_lo, exec_lo, s2
	v_mov_b32_e32 v14, v32
	s_mov_b32 s2, exec_lo
	v_cmpx_lt_f32_e32 v13, v32
	s_cbranch_execz .LBB299_55
; %bb.54:
	s_clause 0x2
	scratch_load_b128 v[1:4], off, off offset:48
	scratch_load_b128 v[5:8], off, off offset:64
	scratch_load_b128 v[9:12], off, off offset:80
	v_dual_mov_b32 v163, v56 :: v_dual_mov_b32 v14, v13
	v_dual_mov_b32 v56, v55 :: v_dual_mov_b32 v31, v32
	s_waitcnt vmcnt(2)
	v_dual_mov_b32 v138, v4 :: v_dual_mov_b32 v137, v3
	s_waitcnt vmcnt(0)
	v_dual_mov_b32 v146, v12 :: v_dual_mov_b32 v145, v11
	v_dual_mov_b32 v136, v2 :: v_dual_mov_b32 v135, v1
	;; [unrolled: 1-line block ×17, first 2 shown]
	v_mov_b32_e32 v120, v144
	v_mov_b32_e32 v116, v43
	v_dual_mov_b32 v87, v123 :: v_dual_mov_b32 v88, v124
	v_dual_mov_b32 v89, v125 :: v_dual_mov_b32 v98, v134
	;; [unrolled: 1-line block ×12, first 2 shown]
	v_mov_b32_e32 v79, v115
	v_mov_b32_e32 v81, v45
	v_dual_mov_b32 v63, v87 :: v_dual_mov_b32 v66, v90
	v_dual_mov_b32 v64, v88 :: v_dual_mov_b32 v73, v97
	;; [unrolled: 1-line block ×8, first 2 shown]
	v_mov_b32_e32 v70, v58
	v_dual_mov_b32 v106, v46 :: v_dual_mov_b32 v65, v89
	v_dual_mov_b32 v68, v92 :: v_dual_mov_b32 v105, v81
	;; [unrolled: 1-line block ×4, first 2 shown]
	v_mov_b32_e32 v100, v76
	v_dual_mov_b32 v32, v13 :: v_dual_mov_b32 v1, v63
	v_dual_mov_b32 v12, v74 :: v_dual_mov_b32 v15, v99
	v_mov_b32_e32 v26, v110
	v_dual_mov_b32 v8, v70 :: v_dual_mov_b32 v9, v71
	v_dual_mov_b32 v10, v72 :: v_dual_mov_b32 v11, v73
	v_dual_mov_b32 v22, v106 :: v_dual_mov_b32 v23, v107
	v_dual_mov_b32 v24, v108 :: v_dual_mov_b32 v25, v109
	v_dual_mov_b32 v26, v50 :: v_dual_mov_b32 v147, v159
	v_dual_mov_b32 v2, v64 :: v_dual_mov_b32 v3, v65
	v_dual_mov_b32 v4, v66 :: v_dual_mov_b32 v5, v67
	v_dual_mov_b32 v6, v68 :: v_dual_mov_b32 v7, v69
	v_dual_mov_b32 v16, v100 :: v_dual_mov_b32 v17, v101
	v_dual_mov_b32 v18, v102 :: v_dual_mov_b32 v19, v103
	v_dual_mov_b32 v20, v104 :: v_dual_mov_b32 v21, v105
	v_dual_mov_b32 v9, v59 :: v_dual_mov_b32 v10, v60
	v_dual_mov_b32 v11, v61 :: v_dual_mov_b32 v12, v62
	v_dual_mov_b32 v23, v47 :: v_dual_mov_b32 v24, v48
	v_dual_mov_b32 v25, v49 :: v_dual_mov_b32 v148, v160
	v_dual_mov_b32 v149, v161 :: v_dual_mov_b32 v150, v162
	v_dual_mov_b32 v151, v163 :: v_dual_mov_b32 v152, v164
	v_dual_mov_b32 v153, v165 :: v_dual_mov_b32 v154, v166
	v_dual_mov_b32 v155, v167 :: v_dual_mov_b32 v156, v168
	v_dual_mov_b32 v157, v169 :: v_dual_mov_b32 v158, v170
	v_mov_b32_e32 v44, v43
.LBB299_55:
	s_or_b32 exec_lo, exec_lo, s2
	v_mov_b32_e32 v13, v33
	s_mov_b32 s2, exec_lo
	v_cmpx_lt_f32_e32 v14, v33
	s_cbranch_execz .LBB299_57
; %bb.56:
	v_mov_b32_e32 v140, v45
	v_dual_mov_b32 v152, v57 :: v_dual_mov_b32 v75, v135
	v_dual_mov_b32 v87, v147 :: v_dual_mov_b32 v90, v150
	;; [unrolled: 1-line block ×3, first 2 shown]
	s_delay_alu instid0(VALU_DEP_3)
	v_dual_mov_b32 v92, v152 :: v_dual_mov_b32 v93, v153
	v_dual_mov_b32 v76, v136 :: v_dual_mov_b32 v79, v139
	;; [unrolled: 1-line block ×6, first 2 shown]
	v_mov_b32_e32 v93, v56
	v_dual_mov_b32 v84, v144 :: v_dual_mov_b32 v63, v87
	v_dual_mov_b32 v78, v138 :: v_dual_mov_b32 v81, v141
	;; [unrolled: 1-line block ×5, first 2 shown]
	s_delay_alu instid0(VALU_DEP_3) | instskip(SKIP_1) | instid1(VALU_DEP_4)
	v_dual_mov_b32 v110, v86 :: v_dual_mov_b32 v109, v85
	v_dual_mov_b32 v100, v76 :: v_dual_mov_b32 v99, v75
	;; [unrolled: 1-line block ×11, first 2 shown]
	v_mov_b32_e32 v106, v46
	v_dual_mov_b32 v70, v58 :: v_dual_mov_b32 v15, v99
	v_dual_mov_b32 v1, v63 :: v_dual_mov_b32 v24, v108
	;; [unrolled: 1-line block ×3, first 2 shown]
	s_delay_alu instid0(VALU_DEP_3)
	v_dual_mov_b32 v8, v70 :: v_dual_mov_b32 v9, v71
	v_dual_mov_b32 v10, v72 :: v_dual_mov_b32 v11, v73
	;; [unrolled: 1-line block ×26, first 2 shown]
	v_mov_b32_e32 v13, v14
	v_dual_mov_b32 v134, v158 :: v_dual_mov_b32 v45, v44
	v_mov_b32_e32 v57, v56
.LBB299_57:
	s_or_b32 exec_lo, exec_lo, s2
	v_mov_b32_e32 v14, v34
	s_mov_b32 s2, exec_lo
	v_cmpx_lt_f32_e32 v13, v34
	s_cbranch_execz .LBB299_59
; %bb.58:
	v_mov_b32_e32 v129, v58
	v_dual_mov_b32 v63, v123 :: v_dual_mov_b32 v70, v130
	v_dual_mov_b32 v70, v57 :: v_dual_mov_b32 v71, v131
	;; [unrolled: 1-line block ×22, first 2 shown]
	v_mov_b32_e32 v34, v13
	v_dual_mov_b32 v3, v65 :: v_dual_mov_b32 v4, v66
	v_dual_mov_b32 v5, v67 :: v_dual_mov_b32 v6, v68
	;; [unrolled: 1-line block ×20, first 2 shown]
	v_mov_b32_e32 v14, v13
	v_mov_b32_e32 v46, v45
	;; [unrolled: 1-line block ×3, first 2 shown]
.LBB299_59:
	s_or_b32 exec_lo, exec_lo, s2
	v_mov_b32_e32 v13, v35
	s_mov_b32 s2, exec_lo
	v_cmpx_lt_f32_e32 v14, v35
	s_cbranch_execz .LBB299_61
; %bb.60:
	v_mov_b32_e32 v94, v59
	v_dual_mov_b32 v34, v35 :: v_dual_mov_b32 v35, v14
	v_mov_b32_e32 v82, v47
	v_dual_mov_b32 v1, v87 :: v_dual_mov_b32 v2, v88
	v_dual_mov_b32 v10, v96 :: v_dual_mov_b32 v7, v93
	;; [unrolled: 1-line block ×13, first 2 shown]
	v_mov_b32_e32 v5, v91
	v_mov_b32_e32 v9, v58
	v_dual_mov_b32 v12, v62 :: v_dual_mov_b32 v17, v77
	v_dual_mov_b32 v16, v76 :: v_dual_mov_b32 v19, v79
	;; [unrolled: 1-line block ×14, first 2 shown]
	v_mov_b32_e32 v47, v46
	v_mov_b32_e32 v59, v58
	;; [unrolled: 1-line block ×3, first 2 shown]
.LBB299_61:
	s_or_b32 exec_lo, exec_lo, s2
	v_mov_b32_e32 v39, v36
	s_mov_b32 s2, exec_lo
	v_cmpx_lt_f32_e32 v13, v36
	s_cbranch_execz .LBB299_63
; %bb.62:
	v_dual_mov_b32 v71, v60 :: v_dual_mov_b32 v72, v59
	v_dual_mov_b32 v73, v61 :: v_dual_mov_b32 v108, v47
	;; [unrolled: 1-line block ×17, first 2 shown]
	v_mov_b32_e32 v39, v13
.LBB299_63:
	s_or_b32 exec_lo, exec_lo, s2
	s_delay_alu instid0(VALU_DEP_1)
	v_cmp_lt_f32_e32 vcc_lo, v39, v37
	v_dual_mov_b32 v40, v28 :: v_dual_mov_b32 v43, v31
	v_dual_mov_b32 v42, v30 :: v_dual_mov_b32 v45, v33
	v_dual_cndmask_b32 v13, v25, v24 :: v_dual_cndmask_b32 v24, v24, v25
	v_dual_cndmask_b32 v14, v11, v10 :: v_dual_cndmask_b32 v49, v37, v39
	v_dual_cndmask_b32 v10, v10, v11 :: v_dual_mov_b32 v39, v27
	v_dual_cndmask_b32 v48, v36, v37 :: v_dual_mov_b32 v41, v29
	v_dual_mov_b32 v44, v32 :: v_dual_mov_b32 v47, v35
	v_mov_b32_e32 v46, v34
	v_mov_b32_e32 v50, v38
	s_mov_b32 s2, exec_lo
	v_cmpx_lt_f32_e32 v27, v28
	s_cbranch_execz .LBB299_65
; %bb.64:
	v_dual_mov_b32 v28, v40 :: v_dual_mov_b32 v29, v39
	v_dual_mov_b32 v38, v49 :: v_dual_mov_b32 v39, v50
	;; [unrolled: 1-line block ×7, first 2 shown]
	v_mov_b32_e32 v11, v15
	v_swap_b32 v15, v16
	s_delay_alu instid0(VALU_DEP_4)
	v_mov_b32_e32 v48, v37
	v_swap_b32 v1, v2
	v_dual_mov_b32 v49, v38 :: v_dual_mov_b32 v46, v35
	v_dual_mov_b32 v47, v36 :: v_dual_mov_b32 v44, v33
	;; [unrolled: 1-line block ×4, first 2 shown]
	v_mov_b32_e32 v41, v30
	v_dual_mov_b32 v39, v28 :: v_dual_mov_b32 v28, v27
.LBB299_65:
	s_or_b32 exec_lo, exec_lo, s2
	v_mov_b32_e32 v11, v14
	v_dual_mov_b32 v25, v13 :: v_dual_mov_b32 v62, v12
	v_dual_mov_b32 v74, v26 :: v_dual_mov_b32 v63, v15
	v_mov_b32_e32 v86, v26
	v_dual_mov_b32 v72, v24 :: v_dual_mov_b32 v75, v15
	v_dual_mov_b32 v110, v26 :: v_dual_mov_b32 v53, v3
	;; [unrolled: 1-line block ×61, first 2 shown]
	v_mov_b32_e32 v149, v3
	v_mov_b32_e32 v147, v1
	;; [unrolled: 1-line block ×3, first 2 shown]
	s_mov_b32 s2, exec_lo
	v_dual_mov_b32 v85, v25 :: v_dual_mov_b32 v84, v24
	v_dual_mov_b32 v83, v23 :: v_dual_mov_b32 v82, v22
	s_clause 0x2
	scratch_store_b128 off, v[1:4], off
	scratch_store_b128 off, v[5:8], off offset:16
	scratch_store_b128 off, v[9:12], off offset:32
	v_cmpx_lt_f32_e32 v28, v41
	s_cbranch_execz .LBB299_67
; %bb.66:
	v_dual_mov_b32 v158, v12 :: v_dual_mov_b32 v157, v11
	v_dual_mov_b32 v150, v4 :: v_dual_mov_b32 v149, v3
	v_dual_mov_b32 v148, v2 :: v_dual_mov_b32 v147, v1
	v_dual_mov_b32 v156, v10 :: v_dual_mov_b32 v155, v9
	v_dual_mov_b32 v154, v8 :: v_dual_mov_b32 v153, v7
	v_dual_mov_b32 v152, v6 :: v_dual_mov_b32 v151, v5
	v_dual_mov_b32 v148, v3 :: v_dual_mov_b32 v149, v2
	s_clause 0x2
	scratch_store_b128 off, v[147:150], off
	scratch_store_b128 off, v[151:154], off offset:16
	scratch_store_b128 off, v[155:158], off offset:32
	v_dual_mov_b32 v182, v26 :: v_dual_mov_b32 v181, v25
	v_dual_mov_b32 v172, v16 :: v_dual_mov_b32 v171, v15
	v_dual_mov_b32 v176, v20 :: v_dual_mov_b32 v175, v19
	v_dual_mov_b32 v174, v18 :: v_dual_mov_b32 v173, v17
	v_dual_mov_b32 v172, v17 :: v_dual_mov_b32 v173, v16
	v_dual_mov_b32 v180, v24 :: v_dual_mov_b32 v179, v23
	v_dual_mov_b32 v178, v22 :: v_dual_mov_b32 v177, v21
	v_dual_mov_b32 v150, v4 :: v_dual_mov_b32 v159, v171
	s_delay_alu instid0(VALU_DEP_4) | instskip(SKIP_1) | instid1(VALU_DEP_4)
	v_dual_mov_b32 v160, v172 :: v_dual_mov_b32 v161, v173
	v_dual_mov_b32 v162, v174 :: v_dual_mov_b32 v163, v175
	;; [unrolled: 1-line block ×4, first 2 shown]
	v_mov_b32_e32 v170, v182
	v_dual_mov_b32 v166, v178 :: v_dual_mov_b32 v167, v179
	v_mov_b32_e32 v162, v18
	v_dual_mov_b32 v40, v41 :: v_dual_mov_b32 v41, v28
	v_mov_b32_e32 v3, v2
	v_mov_b32_e32 v17, v16
	;; [unrolled: 1-line block ×3, first 2 shown]
	v_dual_mov_b32 v137, v149 :: v_dual_mov_b32 v144, v156
	v_dual_mov_b32 v123, v159 :: v_dual_mov_b32 v136, v148
	;; [unrolled: 1-line block ×12, first 2 shown]
	v_mov_b32_e32 v133, v169
	v_dual_mov_b32 v111, v135 :: v_dual_mov_b32 v112, v136
	v_dual_mov_b32 v99, v123 :: v_dual_mov_b32 v100, v124
	;; [unrolled: 1-line block ×12, first 2 shown]
	v_mov_b32_e32 v104, v20
	v_dual_mov_b32 v116, v6 :: v_dual_mov_b32 v75, v99
	v_mov_b32_e32 v87, v111
	v_dual_mov_b32 v93, v117 :: v_dual_mov_b32 v78, v102
	s_delay_alu instid0(VALU_DEP_3)
	v_dual_mov_b32 v81, v105 :: v_dual_mov_b32 v92, v116
	v_dual_mov_b32 v90, v114 :: v_dual_mov_b32 v91, v115
	;; [unrolled: 1-line block ×11, first 2 shown]
	v_mov_b32_e32 v51, v87
	v_dual_mov_b32 v63, v75 :: v_dual_mov_b32 v66, v78
	v_dual_mov_b32 v55, v91 :: v_dual_mov_b32 v58, v94
	;; [unrolled: 1-line block ×13, first 2 shown]
	v_mov_b32_e32 v60, v10
	v_dual_mov_b32 v61, v14 :: v_dual_mov_b32 v62, v12
	v_dual_mov_b32 v70, v22 :: v_dual_mov_b32 v71, v23
	;; [unrolled: 1-line block ×3, first 2 shown]
	v_mov_b32_e32 v74, v26
.LBB299_67:
	s_or_b32 exec_lo, exec_lo, s2
	v_mov_b32_e32 v1, v42
	v_cmp_lt_f32_e32 vcc_lo, v11, v42
	s_mov_b32 s2, exec_lo
	s_clause 0x2
	scratch_load_b128 v[27:30], off, off
	scratch_load_b128 v[31:34], off, off offset:16
	scratch_load_b128 v[35:38], off, off offset:32
	s_and_b32 s3, s2, vcc_lo
	s_delay_alu instid0(SALU_CYCLE_1)
	s_mov_b32 exec_lo, s3
	s_cbranch_execz .LBB299_69
; %bb.68:
	v_mov_b32_e32 v173, v18
	s_waitcnt vmcnt(2)
	v_mov_b32_e32 v29, v4
	v_dual_mov_b32 v159, v171 :: v_dual_mov_b32 v162, v174
	s_waitcnt vmcnt(0)
	v_dual_mov_b32 v158, v38 :: v_dual_mov_b32 v157, v37
	v_dual_mov_b32 v156, v36 :: v_dual_mov_b32 v147, v27
	;; [unrolled: 1-line block ×6, first 2 shown]
	v_mov_b32_e32 v168, v180
	v_dual_mov_b32 v164, v176 :: v_dual_mov_b32 v165, v177
	v_dual_mov_b32 v170, v182 :: v_dual_mov_b32 v155, v35
	;; [unrolled: 1-line block ×4, first 2 shown]
	v_mov_b32_e32 v162, v17
	v_dual_mov_b32 v169, v181 :: v_dual_mov_b32 v150, v3
	v_dual_mov_b32 v123, v159 :: v_dual_mov_b32 v124, v160
	;; [unrolled: 1-line block ×3, first 2 shown]
	s_delay_alu instid0(VALU_DEP_3)
	v_dual_mov_b32 v137, v149 :: v_dual_mov_b32 v138, v150
	v_dual_mov_b32 v139, v151 :: v_dual_mov_b32 v140, v152
	;; [unrolled: 1-line block ×10, first 2 shown]
	v_mov_b32_e32 v127, v19
	v_mov_b32_e32 v139, v5
	v_dual_mov_b32 v99, v123 :: v_dual_mov_b32 v100, v124
	v_dual_mov_b32 v111, v135 :: v_dual_mov_b32 v114, v138
	;; [unrolled: 1-line block ×4, first 2 shown]
	v_mov_b32_e32 v120, v144
	v_dual_mov_b32 v104, v128 :: v_dual_mov_b32 v105, v129
	v_dual_mov_b32 v110, v134 :: v_dual_mov_b32 v115, v139
	;; [unrolled: 1-line block ×22, first 2 shown]
	v_mov_b32_e32 v93, v7
	v_dual_mov_b32 v63, v75 :: v_dual_mov_b32 v68, v80
	v_dual_mov_b32 v64, v76 :: v_dual_mov_b32 v51, v87
	;; [unrolled: 1-line block ×3, first 2 shown]
	s_delay_alu instid0(VALU_DEP_4)
	v_dual_mov_b32 v58, v94 :: v_dual_mov_b32 v57, v93
	v_dual_mov_b32 v60, v96 :: v_dual_mov_b32 v59, v95
	;; [unrolled: 1-line block ×8, first 2 shown]
	v_mov_b32_e32 v60, v10
	v_dual_mov_b32 v52, v88 :: v_dual_mov_b32 v53, v89
	v_dual_mov_b32 v56, v92 :: v_dual_mov_b32 v59, v9
	;; [unrolled: 1-line block ×3, first 2 shown]
	v_mov_b32_e32 v72, v24
	v_dual_mov_b32 v70, v22 :: v_dual_mov_b32 v71, v23
	v_dual_mov_b32 v73, v13 :: v_dual_mov_b32 v74, v26
	;; [unrolled: 1-line block ×3, first 2 shown]
	v_mov_b32_e32 v4, v3
.LBB299_69:
	s_or_b32 exec_lo, exec_lo, s2
	v_mov_b32_e32 v2, v43
	s_mov_b32 s2, exec_lo
	v_cmpx_lt_f32_e32 v1, v43
	s_cbranch_execz .LBB299_71
; %bb.70:
	v_mov_b32_e32 v174, v19
	s_waitcnt vmcnt(2)
	v_dual_mov_b32 v30, v5 :: v_dual_mov_b32 v123, v171
	s_waitcnt vmcnt(0)
	v_dual_mov_b32 v146, v38 :: v_dual_mov_b32 v143, v35
	v_dual_mov_b32 v145, v37 :: v_dual_mov_b32 v142, v34
	s_delay_alu instid0(VALU_DEP_3)
	v_dual_mov_b32 v139, v31 :: v_dual_mov_b32 v138, v30
	v_dual_mov_b32 v135, v27 :: v_dual_mov_b32 v124, v172
	;; [unrolled: 1-line block ×5, first 2 shown]
	v_mov_b32_e32 v127, v18
	v_dual_mov_b32 v134, v182 :: v_dual_mov_b32 v139, v4
	v_dual_mov_b32 v144, v36 :: v_dual_mov_b32 v141, v33
	;; [unrolled: 1-line block ×5, first 2 shown]
	s_delay_alu instid0(VALU_DEP_3)
	v_dual_mov_b32 v111, v135 :: v_dual_mov_b32 v112, v136
	v_dual_mov_b32 v99, v123 :: v_dual_mov_b32 v100, v124
	;; [unrolled: 1-line block ×12, first 2 shown]
	v_mov_b32_e32 v104, v20
	v_dual_mov_b32 v116, v6 :: v_dual_mov_b32 v75, v99
	v_mov_b32_e32 v87, v111
	v_dual_mov_b32 v93, v117 :: v_dual_mov_b32 v78, v102
	s_delay_alu instid0(VALU_DEP_3)
	v_dual_mov_b32 v81, v105 :: v_dual_mov_b32 v92, v116
	v_dual_mov_b32 v80, v104 :: v_dual_mov_b32 v83, v107
	v_dual_mov_b32 v84, v108 :: v_dual_mov_b32 v93, v7
	v_dual_mov_b32 v94, v118 :: v_dual_mov_b32 v95, v119
	v_dual_mov_b32 v96, v120 :: v_dual_mov_b32 v97, v121
	v_dual_mov_b32 v98, v122 :: v_dual_mov_b32 v77, v101
	v_dual_mov_b32 v82, v106 :: v_dual_mov_b32 v85, v109
	v_dual_mov_b32 v86, v110 :: v_dual_mov_b32 v81, v21
	v_dual_mov_b32 v88, v112 :: v_dual_mov_b32 v89, v113
	v_dual_mov_b32 v90, v114 :: v_dual_mov_b32 v91, v115
	v_dual_mov_b32 v76, v100 :: v_dual_mov_b32 v79, v103
	v_mov_b32_e32 v63, v75
	s_delay_alu instid0(VALU_DEP_4)
	v_dual_mov_b32 v51, v87 :: v_dual_mov_b32 v52, v88
	v_dual_mov_b32 v71, v83 :: v_dual_mov_b32 v72, v84
	;; [unrolled: 1-line block ×14, first 2 shown]
	v_mov_b32_e32 v68, v80
	v_dual_mov_b32 v58, v8 :: v_dual_mov_b32 v59, v9
	v_dual_mov_b32 v60, v10 :: v_dual_mov_b32 v71, v23
	;; [unrolled: 1-line block ×16, first 2 shown]
	v_mov_b32_e32 v2, v1
.LBB299_71:
	s_or_b32 exec_lo, exec_lo, s2
	v_mov_b32_e32 v1, v44
	s_mov_b32 s2, exec_lo
	s_delay_alu instid0(VALU_DEP_2)
	v_cmpx_lt_f32_e32 v2, v44
	s_cbranch_execz .LBB299_73
; %bb.72:
	v_mov_b32_e32 v163, v20
	v_mov_b32_e32 v151, v6
	v_dual_mov_b32 v99, v159 :: v_dual_mov_b32 v100, v160
	v_dual_mov_b32 v111, v147 :: v_dual_mov_b32 v112, v148
	;; [unrolled: 1-line block ×10, first 2 shown]
	v_mov_b32_e32 v108, v168
	v_dual_mov_b32 v104, v164 :: v_dual_mov_b32 v107, v167
	v_mov_b32_e32 v116, v5
	v_dual_mov_b32 v109, v169 :: v_dual_mov_b32 v104, v19
	v_dual_mov_b32 v87, v111 :: v_dual_mov_b32 v88, v112
	;; [unrolled: 1-line block ×13, first 2 shown]
	v_mov_b32_e32 v93, v7
	v_dual_mov_b32 v43, v44 :: v_dual_mov_b32 v44, v2
	v_mov_b32_e32 v81, v21
	v_dual_mov_b32 v51, v87 :: v_dual_mov_b32 v56, v92
	v_dual_mov_b32 v52, v88 :: v_dual_mov_b32 v63, v75
	;; [unrolled: 1-line block ×14, first 2 shown]
	v_mov_b32_e32 v136, v148
	v_dual_mov_b32 v54, v90 :: v_dual_mov_b32 v59, v9
	v_dual_mov_b32 v62, v12 :: v_dual_mov_b32 v61, v14
	v_mov_b32_e32 v72, v24
	v_dual_mov_b32 v70, v22 :: v_dual_mov_b32 v71, v23
	v_dual_mov_b32 v73, v13 :: v_dual_mov_b32 v74, v26
	v_dual_mov_b32 v125, v161 :: v_dual_mov_b32 v126, v162
	v_dual_mov_b32 v127, v163 :: v_dual_mov_b32 v128, v164
	v_dual_mov_b32 v129, v165 :: v_dual_mov_b32 v130, v166
	v_dual_mov_b32 v131, v167 :: v_dual_mov_b32 v132, v168
	v_dual_mov_b32 v133, v169 :: v_dual_mov_b32 v134, v170
	v_dual_mov_b32 v137, v149 :: v_dual_mov_b32 v138, v150
	v_dual_mov_b32 v139, v151 :: v_dual_mov_b32 v140, v152
	v_dual_mov_b32 v141, v153 :: v_dual_mov_b32 v142, v154
	v_dual_mov_b32 v143, v155 :: v_dual_mov_b32 v144, v156
	v_dual_mov_b32 v145, v157 :: v_dual_mov_b32 v146, v158
	v_dual_mov_b32 v1, v2 :: v_dual_mov_b32 v20, v19
	v_mov_b32_e32 v6, v5
.LBB299_73:
	s_or_b32 exec_lo, exec_lo, s2
	v_mov_b32_e32 v2, v45
	s_mov_b32 s2, exec_lo
	v_cmpx_lt_f32_e32 v1, v45
	s_cbranch_execz .LBB299_75
; %bb.74:
	v_mov_b32_e32 v140, v7
	v_dual_mov_b32 v128, v21 :: v_dual_mov_b32 v87, v135
	v_mov_b32_e32 v93, v141
	v_mov_b32_e32 v93, v6
	v_mov_b32_e32 v94, v142
	v_dual_mov_b32 v92, v140 :: v_dual_mov_b32 v95, v143
	v_dual_mov_b32 v96, v144 :: v_dual_mov_b32 v97, v145
	;; [unrolled: 1-line block ×42, first 2 shown]
	v_mov_b32_e32 v2, v1
.LBB299_75:
	s_or_b32 exec_lo, exec_lo, s2
	v_mov_b32_e32 v1, v46
	s_mov_b32 s2, exec_lo
	s_delay_alu instid0(VALU_DEP_2)
	v_cmpx_lt_f32_e32 v2, v46
	s_cbranch_execz .LBB299_77
; %bb.76:
	v_mov_b32_e32 v117, v8
	v_mov_b32_e32 v45, v46
	;; [unrolled: 1-line block ×4, first 2 shown]
	v_dual_mov_b32 v51, v111 :: v_dual_mov_b32 v54, v114
	v_dual_mov_b32 v56, v116 :: v_dual_mov_b32 v63, v99
	v_dual_mov_b32 v66, v102 :: v_dual_mov_b32 v53, v113
	v_dual_mov_b32 v58, v118 :: v_dual_mov_b32 v55, v115
	v_dual_mov_b32 v60, v120 :: v_dual_mov_b32 v57, v117
	v_dual_mov_b32 v62, v122 :: v_dual_mov_b32 v59, v119
	v_dual_mov_b32 v60, v10 :: v_dual_mov_b32 v61, v121
	v_mov_b32_e32 v58, v7
	v_dual_mov_b32 v67, v103 :: v_dual_mov_b32 v70, v106
	v_dual_mov_b32 v69, v105 :: v_dual_mov_b32 v72, v108
	v_dual_mov_b32 v71, v107 :: v_dual_mov_b32 v74, v110
	v_dual_mov_b32 v73, v109 :: v_dual_mov_b32 v72, v24
	v_dual_mov_b32 v75, v99 :: v_dual_mov_b32 v76, v100
	v_dual_mov_b32 v87, v111 :: v_dual_mov_b32 v88, v112
	v_dual_mov_b32 v52, v112 :: v_dual_mov_b32 v59, v9
	v_dual_mov_b32 v62, v12 :: v_dual_mov_b32 v61, v14
	v_dual_mov_b32 v64, v100 :: v_dual_mov_b32 v65, v101
	v_mov_b32_e32 v68, v104
	v_dual_mov_b32 v70, v21 :: v_dual_mov_b32 v71, v23
	v_dual_mov_b32 v73, v13 :: v_dual_mov_b32 v74, v26
	;; [unrolled: 10-line block ×3, first 2 shown]
	v_dual_mov_b32 v95, v119 :: v_dual_mov_b32 v96, v120
	v_dual_mov_b32 v97, v121 :: v_dual_mov_b32 v98, v122
.LBB299_77:
	s_or_b32 exec_lo, exec_lo, s2
	v_mov_b32_e32 v2, v47
	s_mov_b32 s2, exec_lo
	v_cmpx_lt_f32_e32 v1, v47
	s_cbranch_execz .LBB299_79
; %bb.78:
	v_dual_mov_b32 v83, v22 :: v_dual_mov_b32 v84, v24
	v_dual_mov_b32 v94, v9 :: v_dual_mov_b32 v95, v8
	;; [unrolled: 1-line block ×4, first 2 shown]
	v_mov_b32_e32 v86, v26
	v_dual_mov_b32 v46, v47 :: v_dual_mov_b32 v47, v1
	v_dual_mov_b32 v98, v12 :: v_dual_mov_b32 v63, v75
	;; [unrolled: 1-line block ×13, first 2 shown]
	v_mov_b32_e32 v62, v98
	v_mov_b32_e32 v2, v1
.LBB299_79:
	s_or_b32 exec_lo, exec_lo, s2
	s_delay_alu instid0(VALU_DEP_1)
	v_cmp_lt_f32_e32 vcc_lo, v2, v48
	v_dual_mov_b32 v1, v39 :: v_dual_mov_b32 v6, v44
	v_dual_mov_b32 v3, v41 :: v_dual_mov_b32 v8, v46
	s_waitcnt vmcnt(0)
	v_dual_cndmask_b32 v37, v72, v71 :: v_dual_mov_b32 v4, v42
	v_dual_cndmask_b32 v71, v71, v72 :: v_dual_cndmask_b32 v38, v60, v59
	v_dual_cndmask_b32 v59, v59, v60 :: v_dual_cndmask_b32 v10, v48, v2
	v_dual_cndmask_b32 v9, v47, v48 :: v_dual_mov_b32 v2, v40
	v_dual_mov_b32 v5, v43 :: v_dual_mov_b32 v12, v50
	v_mov_b32_e32 v7, v45
	v_mov_b32_e32 v11, v49
	s_mov_b32 s2, exec_lo
	v_cmpx_lt_f32_e32 v39, v40
	s_cbranch_execz .LBB299_81
; %bb.80:
	v_dual_mov_b32 v13, v2 :: v_dual_mov_b32 v14, v1
	v_dual_mov_b32 v15, v3 :: v_dual_mov_b32 v16, v4
	;; [unrolled: 1-line block ×6, first 2 shown]
	v_mov_b32_e32 v25, v63
	v_dual_mov_b32 v26, v51 :: v_dual_mov_b32 v1, v13
	v_swap_b32 v63, v64
	v_swap_b32 v51, v52
	v_dual_mov_b32 v2, v14 :: v_dual_mov_b32 v3, v15
	v_dual_mov_b32 v4, v16 :: v_dual_mov_b32 v5, v17
	;; [unrolled: 1-line block ×5, first 2 shown]
	v_mov_b32_e32 v12, v24
	v_mov_b32_e32 v40, v39
.LBB299_81:
	s_or_b32 exec_lo, exec_lo, s2
	v_mov_b32_e32 v60, v38
	v_dual_mov_b32 v72, v37 :: v_dual_mov_b32 v13, v51
	v_dual_mov_b32 v25, v63 :: v_dual_mov_b32 v98, v74
	;; [unrolled: 1-line block ×60, first 2 shown]
	s_mov_b32 s2, exec_lo
	v_dual_mov_b32 v96, v72 :: v_dual_mov_b32 v93, v69
	v_cmpx_lt_f32_e32 v40, v3
	s_cbranch_execz .LBB299_83
; %bb.82:
	v_dual_mov_b32 v134, v62 :: v_dual_mov_b32 v133, v61
	v_dual_mov_b32 v124, v52 :: v_dual_mov_b32 v123, v51
	v_mov_b32_e32 v124, v53
	v_dual_mov_b32 v128, v56 :: v_dual_mov_b32 v127, v55
	v_dual_mov_b32 v132, v60 :: v_dual_mov_b32 v131, v59
	;; [unrolled: 1-line block ×11, first 2 shown]
	v_mov_b32_e32 v141, v69
	v_dual_mov_b32 v136, v65 :: v_dual_mov_b32 v137, v64
	v_dual_mov_b32 v160, v124 :: v_dual_mov_b32 v159, v123
	;; [unrolled: 1-line block ×40, first 2 shown]
	v_mov_b32_e32 v22, v84
	v_dual_mov_b32 v22, v38 :: v_dual_mov_b32 v25, v87
	v_dual_mov_b32 v16, v78 :: v_dual_mov_b32 v19, v81
	;; [unrolled: 1-line block ×16, first 2 shown]
	v_mov_b32_e32 v35, v73
	v_dual_mov_b32 v34, v37 :: v_dual_mov_b32 v39, v40
	v_dual_mov_b32 v36, v74 :: v_dual_mov_b32 v65, v64
	v_mov_b32_e32 v53, v52
.LBB299_83:
	s_or_b32 exec_lo, exec_lo, s2
	v_mov_b32_e32 v40, v4
	s_mov_b32 s2, exec_lo
	v_cmpx_lt_f32_e32 v39, v4
	s_cbranch_execz .LBB299_85
; %bb.84:
	v_mov_b32_e32 v137, v66
	v_mov_b32_e32 v125, v54
	;; [unrolled: 1-line block ×4, first 2 shown]
	v_dual_mov_b32 v170, v134 :: v_dual_mov_b32 v169, v133
	v_dual_mov_b32 v168, v132 :: v_dual_mov_b32 v159, v123
	;; [unrolled: 1-line block ×9, first 2 shown]
	v_mov_b32_e32 v157, v145
	v_dual_mov_b32 v155, v143 :: v_dual_mov_b32 v152, v140
	v_mov_b32_e32 v162, v53
	v_mov_b32_e32 v149, v137
	v_dual_mov_b32 v150, v65 :: v_dual_mov_b32 v111, v159
	v_dual_mov_b32 v112, v160 :: v_dual_mov_b32 v99, v147
	;; [unrolled: 1-line block ×13, first 2 shown]
	v_mov_b32_e32 v115, v55
	v_dual_mov_b32 v87, v99 :: v_dual_mov_b32 v88, v100
	v_dual_mov_b32 v75, v111 :: v_dual_mov_b32 v78, v114
	;; [unrolled: 1-line block ×3, first 2 shown]
	s_delay_alu instid0(VALU_DEP_4)
	v_dual_mov_b32 v80, v116 :: v_dual_mov_b32 v79, v115
	v_dual_mov_b32 v82, v118 :: v_dual_mov_b32 v81, v117
	;; [unrolled: 1-line block ×6, first 2 shown]
	v_mov_b32_e32 v96, v108
	v_dual_mov_b32 v92, v104 :: v_dual_mov_b32 v93, v105
	v_dual_mov_b32 v98, v110 :: v_dual_mov_b32 v95, v107
	;; [unrolled: 1-line block ×21, first 2 shown]
	v_mov_b32_e32 v34, v37
	v_dual_mov_b32 v35, v73 :: v_dual_mov_b32 v36, v74
	v_mov_b32_e32 v40, v39
	v_mov_b32_e32 v66, v65
	;; [unrolled: 1-line block ×3, first 2 shown]
.LBB299_85:
	s_or_b32 exec_lo, exec_lo, s2
	v_mov_b32_e32 v39, v5
	s_mov_b32 s2, exec_lo
	v_cmpx_lt_f32_e32 v40, v5
	s_cbranch_execz .LBB299_87
; %bb.86:
	v_mov_b32_e32 v126, v55
	v_mov_b32_e32 v111, v123
	;; [unrolled: 1-line block ×3, first 2 shown]
	v_dual_mov_b32 v115, v54 :: v_dual_mov_b32 v116, v128
	v_dual_mov_b32 v138, v67 :: v_dual_mov_b32 v113, v125
	v_mov_b32_e32 v112, v124
	v_dual_mov_b32 v118, v130 :: v_dual_mov_b32 v119, v131
	v_dual_mov_b32 v120, v132 :: v_dual_mov_b32 v121, v133
	;; [unrolled: 1-line block ×24, first 2 shown]
	v_mov_b32_e32 v22, v84
	v_dual_mov_b32 v22, v38 :: v_dual_mov_b32 v25, v87
	v_dual_mov_b32 v16, v78 :: v_dual_mov_b32 v19, v81
	;; [unrolled: 1-line block ×18, first 2 shown]
	v_mov_b32_e32 v35, v73
	v_dual_mov_b32 v34, v37 :: v_dual_mov_b32 v155, v143
	v_dual_mov_b32 v36, v74 :: v_dual_mov_b32 v157, v145
	;; [unrolled: 1-line block ×12, first 2 shown]
	v_mov_b32_e32 v55, v54
.LBB299_87:
	s_or_b32 exec_lo, exec_lo, s2
	v_mov_b32_e32 v40, v6
	s_mov_b32 s2, exec_lo
	v_cmpx_lt_f32_e32 v39, v6
	s_cbranch_execz .LBB299_89
; %bb.88:
	v_mov_b32_e32 v163, v56
	v_dual_mov_b32 v75, v159 :: v_dual_mov_b32 v80, v164
	v_dual_mov_b32 v80, v55 :: v_dual_mov_b32 v81, v165
	;; [unrolled: 1-line block ×7, first 2 shown]
	v_mov_b32_e32 v85, v169
	v_dual_mov_b32 v89, v149 :: v_dual_mov_b32 v92, v152
	v_dual_mov_b32 v91, v151 :: v_dual_mov_b32 v94, v154
	v_dual_mov_b32 v93, v153 :: v_dual_mov_b32 v96, v156
	v_dual_mov_b32 v95, v155 :: v_dual_mov_b32 v98, v158
	v_dual_mov_b32 v97, v157 :: v_dual_mov_b32 v92, v67
	v_dual_mov_b32 v76, v160 :: v_dual_mov_b32 v5, v6
	v_mov_b32_e32 v88, v148
	v_mov_b32_e32 v6, v39
	s_delay_alu instid0(VALU_DEP_3) | instskip(NEXT) | instid1(VALU_DEP_3)
	v_dual_mov_b32 v13, v75 :: v_dual_mov_b32 v14, v76
	v_dual_mov_b32 v25, v87 :: v_dual_mov_b32 v26, v88
	;; [unrolled: 1-line block ×30, first 2 shown]
	v_mov_b32_e32 v40, v39
	v_mov_b32_e32 v68, v67
	;; [unrolled: 1-line block ×3, first 2 shown]
.LBB299_89:
	s_or_b32 exec_lo, exec_lo, s2
	v_mov_b32_e32 v39, v7
	s_mov_b32 s2, exec_lo
	v_cmpx_lt_f32_e32 v40, v7
	s_cbranch_execz .LBB299_91
; %bb.90:
	v_mov_b32_e32 v116, v57
	v_dual_mov_b32 v6, v7 :: v_dual_mov_b32 v7, v40
	v_dual_mov_b32 v104, v69 :: v_dual_mov_b32 v13, v111
	v_mov_b32_e32 v22, v120
	v_dual_mov_b32 v22, v38 :: v_dual_mov_b32 v25, v99
	v_mov_b32_e32 v34, v108
	v_dual_mov_b32 v34, v37 :: v_dual_mov_b32 v87, v99
	v_dual_mov_b32 v16, v114 :: v_dual_mov_b32 v19, v117
	;; [unrolled: 1-line block ×12, first 2 shown]
	v_mov_b32_e32 v23, v61
	v_dual_mov_b32 v21, v59 :: v_dual_mov_b32 v24, v62
	v_dual_mov_b32 v27, v101 :: v_dual_mov_b32 v26, v100
	;; [unrolled: 1-line block ×3, first 2 shown]
	v_mov_b32_e32 v35, v73
	v_dual_mov_b32 v33, v71 :: v_dual_mov_b32 v36, v74
	v_dual_mov_b32 v89, v101 :: v_dual_mov_b32 v88, v100
	;; [unrolled: 1-line block ×9, first 2 shown]
	v_mov_b32_e32 v39, v40
	v_mov_b32_e32 v69, v68
	v_dual_mov_b32 v57, v56 :: v_dual_mov_b32 v94, v106
	v_dual_mov_b32 v97, v109 :: v_dual_mov_b32 v82, v118
	;; [unrolled: 1-line block ×3, first 2 shown]
.LBB299_91:
	s_or_b32 exec_lo, exec_lo, s2
	v_mov_b32_e32 v40, v8
	s_mov_b32 s2, exec_lo
	v_cmpx_lt_f32_e32 v39, v8
	s_cbranch_execz .LBB299_93
; %bb.92:
	v_dual_mov_b32 v81, v58 :: v_dual_mov_b32 v82, v57
	v_dual_mov_b32 v83, v59 :: v_dual_mov_b32 v84, v38
	;; [unrolled: 1-line block ×19, first 2 shown]
	v_mov_b32_e32 v40, v39
.LBB299_93:
	s_or_b32 exec_lo, exec_lo, s2
	s_delay_alu instid0(VALU_DEP_1)
	v_cmp_lt_f32_e32 vcc_lo, v40, v9
	v_dual_mov_b32 v38, v2 :: v_dual_mov_b32 v41, v5
	v_dual_mov_b32 v42, v6 :: v_dual_mov_b32 v47, v11
	v_dual_cndmask_b32 v145, v33, v32 :: v_dual_cndmask_b32 v32, v32, v33
	v_dual_cndmask_b32 v146, v21, v20 :: v_dual_mov_b32 v39, v3
	v_dual_cndmask_b32 v20, v20, v21 :: v_dual_cndmask_b32 v45, v9, v40
	v_dual_cndmask_b32 v44, v8, v9 :: v_dual_mov_b32 v37, v1
	v_dual_mov_b32 v40, v4 :: v_dual_mov_b32 v43, v7
	v_mov_b32_e32 v46, v10
	v_mov_b32_e32 v48, v12
	s_mov_b32 s2, exec_lo
	v_cmpx_lt_f32_e32 v1, v2
	s_cbranch_execz .LBB299_95
; %bb.94:
	v_dual_mov_b32 v49, v38 :: v_dual_mov_b32 v50, v37
	v_dual_mov_b32 v51, v39 :: v_dual_mov_b32 v52, v40
	;; [unrolled: 1-line block ×6, first 2 shown]
	v_mov_b32_e32 v3, v25
	v_mov_b32_e32 v4, v13
	v_dual_mov_b32 v37, v49 :: v_dual_mov_b32 v40, v52
	v_swap_b32 v25, v26
	v_swap_b32 v13, v14
	v_dual_mov_b32 v38, v50 :: v_dual_mov_b32 v39, v51
	v_dual_mov_b32 v41, v53 :: v_dual_mov_b32 v42, v54
	;; [unrolled: 1-line block ×5, first 2 shown]
	v_mov_b32_e32 v2, v1
.LBB299_95:
	s_or_b32 exec_lo, exec_lo, s2
	v_mov_b32_e32 v21, v146
	v_dual_mov_b32 v33, v145 :: v_dual_mov_b32 v60, v24
	v_dual_mov_b32 v72, v36 :: v_dual_mov_b32 v61, v25
	;; [unrolled: 1-line block ×43, first 2 shown]
	v_mov_b32_e32 v97, v13
	v_mov_b32_e32 v1, v39
	s_mov_b32 s2, exec_lo
	v_dual_mov_b32 v95, v35 :: v_dual_mov_b32 v94, v34
	v_dual_mov_b32 v93, v33 :: v_dual_mov_b32 v92, v32
	;; [unrolled: 1-line block ×5, first 2 shown]
	v_cmpx_lt_f32_e32 v2, v39
	s_cbranch_execz .LBB299_97
; %bb.96:
	v_dual_mov_b32 v108, v24 :: v_dual_mov_b32 v107, v23
	v_dual_mov_b32 v98, v14 :: v_dual_mov_b32 v97, v13
	v_mov_b32_e32 v98, v15
	v_dual_mov_b32 v104, v20 :: v_dual_mov_b32 v103, v19
	v_dual_mov_b32 v100, v16 :: v_dual_mov_b32 v99, v15
	;; [unrolled: 1-line block ×26, first 2 shown]
	v_mov_b32_e32 v84, v144
	v_dual_mov_b32 v74, v134 :: v_dual_mov_b32 v77, v137
	v_mov_b32_e32 v75, v135
	v_dual_mov_b32 v38, v39 :: v_dual_mov_b32 v85, v121
	v_dual_mov_b32 v76, v136 :: v_dual_mov_b32 v79, v139
	;; [unrolled: 1-line block ×10, first 2 shown]
	v_mov_b32_e32 v39, v2
	v_dual_mov_b32 v49, v73 :: v_dual_mov_b32 v50, v74
	v_dual_mov_b32 v59, v83 :: v_dual_mov_b32 v60, v84
	;; [unrolled: 1-line block ×18, first 2 shown]
	v_mov_b32_e32 v70, v34
	v_dual_mov_b32 v72, v36 :: v_dual_mov_b32 v1, v2
	v_mov_b32_e32 v27, v26
	v_mov_b32_e32 v15, v14
.LBB299_97:
	s_or_b32 exec_lo, exec_lo, s2
	v_mov_b32_e32 v2, v40
	s_mov_b32 s2, exec_lo
	v_cmpx_lt_f32_e32 v1, v40
	s_cbranch_execz .LBB299_99
; %bb.98:
	v_mov_b32_e32 v99, v16
	v_mov_b32_e32 v144, v108
	;; [unrolled: 1-line block ×3, first 2 shown]
	v_dual_mov_b32 v136, v15 :: v_dual_mov_b32 v111, v28
	v_dual_mov_b32 v142, v106 :: v_dual_mov_b32 v133, v97
	;; [unrolled: 1-line block ×4, first 2 shown]
	v_mov_b32_e32 v135, v99
	v_dual_mov_b32 v125, v113 :: v_dual_mov_b32 v124, v112
	v_mov_b32_e32 v143, v107
	v_dual_mov_b32 v141, v105 :: v_dual_mov_b32 v140, v104
	v_dual_mov_b32 v139, v103 :: v_dual_mov_b32 v138, v102
	;; [unrolled: 1-line block ×18, first 2 shown]
	v_mov_b32_e32 v95, v131
	v_dual_mov_b32 v89, v29 :: v_dual_mov_b32 v88, v124
	v_dual_mov_b32 v49, v73 :: v_dual_mov_b32 v54, v78
	v_mov_b32_e32 v50, v74
	v_dual_mov_b32 v52, v76 :: v_dual_mov_b32 v61, v85
	s_delay_alu instid0(VALU_DEP_4)
	v_dual_mov_b32 v64, v88 :: v_dual_mov_b32 v51, v75
	v_dual_mov_b32 v56, v80 :: v_dual_mov_b32 v53, v77
	;; [unrolled: 1-line block ×12, first 2 shown]
	v_mov_b32_e32 v58, v22
	v_dual_mov_b32 v57, v146 :: v_dual_mov_b32 v60, v24
	v_dual_mov_b32 v59, v23 :: v_dual_mov_b32 v62, v86
	;; [unrolled: 1-line block ×5, first 2 shown]
	v_mov_b32_e32 v2, v1
	v_mov_b32_e32 v28, v27
	v_mov_b32_e32 v16, v15
.LBB299_99:
	s_or_b32 exec_lo, exec_lo, s2
	v_mov_b32_e32 v1, v41
	s_mov_b32 s2, exec_lo
	v_cmpx_lt_f32_e32 v2, v41
	s_cbranch_execz .LBB299_101
; %bb.100:
	v_mov_b32_e32 v100, v17
	v_mov_b32_e32 v73, v97
	;; [unrolled: 1-line block ×3, first 2 shown]
	v_dual_mov_b32 v77, v16 :: v_dual_mov_b32 v78, v102
	v_dual_mov_b32 v112, v29 :: v_dual_mov_b32 v75, v99
	;; [unrolled: 1-line block ×3, first 2 shown]
	v_mov_b32_e32 v84, v108
	v_dual_mov_b32 v74, v98 :: v_dual_mov_b32 v85, v109
	v_mov_b32_e32 v86, v110
	v_dual_mov_b32 v76, v100 :: v_dual_mov_b32 v79, v103
	v_dual_mov_b32 v80, v104 :: v_dual_mov_b32 v81, v105
	;; [unrolled: 1-line block ×8, first 2 shown]
	v_mov_b32_e32 v49, v73
	v_dual_mov_b32 v89, v28 :: v_dual_mov_b32 v50, v74
	v_dual_mov_b32 v59, v83 :: v_dual_mov_b32 v60, v84
	;; [unrolled: 1-line block ×32, first 2 shown]
	v_mov_b32_e32 v17, v16
.LBB299_101:
	s_or_b32 exec_lo, exec_lo, s2
	v_mov_b32_e32 v2, v42
	s_mov_b32 s2, exec_lo
	v_cmpx_lt_f32_e32 v1, v42
	s_cbranch_execz .LBB299_103
; %bb.102:
	v_mov_b32_e32 v137, v18
	v_mov_b32_e32 v125, v30
	v_dual_mov_b32 v41, v42 :: v_dual_mov_b32 v42, v1
	v_dual_mov_b32 v49, v133 :: v_dual_mov_b32 v50, v134
	;; [unrolled: 1-line block ×13, first 2 shown]
	v_mov_b32_e32 v66, v29
	v_dual_mov_b32 v85, v121 :: v_dual_mov_b32 v86, v122
	v_dual_mov_b32 v73, v133 :: v_dual_mov_b32 v74, v134
	;; [unrolled: 1-line block ×4, first 2 shown]
	v_mov_b32_e32 v64, v124
	v_dual_mov_b32 v58, v22 :: v_dual_mov_b32 v59, v23
	v_dual_mov_b32 v67, v31 :: v_dual_mov_b32 v68, v32
	;; [unrolled: 1-line block ×8, first 2 shown]
	v_mov_b32_e32 v2, v1
	v_mov_b32_e32 v30, v29
	v_dual_mov_b32 v18, v17 :: v_dual_mov_b32 v91, v127
	v_dual_mov_b32 v92, v128 :: v_dual_mov_b32 v93, v129
	;; [unrolled: 1-line block ×6, first 2 shown]
	v_mov_b32_e32 v84, v144
.LBB299_103:
	s_or_b32 exec_lo, exec_lo, s2
	v_mov_b32_e32 v1, v43
	s_mov_b32 s2, exec_lo
	v_cmpx_lt_f32_e32 v2, v43
	s_cbranch_execz .LBB299_105
; %bb.104:
	v_dual_mov_b32 v94, v34 :: v_dual_mov_b32 v95, v35
	v_dual_mov_b32 v78, v19 :: v_dual_mov_b32 v79, v18
	;; [unrolled: 1-line block ×6, first 2 shown]
	v_mov_b32_e32 v96, v36
	v_dual_mov_b32 v42, v43 :: v_dual_mov_b32 v43, v2
	v_dual_mov_b32 v84, v24 :: v_dual_mov_b32 v61, v85
	;; [unrolled: 1-line block ×14, first 2 shown]
.LBB299_105:
	s_or_b32 exec_lo, exec_lo, s2
	s_delay_alu instid0(VALU_DEP_1)
	v_cmp_lt_f32_e32 vcc_lo, v1, v44
	v_dual_mov_b32 v3, v39 :: v_dual_mov_b32 v10, v46
	v_dual_mov_b32 v5, v41 :: v_dual_mov_b32 v12, v48
	v_dual_cndmask_b32 v121, v68, v67 :: v_dual_mov_b32 v2, v38
	v_dual_cndmask_b32 v67, v67, v68 :: v_dual_cndmask_b32 v122, v56, v55
	v_dual_cndmask_b32 v55, v55, v56 :: v_dual_cndmask_b32 v8, v44, v1
	v_dual_cndmask_b32 v7, v43, v44 :: v_dual_mov_b32 v4, v40
	v_dual_mov_b32 v1, v37 :: v_dual_mov_b32 v6, v42
	v_mov_b32_e32 v9, v45
	v_mov_b32_e32 v11, v47
	s_mov_b32 s2, exec_lo
	v_cmpx_lt_f32_e32 v37, v38
	s_cbranch_execz .LBB299_107
; %bb.106:
	v_dual_mov_b32 v13, v2 :: v_dual_mov_b32 v14, v1
	v_dual_mov_b32 v15, v3 :: v_dual_mov_b32 v16, v4
	;; [unrolled: 1-line block ×6, first 2 shown]
	v_mov_b32_e32 v25, v61
	v_mov_b32_e32 v26, v49
	v_dual_mov_b32 v1, v13 :: v_dual_mov_b32 v4, v16
	v_swap_b32 v61, v62
	v_swap_b32 v49, v50
	v_dual_mov_b32 v2, v14 :: v_dual_mov_b32 v3, v15
	v_dual_mov_b32 v5, v17 :: v_dual_mov_b32 v6, v18
	;; [unrolled: 1-line block ×5, first 2 shown]
	v_mov_b32_e32 v38, v37
.LBB299_107:
	s_or_b32 exec_lo, exec_lo, s2
	v_mov_b32_e32 v56, v122
	v_mov_b32_e32 v68, v121
	;; [unrolled: 1-line block ×3, first 2 shown]
	v_dual_mov_b32 v27, v51 :: v_dual_mov_b32 v84, v72
	v_mov_b32_e32 v81, v69
	v_dual_mov_b32 v83, v71 :: v_dual_mov_b32 v96, v60
	v_dual_mov_b32 v91, v55 :: v_dual_mov_b32 v120, v72
	v_dual_mov_b32 v117, v69 :: v_dual_mov_b32 v108, v72
	v_dual_mov_b32 v105, v69 :: v_dual_mov_b32 v88, v52
	v_dual_mov_b32 v13, v49 :: v_dual_mov_b32 v82, v70
	v_dual_mov_b32 v79, v67 :: v_dual_mov_b32 v80, v68
	v_dual_mov_b32 v77, v65 :: v_dual_mov_b32 v78, v66
	v_dual_mov_b32 v75, v63 :: v_dual_mov_b32 v76, v64
	v_dual_mov_b32 v73, v61 :: v_dual_mov_b32 v74, v62
	v_dual_mov_b32 v119, v71 :: v_dual_mov_b32 v114, v66
	v_dual_mov_b32 v111, v63 :: v_dual_mov_b32 v112, v64
	v_dual_mov_b32 v109, v61 :: v_dual_mov_b32 v110, v62
	v_dual_mov_b32 v107, v71 :: v_dual_mov_b32 v106, v70
	v_dual_mov_b32 v103, v67 :: v_dual_mov_b32 v104, v68
	v_dual_mov_b32 v101, v65 :: v_dual_mov_b32 v102, v66
	v_dual_mov_b32 v99, v63 :: v_dual_mov_b32 v100, v64
	v_dual_mov_b32 v97, v61 :: v_dual_mov_b32 v98, v62
	v_dual_mov_b32 v29, v53 :: v_dual_mov_b32 v26, v50
	v_dual_mov_b32 v28, v52 :: v_dual_mov_b32 v31, v55
	v_dual_mov_b32 v30, v54 :: v_dual_mov_b32 v33, v57
	v_dual_mov_b32 v32, v56 :: v_dual_mov_b32 v35, v59
	v_dual_mov_b32 v34, v58 :: v_dual_mov_b32 v95, v59
	v_dual_mov_b32 v36, v60 :: v_dual_mov_b32 v93, v57
	v_dual_mov_b32 v92, v56 :: v_dual_mov_b32 v87, v51
	v_dual_mov_b32 v90, v54 :: v_dual_mov_b32 v85, v49
	v_dual_mov_b32 v86, v50 :: v_dual_mov_b32 v15, v51
	v_dual_mov_b32 v14, v50 :: v_dual_mov_b32 v17, v53
	v_dual_mov_b32 v16, v52 :: v_dual_mov_b32 v19, v55
	v_dual_mov_b32 v18, v54 :: v_dual_mov_b32 v21, v57
	v_dual_mov_b32 v20, v56 :: v_dual_mov_b32 v23, v59
	v_dual_mov_b32 v22, v58 :: v_dual_mov_b32 v37, v3
	v_mov_b32_e32 v24, v60
	s_mov_b32 s2, exec_lo
	v_dual_mov_b32 v118, v70 :: v_dual_mov_b32 v115, v67
	v_dual_mov_b32 v116, v68 :: v_dual_mov_b32 v113, v65
	;; [unrolled: 1-line block ×3, first 2 shown]
	v_cmpx_lt_f32_e32 v38, v3
	s_cbranch_execz .LBB299_109
; %bb.108:
	v_dual_mov_b32 v13, v49 :: v_dual_mov_b32 v14, v50
	v_dual_mov_b32 v23, v59 :: v_dual_mov_b32 v24, v60
	;; [unrolled: 1-line block ×30, first 2 shown]
	v_mov_b32_e32 v112, v64
	v_dual_mov_b32 v34, v94 :: v_dual_mov_b32 v35, v95
	v_dual_mov_b32 v35, v59 :: v_dual_mov_b32 v34, v58
	;; [unrolled: 1-line block ×15, first 2 shown]
	v_mov_b32_e32 v81, v69
	v_dual_mov_b32 v80, v121 :: v_dual_mov_b32 v83, v71
	v_mov_b32_e32 v82, v70
	v_dual_mov_b32 v84, v72 :: v_dual_mov_b32 v37, v38
	v_mov_b32_e32 v63, v62
	v_mov_b32_e32 v51, v50
.LBB299_109:
	s_or_b32 exec_lo, exec_lo, s2
	v_mov_b32_e32 v38, v4
	s_mov_b32 s2, exec_lo
	v_cmpx_lt_f32_e32 v37, v4
	s_cbranch_execz .LBB299_111
; %bb.110:
	v_mov_b32_e32 v15, v52
	v_mov_b32_e32 v96, v24
	;; [unrolled: 1-line block ×3, first 2 shown]
	v_dual_mov_b32 v88, v51 :: v_dual_mov_b32 v99, v64
	v_dual_mov_b32 v94, v22 :: v_dual_mov_b32 v85, v13
	v_dual_mov_b32 v120, v108 :: v_dual_mov_b32 v109, v97
	v_mov_b32_e32 v95, v23
	v_dual_mov_b32 v93, v21 :: v_dual_mov_b32 v92, v20
	v_dual_mov_b32 v91, v19 :: v_dual_mov_b32 v90, v18
	;; [unrolled: 1-line block ×7, first 2 shown]
	v_mov_b32_e32 v87, v15
	v_dual_mov_b32 v111, v99 :: v_dual_mov_b32 v110, v98
	v_dual_mov_b32 v112, v63 :: v_dual_mov_b32 v25, v85
	;; [unrolled: 1-line block ×3, first 2 shown]
	s_delay_alu instid0(VALU_DEP_3)
	v_dual_mov_b32 v74, v110 :: v_dual_mov_b32 v29, v89
	v_dual_mov_b32 v30, v90 :: v_dual_mov_b32 v31, v91
	;; [unrolled: 1-line block ×8, first 2 shown]
	v_mov_b32_e32 v84, v120
	v_dual_mov_b32 v3, v4 :: v_dual_mov_b32 v4, v37
	v_dual_mov_b32 v27, v87 :: v_dual_mov_b32 v28, v88
	;; [unrolled: 1-line block ×11, first 2 shown]
	v_mov_b32_e32 v38, v37
	v_mov_b32_e32 v64, v63
	;; [unrolled: 1-line block ×3, first 2 shown]
.LBB299_111:
	s_or_b32 exec_lo, exec_lo, s2
	v_mov_b32_e32 v16, v5
	s_mov_b32 s2, exec_lo
	v_cmpx_lt_f32_e32 v38, v5
	s_cbranch_execz .LBB299_113
; %bb.112:
	v_mov_b32_e32 v100, v65
	v_mov_b32_e32 v16, v53
	v_dual_mov_b32 v4, v5 :: v_dual_mov_b32 v5, v38
	v_dual_mov_b32 v36, v24 :: v_dual_mov_b32 v33, v21
	;; [unrolled: 1-line block ×3, first 2 shown]
	v_mov_b32_e32 v31, v19
	v_dual_mov_b32 v35, v59 :: v_dual_mov_b32 v34, v58
	v_dual_mov_b32 v73, v97 :: v_dual_mov_b32 v32, v20
	;; [unrolled: 1-line block ×8, first 2 shown]
	v_mov_b32_e32 v77, v64
	v_dual_mov_b32 v84, v108 :: v_dual_mov_b32 v79, v67
	v_dual_mov_b32 v120, v108 :: v_dual_mov_b32 v115, v103
	;; [unrolled: 1-line block ×19, first 2 shown]
	v_mov_b32_e32 v88, v16
	v_dual_mov_b32 v86, v14 :: v_dual_mov_b32 v65, v64
	v_dual_mov_b32 v16, v38 :: v_dual_mov_b32 v53, v52
	;; [unrolled: 1-line block ×3, first 2 shown]
.LBB299_113:
	s_or_b32 exec_lo, exec_lo, s2
	v_mov_b32_e32 v13, v6
	s_mov_b32 s2, exec_lo
	v_cmpx_lt_f32_e32 v16, v6
	s_cbranch_execz .LBB299_115
; %bb.114:
	v_dual_mov_b32 v89, v54 :: v_dual_mov_b32 v90, v53
	v_dual_mov_b32 v91, v55 :: v_dual_mov_b32 v92, v122
	;; [unrolled: 1-line block ×21, first 2 shown]
	v_mov_b32_e32 v13, v16
.LBB299_115:
	s_or_b32 exec_lo, exec_lo, s2
	s_delay_alu instid0(VALU_DEP_1)
	v_cmp_lt_f32_e32 vcc_lo, v13, v7
	v_dual_mov_b32 v14, v2 :: v_dual_mov_b32 v17, v5
	v_dual_mov_b32 v16, v4 :: v_dual_mov_b32 v21, v9
	v_dual_cndmask_b32 v37, v79, v78 :: v_dual_cndmask_b32 v78, v78, v79
	v_cndmask_b32_e32 v38, v31, v30, vcc_lo
	v_dual_cndmask_b32 v30, v30, v31 :: v_dual_cndmask_b32 v19, v7, v13
	v_dual_cndmask_b32 v18, v6, v7 :: v_dual_mov_b32 v15, v3
	v_dual_mov_b32 v13, v1 :: v_dual_mov_b32 v20, v8
	v_dual_mov_b32 v23, v11 :: v_dual_mov_b32 v22, v10
	v_mov_b32_e32 v24, v12
	s_mov_b32 s2, exec_lo
	v_cmpx_lt_f32_e32 v1, v2
	s_cbranch_execz .LBB299_117
; %bb.116:
	v_dual_mov_b32 v2, v14 :: v_dual_mov_b32 v3, v13
	v_dual_mov_b32 v12, v23 :: v_dual_mov_b32 v13, v24
	;; [unrolled: 1-line block ×6, first 2 shown]
	v_mov_b32_e32 v24, v13
	v_mov_b32_e32 v31, v73
	v_dual_mov_b32 v39, v25 :: v_dual_mov_b32 v18, v7
	v_swap_b32 v73, v74
	v_swap_b32 v25, v26
	v_dual_mov_b32 v23, v12 :: v_dual_mov_b32 v20, v9
	v_dual_mov_b32 v22, v11 :: v_dual_mov_b32 v21, v10
	;; [unrolled: 1-line block ×4, first 2 shown]
	v_mov_b32_e32 v15, v4
	v_dual_mov_b32 v13, v2 :: v_dual_mov_b32 v2, v1
.LBB299_117:
	s_or_b32 exec_lo, exec_lo, s2
	v_mov_b32_e32 v31, v38
	v_dual_mov_b32 v79, v37 :: v_dual_mov_b32 v50, v36
	v_dual_mov_b32 v51, v73 :: v_dual_mov_b32 v52, v74
	;; [unrolled: 1-line block ×24, first 2 shown]
	v_mov_b32_e32 v85, v25
	v_mov_b32_e32 v1, v15
	s_mov_b32 s2, exec_lo
	v_cmpx_lt_f32_e32 v2, v15
	s_cbranch_execz .LBB299_119
; %bb.118:
	v_dual_mov_b32 v96, v36 :: v_dual_mov_b32 v95, v35
	v_dual_mov_b32 v86, v26 :: v_dual_mov_b32 v85, v25
	;; [unrolled: 1-line block ×8, first 2 shown]
	v_mov_b32_e32 v105, v81
	v_dual_mov_b32 v43, v89 :: v_dual_mov_b32 v44, v90
	v_dual_mov_b32 v100, v76 :: v_dual_mov_b32 v97, v73
	;; [unrolled: 1-line block ×6, first 2 shown]
	v_mov_b32_e32 v98, v74
	v_dual_mov_b32 v98, v75 :: v_dual_mov_b32 v99, v74
	v_dual_mov_b32 v49, v95 :: v_dual_mov_b32 v50, v96
	;; [unrolled: 1-line block ×12, first 2 shown]
	v_mov_b32_e32 v40, v86
	v_dual_mov_b32 v42, v28 :: v_dual_mov_b32 v43, v29
	v_dual_mov_b32 v45, v38 :: v_dual_mov_b32 v46, v32
	;; [unrolled: 1-line block ×9, first 2 shown]
	v_mov_b32_e32 v75, v74
	v_mov_b32_e32 v27, v26
.LBB299_119:
	s_or_b32 exec_lo, exec_lo, s2
	v_mov_b32_e32 v2, v16
	s_mov_b32 s2, exec_lo
	v_cmpx_lt_f32_e32 v1, v16
	s_cbranch_execz .LBB299_121
; %bb.120:
	v_mov_b32_e32 v87, v28
	v_mov_b32_e32 v99, v76
	v_dual_mov_b32 v15, v16 :: v_dual_mov_b32 v16, v1
	v_dual_mov_b32 v39, v85 :: v_dual_mov_b32 v42, v88
	;; [unrolled: 1-line block ×13, first 2 shown]
	v_mov_b32_e32 v56, v78
	v_mov_b32_e32 v40, v86
	v_dual_mov_b32 v42, v27 :: v_dual_mov_b32 v43, v29
	v_dual_mov_b32 v45, v38 :: v_dual_mov_b32 v46, v32
	;; [unrolled: 1-line block ×8, first 2 shown]
	v_mov_b32_e32 v2, v1
	v_mov_b32_e32 v76, v75
	;; [unrolled: 1-line block ×3, first 2 shown]
.LBB299_121:
	s_or_b32 exec_lo, exec_lo, s2
	v_mov_b32_e32 v1, v17
	s_mov_b32 s2, exec_lo
	v_cmpx_lt_f32_e32 v2, v17
	s_cbranch_execz .LBB299_123
; %bb.122:
	v_dual_mov_b32 v106, v82 :: v_dual_mov_b32 v107, v83
	v_dual_mov_b32 v88, v29 :: v_dual_mov_b32 v89, v28
	;; [unrolled: 1-line block ×8, first 2 shown]
	v_mov_b32_e32 v108, v84
	v_dual_mov_b32 v16, v17 :: v_dual_mov_b32 v17, v2
	v_dual_mov_b32 v96, v36 :: v_dual_mov_b32 v51, v97
	v_dual_mov_b32 v60, v106 :: v_dual_mov_b32 v39, v85
	v_dual_mov_b32 v52, v98 :: v_dual_mov_b32 v55, v101
	v_dual_mov_b32 v53, v99 :: v_dual_mov_b32 v54, v100
	v_dual_mov_b32 v57, v103 :: v_dual_mov_b32 v56, v102
	v_dual_mov_b32 v59, v105 :: v_dual_mov_b32 v58, v104
	v_dual_mov_b32 v61, v107 :: v_dual_mov_b32 v62, v108
	v_dual_mov_b32 v41, v87 :: v_dual_mov_b32 v40, v86
	v_dual_mov_b32 v43, v89 :: v_dual_mov_b32 v42, v88
	v_dual_mov_b32 v45, v91 :: v_dual_mov_b32 v44, v90
	v_dual_mov_b32 v47, v93 :: v_dual_mov_b32 v46, v92
	v_dual_mov_b32 v49, v95 :: v_dual_mov_b32 v48, v94
	v_dual_mov_b32 v50, v96 :: v_dual_mov_b32 v1, v2
.LBB299_123:
	s_or_b32 exec_lo, exec_lo, s2
	s_delay_alu instid0(VALU_DEP_1)
	v_cmp_lt_f32_e32 vcc_lo, v1, v18
	v_dual_mov_b32 v27, v13 :: v_dual_mov_b32 v34, v20
	v_dual_mov_b32 v29, v15 :: v_dual_mov_b32 v36, v22
	v_dual_cndmask_b32 v63, v56, v55 :: v_dual_cndmask_b32 v32, v18, v1
	v_dual_cndmask_b32 v55, v55, v56 :: v_dual_cndmask_b32 v64, v44, v43
	v_dual_cndmask_b32 v43, v43, v44 :: v_dual_mov_b32 v28, v14
	v_dual_cndmask_b32 v31, v17, v18 :: v_dual_mov_b32 v30, v16
	v_dual_mov_b32 v33, v19 :: v_dual_mov_b32 v38, v24
	v_mov_b32_e32 v35, v21
	v_mov_b32_e32 v37, v23
	s_mov_b32 s2, exec_lo
	v_cmpx_lt_f32_e32 v13, v14
	s_cbranch_execz .LBB299_125
; %bb.124:
	s_delay_alu instid0(VALU_DEP_2)
	v_dual_mov_b32 v11, v37 :: v_dual_mov_b32 v12, v38
	v_dual_mov_b32 v1, v28 :: v_dual_mov_b32 v2, v27
	;; [unrolled: 1-line block ×7, first 2 shown]
	s_delay_alu instid0(VALU_DEP_2)
	v_dual_mov_b32 v16, v39 :: v_dual_mov_b32 v35, v9
	v_swap_b32 v51, v52
	v_swap_b32 v39, v40
	v_dual_mov_b32 v37, v11 :: v_dual_mov_b32 v36, v10
	v_dual_mov_b32 v34, v8 :: v_dual_mov_b32 v33, v7
	;; [unrolled: 1-line block ×5, first 2 shown]
	v_mov_b32_e32 v14, v13
.LBB299_125:
	s_or_b32 exec_lo, exec_lo, s2
	v_mov_b32_e32 v44, v64
	v_mov_b32_e32 v56, v63
	;; [unrolled: 1-line block ×4, first 2 shown]
	v_dual_mov_b32 v15, v51 :: v_dual_mov_b32 v2, v40
	v_dual_mov_b32 v16, v52 :: v_dual_mov_b32 v17, v53
	;; [unrolled: 1-line block ×11, first 2 shown]
	v_mov_b32_e32 v12, v50
	s_mov_b32 s2, exec_lo
	v_cmpx_lt_f32_e32 v14, v29
	s_cbranch_execz .LBB299_127
; %bb.126:
	v_dual_mov_b32 v1, v39 :: v_dual_mov_b32 v2, v40
	v_dual_mov_b32 v11, v49 :: v_dual_mov_b32 v12, v50
	;; [unrolled: 1-line block ×25, first 2 shown]
	v_mov_b32_e32 v41, v40
.LBB299_127:
	s_or_b32 exec_lo, exec_lo, s2
	v_mov_b32_e32 v39, v30
	s_mov_b32 s2, exec_lo
	v_cmpx_lt_f32_e32 v13, v30
	s_cbranch_execz .LBB299_129
; %bb.128:
	v_dual_mov_b32 v29, v30 :: v_dual_mov_b32 v30, v13
	v_dual_mov_b32 v3, v42 :: v_dual_mov_b32 v4, v41
	v_dual_mov_b32 v5, v43 :: v_dual_mov_b32 v6, v64
	v_dual_mov_b32 v7, v45 :: v_dual_mov_b32 v8, v46
	v_dual_mov_b32 v9, v47 :: v_dual_mov_b32 v10, v48
	v_dual_mov_b32 v11, v49 :: v_dual_mov_b32 v12, v50
	v_dual_mov_b32 v17, v54 :: v_dual_mov_b32 v18, v53
	v_dual_mov_b32 v19, v55 :: v_dual_mov_b32 v22, v58
	v_dual_mov_b32 v20, v63 :: v_dual_mov_b32 v21, v57
	v_dual_mov_b32 v23, v59 :: v_dual_mov_b32 v24, v60
	v_dual_mov_b32 v25, v61 :: v_dual_mov_b32 v26, v62
	v_mov_b32_e32 v39, v13
.LBB299_129:
	s_or_b32 exec_lo, exec_lo, s2
	s_delay_alu instid0(VALU_DEP_1)
	v_cmp_lt_f32_e32 vcc_lo, v39, v31
	v_dual_mov_b32 v40, v28 :: v_dual_mov_b32 v45, v33
	v_dual_mov_b32 v44, v32 :: v_dual_mov_b32 v47, v35
	v_dual_cndmask_b32 v13, v19, v18 :: v_dual_cndmask_b32 v18, v18, v19
	v_dual_cndmask_b32 v14, v5, v4 :: v_dual_cndmask_b32 v43, v31, v39
	v_dual_cndmask_b32 v4, v4, v5 :: v_dual_mov_b32 v39, v27
	v_dual_cndmask_b32 v42, v30, v31 :: v_dual_mov_b32 v41, v29
	v_dual_mov_b32 v46, v34 :: v_dual_mov_b32 v49, v37
	v_mov_b32_e32 v48, v36
	v_mov_b32_e32 v50, v38
	s_mov_b32 s2, exec_lo
	v_cmpx_lt_f32_e32 v27, v28
	s_cbranch_execz .LBB299_131
; %bb.130:
	v_dual_mov_b32 v28, v40 :: v_dual_mov_b32 v29, v39
	v_dual_mov_b32 v38, v49 :: v_dual_mov_b32 v39, v50
	;; [unrolled: 1-line block ×7, first 2 shown]
	v_mov_b32_e32 v5, v15
	v_swap_b32 v15, v16
	s_delay_alu instid0(VALU_DEP_4)
	v_mov_b32_e32 v48, v37
	v_swap_b32 v1, v2
	v_dual_mov_b32 v49, v38 :: v_dual_mov_b32 v46, v35
	v_dual_mov_b32 v47, v36 :: v_dual_mov_b32 v44, v33
	;; [unrolled: 1-line block ×4, first 2 shown]
	v_mov_b32_e32 v41, v30
	v_dual_mov_b32 v39, v28 :: v_dual_mov_b32 v28, v27
.LBB299_131:
	s_or_b32 exec_lo, exec_lo, s2
	v_mov_b32_e32 v5, v14
	v_mov_b32_e32 v19, v13
	;; [unrolled: 1-line block ×3, first 2 shown]
	s_mov_b32 s2, exec_lo
	v_cmpx_lt_f32_e32 v28, v41
	s_cbranch_execz .LBB299_133
; %bb.132:
	v_dual_mov_b32 v74, v26 :: v_dual_mov_b32 v73, v25
	v_dual_mov_b32 v62, v12 :: v_dual_mov_b32 v61, v11
	;; [unrolled: 1-line block ×22, first 2 shown]
	v_mov_b32_e32 v74, v26
	v_dual_mov_b32 v40, v41 :: v_dual_mov_b32 v41, v28
	v_dual_mov_b32 v62, v12 :: v_dual_mov_b32 v15, v63
	;; [unrolled: 1-line block ×14, first 2 shown]
.LBB299_133:
	s_or_b32 exec_lo, exec_lo, s2
	s_delay_alu instid0(VALU_DEP_1)
	v_cmp_lt_f32_e32 vcc_lo, v27, v42
	v_dual_mov_b32 v29, v24 :: v_dual_mov_b32 v32, v5
	v_dual_mov_b32 v31, v26 :: v_dual_mov_b32 v34, v7
	v_dual_cndmask_b32 v13, v18, v17 :: v_dual_cndmask_b32 v14, v4, v3
	v_cndmask_b32_e32 v51, v17, v18, vcc_lo
	v_dual_cndmask_b32 v59, v3, v4 :: v_dual_cndmask_b32 v60, v41, v42
	v_dual_cndmask_b32 v3, v42, v27 :: v_dual_mov_b32 v18, v21
	v_cmp_lt_f32_e32 vcc_lo, v39, v40
	v_dual_mov_b32 v4, v19 :: v_dual_mov_b32 v17, v20
	v_dual_mov_b32 v28, v23 :: v_dual_mov_b32 v27, v22
	;; [unrolled: 1-line block ×7, first 2 shown]
	v_mov_b32_e32 v58, v50
	v_dual_mov_b32 v52, v44 :: v_dual_mov_b32 v53, v45
	v_dual_mov_b32 v55, v47 :: v_dual_mov_b32 v56, v48
	v_mov_b32_e32 v57, v49
	s_and_saveexec_b32 s2, vcc_lo
	s_cbranch_execz .LBB299_135
; %bb.134:
	v_dual_mov_b32 v42, v40 :: v_dual_mov_b32 v27, v22
	v_dual_mov_b32 v4, v15 :: v_dual_mov_b32 v17, v20
	;; [unrolled: 1-line block ×3, first 2 shown]
	v_swap_b32 v15, v16
	v_swap_b32 v1, v2
	v_dual_mov_b32 v40, v39 :: v_dual_mov_b32 v29, v24
	v_dual_mov_b32 v4, v19 :: v_dual_mov_b32 v31, v26
	;; [unrolled: 1-line block ×10, first 2 shown]
	v_mov_b32_e32 v52, v44
	v_mov_b32_e32 v54, v46
	;; [unrolled: 1-line block ×4, first 2 shown]
.LBB299_135:
	s_or_b32 exec_lo, exec_lo, s2
	s_clause 0x1
	s_load_b32 s8, s[0:1], 0x28
	s_load_b128 s[4:7], s[0:1], 0x10
	v_mov_b32_e32 v6, 0
	s_waitcnt lgkmcnt(0)
	s_cmp_lt_i32 s8, 1
	s_cbranch_scc1 .LBB299_141
; %bb.136:
	v_cmp_lt_f32_e32 vcc_lo, v40, v60
	v_mov_b32_e32 v7, 0
	s_mov_b32 s9, 0x76543210
	s_mov_b32 s10, s8
	v_mov_b32_e32 v6, 0
	v_cndmask_b32_e32 v8, v60, v40, vcc_lo
	v_cndmask_b32_e32 v19, v61, v60, vcc_lo
	v_dual_cndmask_b32 v5, v59, v2 :: v_dual_cndmask_b32 v2, v2, v59
	v_dual_cndmask_b32 v9, v51, v16 :: v_dual_cndmask_b32 v20, v16, v51
	s_delay_alu instid0(VALU_DEP_3) | instskip(NEXT) | instid1(VALU_DEP_1)
	v_cmp_lt_f32_e64 s2, v39, v19
	v_cndmask_b32_e64 v10, v2, v1, s2
	v_cndmask_b32_e64 v11, v1, v2, s2
	;; [unrolled: 1-line block ×6, first 2 shown]
	v_dual_mov_b32 v20, v0 :: v_dual_mov_b32 v1, 0
	v_mov_b32_e32 v2, 0
.LBB299_137:                            ; =>This Inner Loop Header: Depth=1
	v_cmp_eq_u32_e32 vcc_lo, 1, v7
	v_cmp_eq_u32_e64 s2, 2, v7
	v_dual_cndmask_b32 v21, v16, v12 :: v_dual_cndmask_b32 v22, v11, v10
	s_delay_alu instid0(VALU_DEP_1) | instskip(NEXT) | instid1(VALU_DEP_2)
	v_cndmask_b32_e64 v21, v21, v8, s2
	v_cndmask_b32_e64 v22, v22, v5, s2
	v_cndmask_b32_e32 v23, v15, v19, vcc_lo
	v_cmp_eq_u32_e32 vcc_lo, 3, v7
	s_delay_alu instid0(VALU_DEP_3) | instskip(NEXT) | instid1(VALU_DEP_3)
	v_cndmask_b32_e32 v22, v22, v14, vcc_lo
	v_cndmask_b32_e64 v23, v23, v9, s2
	v_cmp_eq_u32_e64 s2, 4, v7
	s_delay_alu instid0(VALU_DEP_2) | instskip(NEXT) | instid1(VALU_DEP_2)
	v_cndmask_b32_e32 v23, v23, v13, vcc_lo
	v_cndmask_b32_e64 v22, v22, v32, s2
	v_cndmask_b32_e32 v21, v21, v3, vcc_lo
	v_cmp_eq_u32_e32 vcc_lo, 5, v7
	s_delay_alu instid0(VALU_DEP_4) | instskip(NEXT) | instid1(VALU_DEP_4)
	v_cndmask_b32_e64 v23, v23, v4, s2
	v_cndmask_b32_e32 v22, v22, v33, vcc_lo
	s_delay_alu instid0(VALU_DEP_4) | instskip(SKIP_1) | instid1(VALU_DEP_4)
	v_cndmask_b32_e64 v21, v21, v42, s2
	v_cmp_eq_u32_e64 s2, 6, v7
	v_cndmask_b32_e32 v23, v23, v17, vcc_lo
	s_delay_alu instid0(VALU_DEP_3) | instskip(SKIP_1) | instid1(VALU_DEP_4)
	v_cndmask_b32_e32 v21, v21, v52, vcc_lo
	v_cmp_eq_u32_e32 vcc_lo, 7, v7
	v_cndmask_b32_e64 v22, v22, v34, s2
	s_delay_alu instid0(VALU_DEP_4) | instskip(NEXT) | instid1(VALU_DEP_4)
	v_cndmask_b32_e64 v23, v23, v18, s2
	v_cndmask_b32_e64 v21, v21, v53, s2
	v_cmp_eq_u32_e64 s2, 8, v7
	s_delay_alu instid0(VALU_DEP_4) | instskip(NEXT) | instid1(VALU_DEP_4)
	v_cndmask_b32_e32 v22, v22, v35, vcc_lo
	v_cndmask_b32_e32 v23, v23, v27, vcc_lo
	s_delay_alu instid0(VALU_DEP_4) | instskip(SKIP_1) | instid1(VALU_DEP_4)
	v_cndmask_b32_e32 v21, v21, v54, vcc_lo
	v_cmp_eq_u32_e32 vcc_lo, 9, v7
	v_cndmask_b32_e64 v22, v22, v36, s2
	s_delay_alu instid0(VALU_DEP_4) | instskip(NEXT) | instid1(VALU_DEP_4)
	v_cndmask_b32_e64 v23, v23, v28, s2
	v_cndmask_b32_e64 v21, v21, v55, s2
	v_cmp_eq_u32_e64 s2, 10, v7
	s_delay_alu instid0(VALU_DEP_4) | instskip(NEXT) | instid1(VALU_DEP_4)
	v_cndmask_b32_e32 v22, v22, v37, vcc_lo
	v_cndmask_b32_e32 v23, v23, v29, vcc_lo
	s_delay_alu instid0(VALU_DEP_4) | instskip(SKIP_1) | instid1(VALU_DEP_4)
	v_cndmask_b32_e32 v21, v21, v56, vcc_lo
	v_cmp_eq_u32_e32 vcc_lo, 11, v7
	v_cndmask_b32_e64 v22, v22, v38, s2
	s_delay_alu instid0(VALU_DEP_4) | instskip(NEXT) | instid1(VALU_DEP_4)
	v_cndmask_b32_e64 v23, v23, v30, s2
	v_cndmask_b32_e64 v21, v21, v57, s2
	v_cmp_gt_u32_e64 s2, 12, v7
	s_delay_alu instid0(VALU_DEP_2) | instskip(NEXT) | instid1(VALU_DEP_1)
	v_dual_cndmask_b32 v22, v22, v41 :: v_dual_cndmask_b32 v21, v21, v58
	v_cndmask_b32_e64 v24, 0, v22, s2
	s_delay_alu instid0(VALU_DEP_2)
	v_cndmask_b32_e64 v21, 0xff800000, v21, s2
	;;#ASMSTART
	v_max_f32 v25, v21, v21 quad_perm:[1,0,3,2] row_mask:0xf bank_mask:0xf bound_ctrl:1
	;;#ASMEND
	;;#ASMSTART
	v_max_f32 v26, v25, v25 quad_perm:[2,3,0,1] row_mask:0xf bank_mask:0xf bound_ctrl:1
	;;#ASMEND
	;;#ASMSTART
	v_max_f32 v25, v26, v26 row_half_mirror row_mask:0xf bank_mask:0xf bound_ctrl:1
	;;#ASMEND
	;;#ASMSTART
	v_max_f32 v26, v25, v25 row_mirror row_mask:0xf bank_mask:0xf bound_ctrl:1
	;;#ASMEND
	v_permlanex16_b32 v25, v26, s9, 0xfedcba98 op_sel:[1,1]
	s_delay_alu instid0(VALU_DEP_1) | instskip(NEXT) | instid1(VALU_DEP_1)
	v_dual_max_f32 v26, v26, v26 :: v_dual_max_f32 v25, v25, v25
	v_max_f32_e32 v25, v26, v25
	s_delay_alu instid0(VALU_DEP_1) | instskip(SKIP_1) | instid1(VALU_DEP_2)
	v_cmp_eq_f32_e64 s3, v21, v25
	v_cndmask_b32_e32 v21, v23, v31, vcc_lo
	s_ctz_i32_b32 s11, s3
	s_cmp_lg_u32 s3, 0
	s_cselect_b32 s3, s11, 0
	s_add_i32 s10, s10, -1
	v_readlane_b32 s3, v24, s3
	s_delay_alu instid0(VALU_DEP_1)
	v_cmp_eq_u32_e32 vcc_lo, s3, v22
	s_and_b32 vcc_lo, s2, vcc_lo
	s_and_b32 s2, s3, 31
	v_cndmask_b32_e32 v21, 0, v21, vcc_lo
	v_add_co_ci_u32_e32 v7, vcc_lo, 0, v7, vcc_lo
	s_cmp_eq_u32 s10, 0
	s_delay_alu instid0(VALU_DEP_2) | instskip(SKIP_2) | instid1(VALU_DEP_3)
	v_readlane_b32 s11, v21, s2
	v_cmp_eq_u32_e64 s2, 0, v20
	v_add_nc_u32_e32 v20, -1, v20
	v_add_f32_e32 v6, s11, v6
	s_delay_alu instid0(VALU_DEP_3)
	v_cndmask_b32_e64 v2, v2, s11, s2
	v_cndmask_b32_e64 v1, v1, s3, s2
	s_cbranch_scc0 .LBB299_137
; %bb.138:
	s_mov_b32 s2, exec_lo
	v_cmpx_gt_i32_e64 s8, v0
	s_cbranch_execz .LBB299_140
.LBB299_139:
	s_load_b32 s2, s[0:1], 0x30
	v_max_f32_e32 v3, v6, v6
	s_load_b64 s[0:1], s[0:1], 0x20
	s_ashr_i32 s3, s15, 31
	s_delay_alu instid0(VALU_DEP_1) | instskip(SKIP_1) | instid1(VALU_DEP_1)
	v_dual_max_f32 v3, 0x1e3ce508, v3 :: v_dual_lshlrev_b32 v0, 2, v0
	s_waitcnt lgkmcnt(0)
	v_div_scale_f32 v4, null, v3, v3, s2
	v_div_scale_f32 v7, vcc_lo, s2, v3, s2
	s_mul_i32 s1, s15, s1
	s_delay_alu instid0(VALU_DEP_2)
	v_rcp_f32_e32 v5, v4
	s_mul_hi_u32 s8, s15, s0
	s_mul_i32 s3, s3, s0
	s_add_i32 s1, s8, s1
	s_mul_i32 s0, s15, s0
	s_add_i32 s1, s1, s3
	s_delay_alu instid0(SALU_CYCLE_1) | instskip(SKIP_2) | instid1(VALU_DEP_1)
	s_lshl_b64 s[0:1], s[0:1], 2
	s_waitcnt_depctr 0xfff
	v_fma_f32 v6, -v4, v5, 1.0
	v_fmac_f32_e32 v5, v6, v5
	s_delay_alu instid0(VALU_DEP_1) | instskip(NEXT) | instid1(VALU_DEP_1)
	v_mul_f32_e32 v6, v7, v5
	v_fma_f32 v8, -v4, v6, v7
	s_delay_alu instid0(VALU_DEP_1) | instskip(NEXT) | instid1(VALU_DEP_1)
	v_fmac_f32_e32 v6, v8, v5
	v_fma_f32 v4, -v4, v6, v7
	s_delay_alu instid0(VALU_DEP_1) | instskip(NEXT) | instid1(VALU_DEP_1)
	v_div_fmas_f32 v4, v4, v5, v6
	v_div_fixup_f32 v3, v4, v3, s2
	s_add_u32 s2, s4, s0
	s_addc_u32 s3, s5, s1
	s_add_u32 s0, s6, s0
	s_addc_u32 s1, s7, s1
	v_mul_f32_e32 v2, v2, v3
	s_clause 0x1
	global_store_b32 v0, v2, s[2:3]
	global_store_b32 v0, v1, s[0:1]
.LBB299_140:
	s_endpgm
.LBB299_141:
	v_dual_mov_b32 v1, 0 :: v_dual_mov_b32 v2, 0
	s_mov_b32 s2, exec_lo
	v_cmpx_gt_i32_e64 s8, v0
	s_cbranch_execnz .LBB299_139
	s_branch .LBB299_140
	.section	.rodata,"a",@progbits
	.p2align	6, 0x0
	.amdhsa_kernel _ZN5aiter24topk_softplus_kernel_optI12hip_bfloat16S1_Li384ELb1ELi0EEEvPKT_PKT0_PfPimiif
		.amdhsa_group_segment_fixed_size 0
		.amdhsa_private_segment_fixed_size 196
		.amdhsa_kernarg_size 52
		.amdhsa_user_sgpr_count 15
		.amdhsa_user_sgpr_dispatch_ptr 0
		.amdhsa_user_sgpr_queue_ptr 0
		.amdhsa_user_sgpr_kernarg_segment_ptr 1
		.amdhsa_user_sgpr_dispatch_id 0
		.amdhsa_user_sgpr_private_segment_size 0
		.amdhsa_wavefront_size32 1
		.amdhsa_uses_dynamic_stack 0
		.amdhsa_enable_private_segment 1
		.amdhsa_system_sgpr_workgroup_id_x 1
		.amdhsa_system_sgpr_workgroup_id_y 0
		.amdhsa_system_sgpr_workgroup_id_z 0
		.amdhsa_system_sgpr_workgroup_info 0
		.amdhsa_system_vgpr_workitem_id 0
		.amdhsa_next_free_vgpr 183
		.amdhsa_next_free_sgpr 16
		.amdhsa_reserve_vcc 1
		.amdhsa_float_round_mode_32 0
		.amdhsa_float_round_mode_16_64 0
		.amdhsa_float_denorm_mode_32 3
		.amdhsa_float_denorm_mode_16_64 3
		.amdhsa_dx10_clamp 1
		.amdhsa_ieee_mode 1
		.amdhsa_fp16_overflow 0
		.amdhsa_workgroup_processor_mode 1
		.amdhsa_memory_ordered 1
		.amdhsa_forward_progress 0
		.amdhsa_shared_vgpr_count 0
		.amdhsa_exception_fp_ieee_invalid_op 0
		.amdhsa_exception_fp_denorm_src 0
		.amdhsa_exception_fp_ieee_div_zero 0
		.amdhsa_exception_fp_ieee_overflow 0
		.amdhsa_exception_fp_ieee_underflow 0
		.amdhsa_exception_fp_ieee_inexact 0
		.amdhsa_exception_int_div_zero 0
	.end_amdhsa_kernel
	.section	.text._ZN5aiter24topk_softplus_kernel_optI12hip_bfloat16S1_Li384ELb1ELi0EEEvPKT_PKT0_PfPimiif,"axG",@progbits,_ZN5aiter24topk_softplus_kernel_optI12hip_bfloat16S1_Li384ELb1ELi0EEEvPKT_PKT0_PfPimiif,comdat
.Lfunc_end299:
	.size	_ZN5aiter24topk_softplus_kernel_optI12hip_bfloat16S1_Li384ELb1ELi0EEEvPKT_PKT0_PfPimiif, .Lfunc_end299-_ZN5aiter24topk_softplus_kernel_optI12hip_bfloat16S1_Li384ELb1ELi0EEEvPKT_PKT0_PfPimiif
                                        ; -- End function
	.section	.AMDGPU.csdata,"",@progbits
; Kernel info:
; codeLenInByte = 30564
; NumSgprs: 18
; NumVgprs: 183
; ScratchSize: 196
; MemoryBound: 0
; FloatMode: 240
; IeeeMode: 1
; LDSByteSize: 0 bytes/workgroup (compile time only)
; SGPRBlocks: 2
; VGPRBlocks: 22
; NumSGPRsForWavesPerEU: 18
; NumVGPRsForWavesPerEU: 183
; Occupancy: 8
; WaveLimiterHint : 0
; COMPUTE_PGM_RSRC2:SCRATCH_EN: 1
; COMPUTE_PGM_RSRC2:USER_SGPR: 15
; COMPUTE_PGM_RSRC2:TRAP_HANDLER: 0
; COMPUTE_PGM_RSRC2:TGID_X_EN: 1
; COMPUTE_PGM_RSRC2:TGID_Y_EN: 0
; COMPUTE_PGM_RSRC2:TGID_Z_EN: 0
; COMPUTE_PGM_RSRC2:TIDIG_COMP_CNT: 0
	.section	.text._ZN5aiter24topk_softplus_kernel_optI12hip_bfloat16S1_Li384ELb0ELi0EEEvPKT_PKT0_PfPimiif,"axG",@progbits,_ZN5aiter24topk_softplus_kernel_optI12hip_bfloat16S1_Li384ELb0ELi0EEEvPKT_PKT0_PfPimiif,comdat
	.protected	_ZN5aiter24topk_softplus_kernel_optI12hip_bfloat16S1_Li384ELb0ELi0EEEvPKT_PKT0_PfPimiif ; -- Begin function _ZN5aiter24topk_softplus_kernel_optI12hip_bfloat16S1_Li384ELb0ELi0EEEvPKT_PKT0_PfPimiif
	.globl	_ZN5aiter24topk_softplus_kernel_optI12hip_bfloat16S1_Li384ELb0ELi0EEEvPKT_PKT0_PfPimiif
	.p2align	8
	.type	_ZN5aiter24topk_softplus_kernel_optI12hip_bfloat16S1_Li384ELb0ELi0EEEvPKT_PKT0_PfPimiif,@function
_ZN5aiter24topk_softplus_kernel_optI12hip_bfloat16S1_Li384ELb0ELi0EEEvPKT_PKT0_PfPimiif: ; @_ZN5aiter24topk_softplus_kernel_optI12hip_bfloat16S1_Li384ELb0ELi0EEEvPKT_PKT0_PfPimiif
; %bb.0:
	s_load_b128 s[4:7], s[0:1], 0x0
	s_mul_i32 s2, s15, 0x180
	v_lshlrev_b32_e32 v1, 1, v0
	s_ashr_i32 s3, s2, 31
	s_delay_alu instid0(SALU_CYCLE_1)
	s_lshl_b64 s[2:3], s[2:3], 1
	s_waitcnt lgkmcnt(0)
	s_add_u32 s4, s4, s2
	s_addc_u32 s5, s5, s3
	s_cmp_lg_u64 s[6:7], 0
	global_load_u16 v2, v1, s[4:5]
	s_cselect_b32 s3, -1, 0
	s_waitcnt vmcnt(0)
	v_lshlrev_b32_e32 v2, 16, v2
	s_delay_alu instid0(VALU_DEP_1) | instskip(NEXT) | instid1(VALU_DEP_1)
	v_mul_f32_e32 v3, 0x3fb8aa3b, v2
	v_cmp_gt_f32_e32 vcc_lo, 0xc2fc0000, v3
	v_cndmask_b32_e64 v3, 0, 0x42800000, vcc_lo
	v_cndmask_b32_e64 v4, 1.0, 0x1f800000, vcc_lo
	s_delay_alu instid0(VALU_DEP_2) | instskip(NEXT) | instid1(VALU_DEP_1)
	v_fmac_f32_e32 v3, 0x3fb8aa3b, v2
	v_exp_f32_e32 v3, v3
	s_waitcnt_depctr 0xfff
	v_fma_f32 v3, v3, v4, 1.0
	s_delay_alu instid0(VALU_DEP_1) | instskip(SKIP_1) | instid1(VALU_DEP_1)
	v_cmp_gt_f32_e32 vcc_lo, 0x800000, v3
	v_cndmask_b32_e64 v4, 1.0, 0x4f800000, vcc_lo
	v_mul_f32_e32 v3, v3, v4
	v_cndmask_b32_e64 v4, 0, 0x42000000, vcc_lo
	v_cmp_lt_f32_e32 vcc_lo, 0x41a00000, v2
	s_delay_alu instid0(VALU_DEP_3) | instskip(SKIP_2) | instid1(VALU_DEP_1)
	v_log_f32_e32 v3, v3
	s_waitcnt_depctr 0xfff
	v_sub_f32_e32 v3, v3, v4
	v_mul_f32_e32 v3, 0x3f317218, v3
	s_delay_alu instid0(VALU_DEP_1) | instskip(NEXT) | instid1(VALU_DEP_1)
	v_cndmask_b32_e32 v2, v3, v2, vcc_lo
	v_mul_f32_e32 v3, 0x4f800000, v2
	v_cmp_gt_f32_e32 vcc_lo, 0xf800000, v2
	s_delay_alu instid0(VALU_DEP_2) | instskip(NEXT) | instid1(VALU_DEP_1)
	v_cndmask_b32_e32 v2, v2, v3, vcc_lo
	v_sqrt_f32_e32 v3, v2
	s_waitcnt_depctr 0xfff
	v_add_nc_u32_e32 v4, -1, v3
	v_add_nc_u32_e32 v5, 1, v3
	s_delay_alu instid0(VALU_DEP_2) | instskip(NEXT) | instid1(VALU_DEP_2)
	v_fma_f32 v6, -v4, v3, v2
	v_fma_f32 v7, -v5, v3, v2
	s_delay_alu instid0(VALU_DEP_2) | instskip(NEXT) | instid1(VALU_DEP_1)
	v_cmp_ge_f32_e64 s2, 0, v6
	v_cndmask_b32_e64 v3, v3, v4, s2
	s_delay_alu instid0(VALU_DEP_3) | instskip(NEXT) | instid1(VALU_DEP_1)
	v_cmp_lt_f32_e64 s2, 0, v7
	v_cndmask_b32_e64 v3, v3, v5, s2
	v_add_co_u32 v12, s2, s4, v1
	s_delay_alu instid0(VALU_DEP_1) | instskip(NEXT) | instid1(VALU_DEP_3)
	v_add_co_ci_u32_e64 v13, null, s5, 0, s2
	v_mul_f32_e32 v4, 0x37800000, v3
	s_delay_alu instid0(VALU_DEP_1) | instskip(SKIP_1) | instid1(VALU_DEP_2)
	v_cndmask_b32_e32 v3, v3, v4, vcc_lo
	v_cmp_class_f32_e64 vcc_lo, v2, 0x260
	v_cndmask_b32_e32 v49, v3, v2, vcc_lo
	s_and_b32 vcc_lo, exec_lo, s3
	s_delay_alu instid0(VALU_DEP_1)
	v_mov_b32_e32 v37, v49
	s_cbranch_vccz .LBB300_2
; %bb.1:
	global_load_u16 v2, v1, s[6:7]
	s_waitcnt vmcnt(0)
	v_lshlrev_b32_e32 v2, 16, v2
	s_delay_alu instid0(VALU_DEP_1)
	v_add_f32_e32 v37, v49, v2
.LBB300_2:
	global_load_u16 v2, v[12:13], off offset:64
	v_cndmask_b32_e64 v14, 0, 1, s3
	s_waitcnt vmcnt(0)
	v_lshlrev_b32_e32 v2, 16, v2
	s_delay_alu instid0(VALU_DEP_1) | instskip(NEXT) | instid1(VALU_DEP_1)
	v_mul_f32_e32 v3, 0x3fb8aa3b, v2
	v_cmp_gt_f32_e32 vcc_lo, 0xc2fc0000, v3
	v_cndmask_b32_e64 v3, 0, 0x42800000, vcc_lo
	v_cndmask_b32_e64 v4, 1.0, 0x1f800000, vcc_lo
	s_delay_alu instid0(VALU_DEP_2) | instskip(NEXT) | instid1(VALU_DEP_1)
	v_fmac_f32_e32 v3, 0x3fb8aa3b, v2
	v_exp_f32_e32 v3, v3
	s_waitcnt_depctr 0xfff
	v_fma_f32 v3, v3, v4, 1.0
	s_delay_alu instid0(VALU_DEP_1) | instskip(SKIP_1) | instid1(VALU_DEP_1)
	v_cmp_gt_f32_e32 vcc_lo, 0x800000, v3
	v_cndmask_b32_e64 v4, 1.0, 0x4f800000, vcc_lo
	v_mul_f32_e32 v3, v3, v4
	v_cndmask_b32_e64 v4, 0, 0x42000000, vcc_lo
	v_cmp_lt_f32_e32 vcc_lo, 0x41a00000, v2
	s_delay_alu instid0(VALU_DEP_3) | instskip(SKIP_2) | instid1(VALU_DEP_1)
	v_log_f32_e32 v3, v3
	s_waitcnt_depctr 0xfff
	v_sub_f32_e32 v3, v3, v4
	v_mul_f32_e32 v3, 0x3f317218, v3
	s_delay_alu instid0(VALU_DEP_1) | instskip(NEXT) | instid1(VALU_DEP_1)
	v_cndmask_b32_e32 v2, v3, v2, vcc_lo
	v_mul_f32_e32 v3, 0x4f800000, v2
	v_cmp_gt_f32_e32 vcc_lo, 0xf800000, v2
	s_delay_alu instid0(VALU_DEP_2) | instskip(NEXT) | instid1(VALU_DEP_1)
	v_cndmask_b32_e32 v2, v2, v3, vcc_lo
	v_sqrt_f32_e32 v3, v2
	s_waitcnt_depctr 0xfff
	v_add_nc_u32_e32 v4, -1, v3
	v_add_nc_u32_e32 v5, 1, v3
	s_delay_alu instid0(VALU_DEP_2) | instskip(NEXT) | instid1(VALU_DEP_2)
	v_fma_f32 v6, -v4, v3, v2
	v_fma_f32 v7, -v5, v3, v2
	s_delay_alu instid0(VALU_DEP_2) | instskip(NEXT) | instid1(VALU_DEP_1)
	v_cmp_ge_f32_e64 s2, 0, v6
	v_cndmask_b32_e64 v3, v3, v4, s2
	s_delay_alu instid0(VALU_DEP_3) | instskip(NEXT) | instid1(VALU_DEP_1)
	v_cmp_lt_f32_e64 s2, 0, v7
	v_cndmask_b32_e64 v3, v3, v5, s2
	s_delay_alu instid0(VALU_DEP_1) | instskip(NEXT) | instid1(VALU_DEP_1)
	v_mul_f32_e32 v4, 0x37800000, v3
	v_cndmask_b32_e32 v3, v3, v4, vcc_lo
	v_cmp_class_f32_e64 vcc_lo, v2, 0x260
	s_delay_alu instid0(VALU_DEP_2) | instskip(SKIP_1) | instid1(VALU_DEP_1)
	v_cndmask_b32_e32 v2, v3, v2, vcc_lo
	s_and_not1_b32 vcc_lo, exec_lo, s3
	v_mov_b32_e32 v38, v2
	s_cbranch_vccnz .LBB300_4
; %bb.3:
	global_load_u16 v3, v1, s[6:7] offset:64
	s_waitcnt vmcnt(0)
	v_lshlrev_b32_e32 v3, 16, v3
	s_delay_alu instid0(VALU_DEP_1)
	v_add_f32_e32 v38, v2, v3
.LBB300_4:
	global_load_u16 v3, v[12:13], off offset:128
	s_waitcnt vmcnt(0)
	v_lshlrev_b32_e32 v3, 16, v3
	s_delay_alu instid0(VALU_DEP_1) | instskip(NEXT) | instid1(VALU_DEP_1)
	v_mul_f32_e32 v4, 0x3fb8aa3b, v3
	v_cmp_gt_f32_e32 vcc_lo, 0xc2fc0000, v4
	v_cndmask_b32_e64 v4, 0, 0x42800000, vcc_lo
	v_cndmask_b32_e64 v5, 1.0, 0x1f800000, vcc_lo
	s_delay_alu instid0(VALU_DEP_2) | instskip(NEXT) | instid1(VALU_DEP_1)
	v_fmac_f32_e32 v4, 0x3fb8aa3b, v3
	v_exp_f32_e32 v4, v4
	s_waitcnt_depctr 0xfff
	v_fma_f32 v4, v4, v5, 1.0
	s_delay_alu instid0(VALU_DEP_1) | instskip(SKIP_1) | instid1(VALU_DEP_1)
	v_cmp_gt_f32_e32 vcc_lo, 0x800000, v4
	v_cndmask_b32_e64 v5, 1.0, 0x4f800000, vcc_lo
	v_mul_f32_e32 v4, v4, v5
	v_cndmask_b32_e64 v5, 0, 0x42000000, vcc_lo
	v_cmp_lt_f32_e32 vcc_lo, 0x41a00000, v3
	s_delay_alu instid0(VALU_DEP_3) | instskip(SKIP_2) | instid1(VALU_DEP_1)
	v_log_f32_e32 v4, v4
	s_waitcnt_depctr 0xfff
	v_sub_f32_e32 v4, v4, v5
	v_mul_f32_e32 v4, 0x3f317218, v4
	s_delay_alu instid0(VALU_DEP_1) | instskip(NEXT) | instid1(VALU_DEP_1)
	v_cndmask_b32_e32 v3, v4, v3, vcc_lo
	v_mul_f32_e32 v4, 0x4f800000, v3
	v_cmp_gt_f32_e32 vcc_lo, 0xf800000, v3
	s_delay_alu instid0(VALU_DEP_2) | instskip(NEXT) | instid1(VALU_DEP_1)
	v_cndmask_b32_e32 v3, v3, v4, vcc_lo
	v_sqrt_f32_e32 v4, v3
	s_waitcnt_depctr 0xfff
	v_add_nc_u32_e32 v5, -1, v4
	v_add_nc_u32_e32 v6, 1, v4
	s_delay_alu instid0(VALU_DEP_2) | instskip(NEXT) | instid1(VALU_DEP_2)
	v_fma_f32 v7, -v5, v4, v3
	v_fma_f32 v8, -v6, v4, v3
	s_delay_alu instid0(VALU_DEP_2) | instskip(NEXT) | instid1(VALU_DEP_1)
	v_cmp_ge_f32_e64 s2, 0, v7
	v_cndmask_b32_e64 v4, v4, v5, s2
	s_delay_alu instid0(VALU_DEP_3) | instskip(NEXT) | instid1(VALU_DEP_1)
	v_cmp_lt_f32_e64 s2, 0, v8
	v_cndmask_b32_e64 v4, v4, v6, s2
	s_delay_alu instid0(VALU_DEP_1) | instskip(NEXT) | instid1(VALU_DEP_1)
	v_mul_f32_e32 v5, 0x37800000, v4
	v_cndmask_b32_e32 v4, v4, v5, vcc_lo
	v_cmp_class_f32_e64 vcc_lo, v3, 0x260
	s_delay_alu instid0(VALU_DEP_2) | instskip(SKIP_1) | instid1(VALU_DEP_2)
	v_cndmask_b32_e32 v3, v4, v3, vcc_lo
	v_cmp_ne_u32_e32 vcc_lo, 1, v14
	v_mov_b32_e32 v39, v3
	s_cbranch_vccnz .LBB300_6
; %bb.5:
	global_load_u16 v4, v1, s[6:7] offset:128
	s_waitcnt vmcnt(0)
	v_lshlrev_b32_e32 v4, 16, v4
	s_delay_alu instid0(VALU_DEP_1)
	v_add_f32_e32 v39, v3, v4
.LBB300_6:
	global_load_u16 v4, v[12:13], off offset:192
	s_waitcnt vmcnt(0)
	v_lshlrev_b32_e32 v4, 16, v4
	s_delay_alu instid0(VALU_DEP_1) | instskip(NEXT) | instid1(VALU_DEP_1)
	v_mul_f32_e32 v5, 0x3fb8aa3b, v4
	v_cmp_gt_f32_e32 vcc_lo, 0xc2fc0000, v5
	v_cndmask_b32_e64 v5, 0, 0x42800000, vcc_lo
	v_cndmask_b32_e64 v6, 1.0, 0x1f800000, vcc_lo
	s_delay_alu instid0(VALU_DEP_2) | instskip(NEXT) | instid1(VALU_DEP_1)
	v_fmac_f32_e32 v5, 0x3fb8aa3b, v4
	v_exp_f32_e32 v5, v5
	s_waitcnt_depctr 0xfff
	v_fma_f32 v5, v5, v6, 1.0
	s_delay_alu instid0(VALU_DEP_1) | instskip(SKIP_1) | instid1(VALU_DEP_1)
	v_cmp_gt_f32_e32 vcc_lo, 0x800000, v5
	v_cndmask_b32_e64 v6, 1.0, 0x4f800000, vcc_lo
	v_mul_f32_e32 v5, v5, v6
	v_cndmask_b32_e64 v6, 0, 0x42000000, vcc_lo
	v_cmp_lt_f32_e32 vcc_lo, 0x41a00000, v4
	s_delay_alu instid0(VALU_DEP_3) | instskip(SKIP_2) | instid1(VALU_DEP_1)
	v_log_f32_e32 v5, v5
	s_waitcnt_depctr 0xfff
	v_sub_f32_e32 v5, v5, v6
	v_mul_f32_e32 v5, 0x3f317218, v5
	s_delay_alu instid0(VALU_DEP_1) | instskip(NEXT) | instid1(VALU_DEP_1)
	v_cndmask_b32_e32 v4, v5, v4, vcc_lo
	v_mul_f32_e32 v5, 0x4f800000, v4
	v_cmp_gt_f32_e32 vcc_lo, 0xf800000, v4
	s_delay_alu instid0(VALU_DEP_2) | instskip(NEXT) | instid1(VALU_DEP_1)
	v_cndmask_b32_e32 v4, v4, v5, vcc_lo
	v_sqrt_f32_e32 v5, v4
	s_waitcnt_depctr 0xfff
	v_add_nc_u32_e32 v6, -1, v5
	v_add_nc_u32_e32 v7, 1, v5
	s_delay_alu instid0(VALU_DEP_2) | instskip(NEXT) | instid1(VALU_DEP_2)
	v_fma_f32 v8, -v6, v5, v4
	v_fma_f32 v9, -v7, v5, v4
	s_delay_alu instid0(VALU_DEP_2) | instskip(NEXT) | instid1(VALU_DEP_1)
	v_cmp_ge_f32_e64 s2, 0, v8
	v_cndmask_b32_e64 v5, v5, v6, s2
	s_delay_alu instid0(VALU_DEP_3) | instskip(NEXT) | instid1(VALU_DEP_1)
	v_cmp_lt_f32_e64 s2, 0, v9
	v_cndmask_b32_e64 v5, v5, v7, s2
	s_delay_alu instid0(VALU_DEP_1) | instskip(NEXT) | instid1(VALU_DEP_1)
	v_mul_f32_e32 v6, 0x37800000, v5
	v_cndmask_b32_e32 v5, v5, v6, vcc_lo
	v_cmp_class_f32_e64 vcc_lo, v4, 0x260
	s_delay_alu instid0(VALU_DEP_2) | instskip(SKIP_1) | instid1(VALU_DEP_2)
	v_cndmask_b32_e32 v4, v5, v4, vcc_lo
	v_cmp_ne_u32_e32 vcc_lo, 1, v14
	;; [unrolled: 59-line block ×9, first 2 shown]
	v_mov_b32_e32 v47, v11
	s_cbranch_vccnz .LBB300_22
; %bb.21:
	global_load_u16 v15, v1, s[6:7] offset:640
	s_waitcnt vmcnt(0)
	v_lshlrev_b32_e32 v15, 16, v15
	s_delay_alu instid0(VALU_DEP_1)
	v_add_f32_e32 v47, v11, v15
.LBB300_22:
	global_load_u16 v12, v[12:13], off offset:704
	s_waitcnt vmcnt(0)
	v_lshlrev_b32_e32 v12, 16, v12
	s_delay_alu instid0(VALU_DEP_1) | instskip(NEXT) | instid1(VALU_DEP_1)
	v_mul_f32_e32 v13, 0x3fb8aa3b, v12
	v_cmp_gt_f32_e32 vcc_lo, 0xc2fc0000, v13
	v_cndmask_b32_e64 v13, 0, 0x42800000, vcc_lo
	v_cndmask_b32_e64 v15, 1.0, 0x1f800000, vcc_lo
	s_delay_alu instid0(VALU_DEP_2) | instskip(NEXT) | instid1(VALU_DEP_1)
	v_fmac_f32_e32 v13, 0x3fb8aa3b, v12
	v_exp_f32_e32 v13, v13
	s_waitcnt_depctr 0xfff
	v_fma_f32 v13, v13, v15, 1.0
	s_delay_alu instid0(VALU_DEP_1) | instskip(SKIP_1) | instid1(VALU_DEP_1)
	v_cmp_gt_f32_e32 vcc_lo, 0x800000, v13
	v_cndmask_b32_e64 v15, 1.0, 0x4f800000, vcc_lo
	v_mul_f32_e32 v13, v13, v15
	v_cndmask_b32_e64 v15, 0, 0x42000000, vcc_lo
	v_cmp_lt_f32_e32 vcc_lo, 0x41a00000, v12
	s_delay_alu instid0(VALU_DEP_3) | instskip(SKIP_2) | instid1(VALU_DEP_1)
	v_log_f32_e32 v13, v13
	s_waitcnt_depctr 0xfff
	v_sub_f32_e32 v13, v13, v15
	v_mul_f32_e32 v13, 0x3f317218, v13
	s_delay_alu instid0(VALU_DEP_1) | instskip(NEXT) | instid1(VALU_DEP_1)
	v_cndmask_b32_e32 v12, v13, v12, vcc_lo
	v_mul_f32_e32 v13, 0x4f800000, v12
	v_cmp_gt_f32_e32 vcc_lo, 0xf800000, v12
	s_delay_alu instid0(VALU_DEP_2) | instskip(NEXT) | instid1(VALU_DEP_1)
	v_cndmask_b32_e32 v12, v12, v13, vcc_lo
	v_sqrt_f32_e32 v13, v12
	s_waitcnt_depctr 0xfff
	v_add_nc_u32_e32 v15, -1, v13
	v_add_nc_u32_e32 v16, 1, v13
	s_delay_alu instid0(VALU_DEP_2) | instskip(NEXT) | instid1(VALU_DEP_2)
	v_fma_f32 v17, -v15, v13, v12
	v_fma_f32 v18, -v16, v13, v12
	s_delay_alu instid0(VALU_DEP_2) | instskip(NEXT) | instid1(VALU_DEP_1)
	v_cmp_ge_f32_e64 s2, 0, v17
	v_cndmask_b32_e64 v13, v13, v15, s2
	s_delay_alu instid0(VALU_DEP_3) | instskip(NEXT) | instid1(VALU_DEP_1)
	v_cmp_lt_f32_e64 s2, 0, v18
	v_cndmask_b32_e64 v13, v13, v16, s2
	s_delay_alu instid0(VALU_DEP_1) | instskip(NEXT) | instid1(VALU_DEP_1)
	v_mul_f32_e32 v15, 0x37800000, v13
	v_cndmask_b32_e32 v13, v13, v15, vcc_lo
	v_cmp_class_f32_e64 vcc_lo, v12, 0x260
	s_delay_alu instid0(VALU_DEP_2)
	v_cndmask_b32_e32 v12, v13, v12, vcc_lo
	v_cmp_ne_u32_e32 vcc_lo, 1, v14
	s_cbranch_vccnz .LBB300_24
; %bb.23:
	global_load_u16 v1, v1, s[6:7] offset:704
	s_waitcnt vmcnt(0)
	v_lshlrev_b32_e32 v1, 16, v1
	s_delay_alu instid0(VALU_DEP_1)
	v_add_f32_e32 v48, v12, v1
	s_branch .LBB300_25
.LBB300_24:
	s_delay_alu instid0(VALU_DEP_2)
	v_mov_b32_e32 v48, v12
.LBB300_25:
	v_dual_mov_b32 v13, v37 :: v_dual_add_nc_u32 v26, 32, v0
	v_dual_mov_b32 v14, v38 :: v_dual_add_nc_u32 v27, 64, v0
	;; [unrolled: 1-line block ×11, first 2 shown]
	v_dual_mov_b32 v24, v48 :: v_dual_mov_b32 v1, v49
	v_mov_b32_e32 v25, v0
	s_mov_b32 s2, exec_lo
	v_cmpx_lt_f32_e32 v37, v38
	s_xor_b32 s2, exec_lo, s2
; %bb.26:
	v_dual_mov_b32 v13, v38 :: v_dual_mov_b32 v14, v37
	v_dual_mov_b32 v15, v39 :: v_dual_mov_b32 v16, v40
	;; [unrolled: 1-line block ×8, first 2 shown]
	v_mov_b32_e32 v26, v0
; %bb.27:
	s_or_b32 exec_lo, exec_lo, s2
	v_dual_mov_b32 v37, v15 :: v_dual_mov_b32 v86, v12
	v_dual_mov_b32 v75, v1 :: v_dual_mov_b32 v146, v12
	;; [unrolled: 1-line block ×36, first 2 shown]
	s_clause 0x8
	scratch_store_b128 off, v[1:4], off
	scratch_store_b128 off, v[5:8], off offset:16
	scratch_store_b128 off, v[9:12], off offset:32
	;; [unrolled: 1-line block ×8, first 2 shown]
	v_dual_mov_b32 v73, v35 :: v_dual_mov_b32 v72, v34
	v_dual_mov_b32 v71, v33 :: v_dual_mov_b32 v70, v32
	;; [unrolled: 1-line block ×30, first 2 shown]
	v_mov_b32_e32 v159, v25
	s_clause 0x2
	scratch_store_b128 off, v[25:28], off offset:144
	scratch_store_b128 off, v[29:32], off offset:160
	;; [unrolled: 1-line block ×3, first 2 shown]
	s_mov_b32 s2, exec_lo
	v_dual_mov_b32 v182, v36 :: v_dual_mov_b32 v181, v35
	v_dual_mov_b32 v180, v34 :: v_dual_mov_b32 v179, v33
	;; [unrolled: 1-line block ×6, first 2 shown]
	v_cmpx_lt_f32_e32 v38, v15
	s_cbranch_execz .LBB300_29
; %bb.28:
	v_dual_mov_b32 v37, v38 :: v_dual_mov_b32 v182, v36
	v_dual_mov_b32 v173, v27 :: v_dual_mov_b32 v172, v26
	;; [unrolled: 1-line block ×14, first 2 shown]
	v_mov_b32_e32 v125, v2
	v_dual_mov_b32 v159, v171 :: v_dual_mov_b32 v162, v174
	v_dual_mov_b32 v161, v173 :: v_dual_mov_b32 v164, v176
	;; [unrolled: 1-line block ×6, first 2 shown]
	v_mov_b32_e32 v162, v28
	s_clause 0x2
	scratch_store_b128 off, v[123:126], off offset:96
	scratch_store_b128 off, v[127:130], off offset:112
	;; [unrolled: 1-line block ×3, first 2 shown]
	v_dual_mov_b32 v14, v15 :: v_dual_mov_b32 v15, v38
	v_dual_mov_b32 v43, v164 :: v_dual_mov_b32 v44, v165
	;; [unrolled: 1-line block ×7, first 2 shown]
	s_clause 0x2
	scratch_store_b128 off, v[38:41], off offset:144
	scratch_store_b128 off, v[42:45], off offset:160
	;; [unrolled: 1-line block ×3, first 2 shown]
	v_mov_b32_e32 v163, v29
	v_mov_b32_e32 v27, v26
	v_dual_mov_b32 v43, v128 :: v_dual_mov_b32 v44, v129
	v_dual_mov_b32 v47, v132 :: v_dual_mov_b32 v38, v123
	;; [unrolled: 1-line block ×5, first 2 shown]
	v_mov_b32_e32 v41, v126
	v_dual_mov_b32 v147, v159 :: v_dual_mov_b32 v154, v166
	v_mov_b32_e32 v148, v160
	v_mov_b32_e32 v150, v162
	s_clause 0x2
	scratch_store_b128 off, v[38:41], off offset:48
	scratch_store_b128 off, v[42:45], off offset:64
	scratch_store_b128 off, v[46:49], off offset:80
	v_dual_mov_b32 v127, v5 :: v_dual_mov_b32 v152, v164
	v_dual_mov_b32 v153, v165 :: v_dual_mov_b32 v152, v30
	;; [unrolled: 1-line block ×7, first 2 shown]
	v_mov_b32_e32 v41, v126
	v_dual_mov_b32 v128, v6 :: v_dual_mov_b32 v99, v147
	v_dual_mov_b32 v105, v153 :: v_dual_mov_b32 v106, v154
	;; [unrolled: 1-line block ×3, first 2 shown]
	v_mov_b32_e32 v105, v31
	v_dual_mov_b32 v103, v151 :: v_dual_mov_b32 v104, v152
	v_dual_mov_b32 v107, v155 :: v_dual_mov_b32 v108, v156
	;; [unrolled: 1-line block ×6, first 2 shown]
	v_mov_b32_e32 v60, v132
	v_dual_mov_b32 v52, v124 :: v_dual_mov_b32 v55, v127
	v_dual_mov_b32 v58, v130 :: v_dual_mov_b32 v61, v133
	v_mov_b32_e32 v57, v7
	v_dual_mov_b32 v53, v125 :: v_dual_mov_b32 v56, v128
	s_clause 0x2
	scratch_store_b128 off, v[38:41], off
	scratch_store_b128 off, v[42:45], off offset:16
	scratch_store_b128 off, v[46:49], off offset:32
	v_dual_mov_b32 v39, v99 :: v_dual_mov_b32 v44, v104
	v_dual_mov_b32 v45, v105 :: v_dual_mov_b32 v50, v110
	;; [unrolled: 1-line block ×6, first 2 shown]
	v_mov_b32_e32 v122, v62
	v_dual_mov_b32 v46, v32 :: v_dual_mov_b32 v111, v51
	v_dual_mov_b32 v121, v61 :: v_dual_mov_b32 v120, v60
	;; [unrolled: 1-line block ×6, first 2 shown]
	v_mov_b32_e32 v118, v8
	v_dual_mov_b32 v98, v50 :: v_dual_mov_b32 v97, v49
	v_dual_mov_b32 v96, v48 :: v_dual_mov_b32 v95, v47
	;; [unrolled: 1-line block ×7, first 2 shown]
	v_mov_b32_e32 v135, v111
	v_dual_mov_b32 v3, v2 :: v_dual_mov_b32 v144, v120
	v_dual_mov_b32 v145, v121 :: v_dual_mov_b32 v142, v118
	;; [unrolled: 1-line block ×5, first 2 shown]
	v_mov_b32_e32 v137, v113
	v_mov_b32_e32 v143, v9
	v_dual_mov_b32 v63, v87 :: v_dual_mov_b32 v70, v94
	v_mov_b32_e32 v64, v88
	v_mov_b32_e32 v66, v90
	v_dual_mov_b32 v68, v92 :: v_dual_mov_b32 v75, v135
	v_dual_mov_b32 v80, v140 :: v_dual_mov_b32 v65, v89
	;; [unrolled: 1-line block ×13, first 2 shown]
.LBB300_29:
	s_or_b32 exec_lo, exec_lo, s2
	v_mov_b32_e32 v1, v16
	s_mov_b32 s2, exec_lo
	v_cmpx_lt_f32_e32 v37, v16
	s_cbranch_execz .LBB300_31
; %bb.30:
	s_clause 0x2
	scratch_load_b128 v[38:41], off, off offset:96
	scratch_load_b128 v[42:45], off, off offset:112
	;; [unrolled: 1-line block ×3, first 2 shown]
	v_mov_b32_e32 v173, v28
	v_dual_mov_b32 v15, v16 :: v_dual_mov_b32 v16, v37
	v_dual_mov_b32 v1, v37 :: v_dual_mov_b32 v28, v27
	s_waitcnt vmcnt(2)
	v_dual_mov_b32 v124, v39 :: v_dual_mov_b32 v123, v38
	s_waitcnt vmcnt(0)
	v_dual_mov_b32 v134, v49 :: v_dual_mov_b32 v125, v4
	v_dual_mov_b32 v159, v171 :: v_dual_mov_b32 v160, v172
	v_mov_b32_e32 v162, v174
	v_dual_mov_b32 v38, v123 :: v_dual_mov_b32 v39, v124
	v_dual_mov_b32 v161, v173 :: v_dual_mov_b32 v164, v176
	;; [unrolled: 1-line block ×10, first 2 shown]
	v_mov_b32_e32 v126, v41
	s_clause 0x2
	scratch_store_b128 off, v[38:41], off offset:96
	scratch_store_b128 off, v[42:45], off offset:112
	;; [unrolled: 1-line block ×3, first 2 shown]
	v_dual_mov_b32 v43, v164 :: v_dual_mov_b32 v38, v159
	v_dual_mov_b32 v41, v162 :: v_dual_mov_b32 v126, v3
	;; [unrolled: 1-line block ×7, first 2 shown]
	s_clause 0x2
	scratch_store_b128 off, v[38:41], off offset:144
	scratch_store_b128 off, v[42:45], off offset:160
	;; [unrolled: 1-line block ×3, first 2 shown]
	v_dual_mov_b32 v43, v128 :: v_dual_mov_b32 v46, v131
	v_dual_mov_b32 v49, v134 :: v_dual_mov_b32 v38, v123
	;; [unrolled: 1-line block ×5, first 2 shown]
	v_mov_b32_e32 v41, v126
	v_dual_mov_b32 v147, v159 :: v_dual_mov_b32 v152, v164
	v_dual_mov_b32 v148, v160 :: v_dual_mov_b32 v127, v5
	;; [unrolled: 1-line block ×7, first 2 shown]
	s_clause 0x2
	scratch_store_b128 off, v[38:41], off offset:48
	scratch_store_b128 off, v[42:45], off offset:64
	;; [unrolled: 1-line block ×3, first 2 shown]
	v_dual_mov_b32 v38, v123 :: v_dual_mov_b32 v39, v124
	v_dual_mov_b32 v40, v125 :: v_dual_mov_b32 v41, v126
	v_mov_b32_e32 v42, v127
	v_dual_mov_b32 v128, v6 :: v_dual_mov_b32 v99, v147
	v_dual_mov_b32 v106, v154 :: v_dual_mov_b32 v107, v155
	;; [unrolled: 1-line block ×3, first 2 shown]
	v_mov_b32_e32 v52, v124
	v_dual_mov_b32 v100, v148 :: v_dual_mov_b32 v101, v149
	v_dual_mov_b32 v102, v150 :: v_dual_mov_b32 v103, v151
	;; [unrolled: 1-line block ×6, first 2 shown]
	v_mov_b32_e32 v105, v31
	v_dual_mov_b32 v57, v129 :: v_dual_mov_b32 v58, v130
	v_dual_mov_b32 v53, v125 :: v_dual_mov_b32 v54, v126
	;; [unrolled: 1-line block ×3, first 2 shown]
	v_mov_b32_e32 v57, v7
	s_clause 0x2
	scratch_store_b128 off, v[38:41], off
	scratch_store_b128 off, v[42:45], off offset:16
	scratch_store_b128 off, v[46:49], off offset:32
	v_dual_mov_b32 v39, v99 :: v_dual_mov_b32 v42, v102
	v_dual_mov_b32 v47, v107 :: v_dual_mov_b32 v50, v110
	;; [unrolled: 1-line block ×9, first 2 shown]
	v_mov_b32_e32 v46, v32
	v_dual_mov_b32 v118, v58 :: v_dual_mov_b32 v117, v57
	v_dual_mov_b32 v116, v56 :: v_dual_mov_b32 v115, v55
	v_dual_mov_b32 v114, v54 :: v_dual_mov_b32 v113, v53
	v_mov_b32_e32 v118, v8
	v_dual_mov_b32 v98, v50 :: v_dual_mov_b32 v95, v47
	v_dual_mov_b32 v97, v49 :: v_dual_mov_b32 v90, v42
	;; [unrolled: 1-line block ×9, first 2 shown]
	v_mov_b32_e32 v89, v41
	v_dual_mov_b32 v143, v9 :: v_dual_mov_b32 v142, v118
	v_dual_mov_b32 v141, v117 :: v_dual_mov_b32 v140, v116
	;; [unrolled: 1-line block ×3, first 2 shown]
	v_mov_b32_e32 v137, v113
	v_dual_mov_b32 v63, v87 :: v_dual_mov_b32 v66, v90
	v_dual_mov_b32 v64, v88 :: v_dual_mov_b32 v75, v135
	;; [unrolled: 1-line block ×13, first 2 shown]
	v_mov_b32_e32 v82, v142
	v_dual_mov_b32 v84, v10 :: v_dual_mov_b32 v85, v11
	v_mov_b32_e32 v86, v12
.LBB300_31:
	s_or_b32 exec_lo, exec_lo, s2
	v_mov_b32_e32 v2, v17
	s_mov_b32 s2, exec_lo
	v_cmpx_lt_f32_e32 v1, v17
	s_cbranch_execz .LBB300_33
; %bb.32:
	s_clause 0x2
	scratch_load_b128 v[37:40], off, off offset:96
	scratch_load_b128 v[41:44], off, off offset:112
	;; [unrolled: 1-line block ×3, first 2 shown]
	v_mov_b32_e32 v174, v29
	v_dual_mov_b32 v2, v1 :: v_dual_mov_b32 v29, v28
	v_mov_b32_e32 v16, v17
	s_waitcnt vmcnt(0)
	v_dual_mov_b32 v74, v48 :: v_dual_mov_b32 v71, v45
	v_dual_mov_b32 v68, v42 :: v_dual_mov_b32 v65, v39
	;; [unrolled: 1-line block ×18, first 2 shown]
	v_mov_b32_e32 v125, v65
	v_mov_b32_e32 v127, v4
	v_dual_mov_b32 v147, v159 :: v_dual_mov_b32 v148, v160
	v_dual_mov_b32 v153, v165 :: v_dual_mov_b32 v156, v168
	;; [unrolled: 1-line block ×3, first 2 shown]
	v_mov_b32_e32 v157, v169
	v_dual_mov_b32 v151, v163 :: v_dual_mov_b32 v154, v166
	v_dual_mov_b32 v149, v161 :: v_dual_mov_b32 v152, v164
	;; [unrolled: 1-line block ×4, first 2 shown]
	v_mov_b32_e32 v38, v124
	v_dual_mov_b32 v152, v30 :: v_dual_mov_b32 v45, v131
	v_dual_mov_b32 v46, v132 :: v_dual_mov_b32 v47, v133
	;; [unrolled: 1-line block ×13, first 2 shown]
	s_clause 0x2
	scratch_store_b128 off, v[37:40], off
	scratch_store_b128 off, v[41:44], off offset:16
	scratch_store_b128 off, v[45:48], off offset:32
	v_dual_mov_b32 v57, v129 :: v_dual_mov_b32 v60, v132
	v_dual_mov_b32 v55, v127 :: v_dual_mov_b32 v58, v130
	v_mov_b32_e32 v61, v133
	v_mov_b32_e32 v57, v7
	v_dual_mov_b32 v39, v99 :: v_dual_mov_b32 v44, v104
	v_dual_mov_b32 v17, v1 :: v_dual_mov_b32 v52, v124
	;; [unrolled: 1-line block ×8, first 2 shown]
	v_mov_b32_e32 v122, v62
	v_dual_mov_b32 v46, v32 :: v_dual_mov_b32 v119, v59
	v_dual_mov_b32 v118, v58 :: v_dual_mov_b32 v111, v51
	v_dual_mov_b32 v118, v8 :: v_dual_mov_b32 v121, v61
	v_dual_mov_b32 v120, v60 :: v_dual_mov_b32 v117, v57
	v_dual_mov_b32 v116, v56 :: v_dual_mov_b32 v115, v55
	v_dual_mov_b32 v114, v54 :: v_dual_mov_b32 v113, v53
	v_mov_b32_e32 v112, v52
	v_dual_mov_b32 v98, v50 :: v_dual_mov_b32 v97, v49
	v_dual_mov_b32 v96, v48 :: v_dual_mov_b32 v95, v47
	v_dual_mov_b32 v88, v40 :: v_dual_mov_b32 v87, v39
	v_dual_mov_b32 v95, v33 :: v_dual_mov_b32 v146, v122
	v_dual_mov_b32 v94, v46 :: v_dual_mov_b32 v93, v45
	v_dual_mov_b32 v92, v44 :: v_dual_mov_b32 v91, v43
	v_dual_mov_b32 v90, v42 :: v_dual_mov_b32 v89, v41
	v_dual_mov_b32 v143, v119 :: v_dual_mov_b32 v142, v118
	v_mov_b32_e32 v135, v111
	v_dual_mov_b32 v145, v121 :: v_dual_mov_b32 v144, v120
	v_dual_mov_b32 v141, v117 :: v_dual_mov_b32 v140, v116
	v_mov_b32_e32 v143, v9
	v_dual_mov_b32 v139, v115 :: v_dual_mov_b32 v138, v114
	v_dual_mov_b32 v137, v113 :: v_dual_mov_b32 v136, v112
	s_clause 0x5
	scratch_store_b128 off, v[63:66], off offset:48
	scratch_store_b128 off, v[67:70], off offset:64
	;; [unrolled: 1-line block ×6, first 2 shown]
	v_dual_mov_b32 v63, v87 :: v_dual_mov_b32 v68, v92
	v_mov_b32_e32 v64, v88
	v_dual_mov_b32 v66, v90 :: v_dual_mov_b32 v75, v135
	v_dual_mov_b32 v78, v138 :: v_dual_mov_b32 v67, v91
	v_dual_mov_b32 v72, v96 :: v_dual_mov_b32 v69, v93
	v_dual_mov_b32 v74, v98 :: v_dual_mov_b32 v73, v97
	v_dual_mov_b32 v74, v36 :: v_dual_mov_b32 v81, v141
	v_dual_mov_b32 v84, v144 :: v_dual_mov_b32 v83, v143
	v_dual_mov_b32 v86, v146 :: v_dual_mov_b32 v85, v145
	v_dual_mov_b32 v84, v10 :: v_dual_mov_b32 v5, v4
	v_dual_mov_b32 v65, v89 :: v_dual_mov_b32 v70, v94
	v_dual_mov_b32 v71, v95 :: v_dual_mov_b32 v72, v34
	v_dual_mov_b32 v73, v35 :: v_dual_mov_b32 v76, v136
	v_dual_mov_b32 v77, v137 :: v_dual_mov_b32 v80, v140
	v_dual_mov_b32 v79, v139 :: v_dual_mov_b32 v82, v142
	v_dual_mov_b32 v85, v11 :: v_dual_mov_b32 v86, v12
.LBB300_33:
	s_or_b32 exec_lo, exec_lo, s2
	v_mov_b32_e32 v1, v18
	s_mov_b32 s2, exec_lo
	v_cmpx_lt_f32_e32 v2, v18
	s_cbranch_execz .LBB300_35
; %bb.34:
	s_clause 0x2
	scratch_load_b128 v[37:40], off, off offset:144
	scratch_load_b128 v[41:44], off, off offset:160
	;; [unrolled: 1-line block ×3, first 2 shown]
	s_waitcnt vmcnt(0)
	v_dual_mov_b32 v17, v18 :: v_dual_mov_b32 v170, v48
	v_dual_mov_b32 v169, v47 :: v_dual_mov_b32 v162, v40
	;; [unrolled: 1-line block ×6, first 2 shown]
	s_clause 0x2
	scratch_load_b128 v[37:40], off, off offset:48
	scratch_load_b128 v[41:44], off, off offset:64
	;; [unrolled: 1-line block ×3, first 2 shown]
	v_dual_mov_b32 v163, v30 :: v_dual_mov_b32 v30, v29
	s_waitcnt vmcnt(0)
	v_mov_b32_e32 v74, v48
	v_dual_mov_b32 v66, v40 :: v_dual_mov_b32 v63, v37
	v_dual_mov_b32 v73, v47 :: v_dual_mov_b32 v64, v38
	;; [unrolled: 1-line block ×5, first 2 shown]
	v_mov_b32_e32 v69, v43
	v_dual_mov_b32 v67, v6 :: v_dual_mov_b32 v148, v160
	v_dual_mov_b32 v134, v74 :: v_dual_mov_b32 v133, v73
	;; [unrolled: 1-line block ×12, first 2 shown]
	v_mov_b32_e32 v128, v5
	v_dual_mov_b32 v152, v29 :: v_dual_mov_b32 v51, v123
	v_dual_mov_b32 v99, v147 :: v_dual_mov_b32 v108, v156
	;; [unrolled: 1-line block ×13, first 2 shown]
	v_mov_b32_e32 v57, v7
	v_dual_mov_b32 v39, v99 :: v_dual_mov_b32 v40, v100
	v_dual_mov_b32 v49, v109 :: v_dual_mov_b32 v50, v110
	s_delay_alu instid0(VALU_DEP_4)
	v_dual_mov_b32 v122, v62 :: v_dual_mov_b32 v121, v61
	v_dual_mov_b32 v43, v103 :: v_dual_mov_b32 v44, v104
	;; [unrolled: 1-line block ×10, first 2 shown]
	v_mov_b32_e32 v46, v32
	v_mov_b32_e32 v118, v8
	v_dual_mov_b32 v98, v50 :: v_dual_mov_b32 v93, v45
	v_dual_mov_b32 v97, v49 :: v_dual_mov_b32 v146, v122
	;; [unrolled: 1-line block ×13, first 2 shown]
	v_mov_b32_e32 v137, v113
	s_clause 0x2
	scratch_store_b128 off, v[63:66], off
	scratch_store_b128 off, v[67:70], off offset:16
	scratch_store_b128 off, v[71:74], off offset:32
	v_dual_mov_b32 v63, v87 :: v_dual_mov_b32 v66, v90
	v_dual_mov_b32 v75, v135 :: v_dual_mov_b32 v78, v138
	;; [unrolled: 1-line block ×15, first 2 shown]
	v_mov_b32_e32 v86, v12
	v_mov_b32_e32 v6, v5
.LBB300_35:
	s_or_b32 exec_lo, exec_lo, s2
	v_mov_b32_e32 v2, v19
	s_mov_b32 s2, exec_lo
	v_cmpx_lt_f32_e32 v1, v19
	s_cbranch_execz .LBB300_37
; %bb.36:
	s_clause 0x2
	scratch_load_b128 v[37:40], off, off
	scratch_load_b128 v[41:44], off, off offset:16
	scratch_load_b128 v[45:48], off, off offset:32
	v_mov_b32_e32 v164, v31
	v_dual_mov_b32 v2, v1 :: v_dual_mov_b32 v31, v30
	v_mov_b32_e32 v18, v19
	s_waitcnt vmcnt(0)
	v_dual_mov_b32 v134, v48 :: v_dual_mov_b32 v133, v47
	v_dual_mov_b32 v130, v44 :: v_dual_mov_b32 v127, v41
	;; [unrolled: 1-line block ×17, first 2 shown]
	v_mov_b32_e32 v61, v133
	v_mov_b32_e32 v57, v6
	;; [unrolled: 1-line block ×3, first 2 shown]
	v_dual_mov_b32 v62, v134 :: v_dual_mov_b32 v39, v99
	v_dual_mov_b32 v147, v159 :: v_dual_mov_b32 v148, v160
	s_delay_alu instid0(VALU_DEP_2)
	v_dual_mov_b32 v149, v161 :: v_dual_mov_b32 v122, v62
	v_dual_mov_b32 v120, v60 :: v_dual_mov_b32 v49, v109
	v_mov_b32_e32 v50, v110
	v_dual_mov_b32 v40, v100 :: v_dual_mov_b32 v119, v59
	v_dual_mov_b32 v118, v58 :: v_dual_mov_b32 v115, v55
	;; [unrolled: 1-line block ×6, first 2 shown]
	v_mov_b32_e32 v121, v61
	v_dual_mov_b32 v117, v57 :: v_dual_mov_b32 v116, v56
	v_dual_mov_b32 v113, v53 :: v_dual_mov_b32 v112, v52
	;; [unrolled: 1-line block ×3, first 2 shown]
	v_mov_b32_e32 v46, v32
	v_mov_b32_e32 v118, v8
	v_dual_mov_b32 v98, v50 :: v_dual_mov_b32 v95, v47
	v_dual_mov_b32 v97, v49 :: v_dual_mov_b32 v146, v122
	;; [unrolled: 1-line block ×4, first 2 shown]
	v_mov_b32_e32 v87, v39
	v_dual_mov_b32 v143, v9 :: v_dual_mov_b32 v96, v48
	v_dual_mov_b32 v93, v45 :: v_dual_mov_b32 v88, v40
	;; [unrolled: 1-line block ×8, first 2 shown]
	v_mov_b32_e32 v137, v113
	v_dual_mov_b32 v75, v135 :: v_dual_mov_b32 v78, v138
	v_dual_mov_b32 v63, v87 :: v_dual_mov_b32 v66, v90
	;; [unrolled: 1-line block ×14, first 2 shown]
	v_mov_b32_e32 v74, v36
	v_dual_mov_b32 v84, v10 :: v_dual_mov_b32 v85, v11
	v_dual_mov_b32 v150, v162 :: v_dual_mov_b32 v151, v163
	;; [unrolled: 1-line block ×5, first 2 shown]
	v_mov_b32_e32 v158, v170
	v_mov_b32_e32 v7, v6
.LBB300_37:
	s_or_b32 exec_lo, exec_lo, s2
	v_mov_b32_e32 v1, v20
	s_mov_b32 s2, exec_lo
	v_cmpx_lt_f32_e32 v2, v20
	s_cbranch_execz .LBB300_39
; %bb.38:
	v_mov_b32_e32 v129, v8
	v_mov_b32_e32 v153, v32
	v_dual_mov_b32 v111, v123 :: v_dual_mov_b32 v114, v126
	v_dual_mov_b32 v39, v147 :: v_dual_mov_b32 v40, v148
	;; [unrolled: 1-line block ×10, first 2 shown]
	v_mov_b32_e32 v120, v132
	v_dual_mov_b32 v116, v128 :: v_dual_mov_b32 v121, v133
	v_mov_b32_e32 v46, v31
	v_dual_mov_b32 v119, v131 :: v_dual_mov_b32 v98, v50
	v_dual_mov_b32 v118, v7 :: v_dual_mov_b32 v97, v49
	;; [unrolled: 1-line block ×13, first 2 shown]
	v_mov_b32_e32 v95, v33
	v_dual_mov_b32 v19, v20 :: v_dual_mov_b32 v20, v2
	v_mov_b32_e32 v143, v9
	v_dual_mov_b32 v63, v87 :: v_dual_mov_b32 v68, v92
	v_dual_mov_b32 v64, v88 :: v_dual_mov_b32 v75, v135
	v_dual_mov_b32 v80, v140 :: v_dual_mov_b32 v67, v91
	v_dual_mov_b32 v72, v96 :: v_dual_mov_b32 v69, v93
	v_dual_mov_b32 v74, v98 :: v_dual_mov_b32 v73, v97
	v_dual_mov_b32 v78, v138 :: v_dual_mov_b32 v79, v139
	v_dual_mov_b32 v84, v144 :: v_dual_mov_b32 v81, v141
	v_dual_mov_b32 v86, v146 :: v_dual_mov_b32 v85, v145
	v_dual_mov_b32 v74, v36 :: v_dual_mov_b32 v51, v123
	v_dual_mov_b32 v52, v124 :: v_dual_mov_b32 v99, v147
	v_dual_mov_b32 v100, v148 :: v_dual_mov_b32 v65, v89
	v_mov_b32_e32 v70, v94
	v_dual_mov_b32 v66, v90 :: v_dual_mov_b32 v71, v95
	v_dual_mov_b32 v76, v136 :: v_dual_mov_b32 v77, v137
	;; [unrolled: 1-line block ×15, first 2 shown]
	v_mov_b32_e32 v110, v158
	v_dual_mov_b32 v1, v2 :: v_dual_mov_b32 v8, v7
	v_mov_b32_e32 v32, v31
.LBB300_39:
	s_or_b32 exec_lo, exec_lo, s2
	v_mov_b32_e32 v2, v21
	s_mov_b32 s2, exec_lo
	v_cmpx_lt_f32_e32 v1, v21
	s_cbranch_execz .LBB300_41
; %bb.40:
	v_mov_b32_e32 v58, v9
	v_mov_b32_e32 v106, v33
	v_dual_mov_b32 v146, v62 :: v_dual_mov_b32 v143, v59
	v_mov_b32_e32 v87, v99
	s_delay_alu instid0(VALU_DEP_3)
	v_dual_mov_b32 v141, v57 :: v_dual_mov_b32 v94, v106
	v_dual_mov_b32 v95, v107 :: v_dual_mov_b32 v140, v56
	;; [unrolled: 1-line block ×6, first 2 shown]
	v_mov_b32_e32 v95, v32
	v_dual_mov_b32 v143, v8 :: v_dual_mov_b32 v20, v21
	v_dual_mov_b32 v88, v100 :: v_dual_mov_b32 v89, v101
	;; [unrolled: 1-line block ×7, first 2 shown]
	s_delay_alu instid0(VALU_DEP_2)
	v_dual_mov_b32 v75, v135 :: v_dual_mov_b32 v76, v136
	v_dual_mov_b32 v122, v62 :: v_dual_mov_b32 v117, v57
	;; [unrolled: 1-line block ×25, first 2 shown]
	v_mov_b32_e32 v48, v108
	v_dual_mov_b32 v50, v110 :: v_dual_mov_b32 v9, v8
	v_dual_mov_b32 v2, v1 :: v_dual_mov_b32 v33, v32
.LBB300_41:
	s_or_b32 exec_lo, exec_lo, s2
	v_mov_b32_e32 v3, v22
	s_mov_b32 s2, exec_lo
	s_delay_alu instid0(VALU_DEP_2)
	v_cmpx_lt_f32_e32 v2, v22
	s_cbranch_execz .LBB300_43
; %bb.42:
	v_mov_b32_e32 v47, v34
	v_mov_b32_e32 v74, v50
	v_dual_mov_b32 v21, v22 :: v_dual_mov_b32 v72, v48
	v_dual_mov_b32 v72, v33 :: v_dual_mov_b32 v119, v10
	;; [unrolled: 1-line block ×3, first 2 shown]
	v_mov_b32_e32 v78, v114
	v_dual_mov_b32 v22, v2 :: v_dual_mov_b32 v73, v49
	v_dual_mov_b32 v81, v117 :: v_dual_mov_b32 v84, v120
	;; [unrolled: 1-line block ×7, first 2 shown]
	v_mov_b32_e32 v69, v45
	v_dual_mov_b32 v67, v43 :: v_dual_mov_b32 v66, v42
	v_dual_mov_b32 v65, v41 :: v_dual_mov_b32 v64, v40
	v_dual_mov_b32 v63, v39 :: v_dual_mov_b32 v74, v36
	v_dual_mov_b32 v73, v35 :: v_dual_mov_b32 v76, v112
	v_dual_mov_b32 v77, v113 :: v_dual_mov_b32 v80, v116
	v_dual_mov_b32 v79, v115 :: v_dual_mov_b32 v82, v118
	v_dual_mov_b32 v84, v9 :: v_dual_mov_b32 v85, v11
	v_dual_mov_b32 v144, v120 :: v_dual_mov_b32 v143, v119
	v_dual_mov_b32 v142, v118 :: v_dual_mov_b32 v141, v117
	v_dual_mov_b32 v140, v116 :: v_dual_mov_b32 v139, v115
	v_dual_mov_b32 v138, v114 :: v_dual_mov_b32 v137, v113
	v_dual_mov_b32 v136, v112 :: v_dual_mov_b32 v135, v111
	v_dual_mov_b32 v96, v48 :: v_dual_mov_b32 v95, v47
	v_dual_mov_b32 v94, v46 :: v_dual_mov_b32 v93, v45
	v_dual_mov_b32 v92, v44 :: v_dual_mov_b32 v91, v43
	v_dual_mov_b32 v90, v42 :: v_dual_mov_b32 v89, v41
	v_dual_mov_b32 v88, v40 :: v_dual_mov_b32 v87, v39
	v_dual_mov_b32 v3, v2 :: v_dual_mov_b32 v10, v9
	v_mov_b32_e32 v34, v33
.LBB300_43:
	s_or_b32 exec_lo, exec_lo, s2
	v_mov_b32_e32 v1, v23
	s_mov_b32 s2, exec_lo
	v_cmpx_lt_f32_e32 v3, v23
	s_cbranch_execz .LBB300_45
; %bb.44:
	v_dual_mov_b32 v144, v11 :: v_dual_mov_b32 v145, v10
	v_dual_mov_b32 v96, v35 :: v_dual_mov_b32 v97, v34
	v_mov_b32_e32 v146, v12
	v_mov_b32_e32 v22, v23
	v_dual_mov_b32 v23, v3 :: v_dual_mov_b32 v98, v36
	v_dual_mov_b32 v75, v135 :: v_dual_mov_b32 v84, v144
	;; [unrolled: 1-line block ×3, first 2 shown]
	v_mov_b32_e32 v79, v139
	v_dual_mov_b32 v77, v137 :: v_dual_mov_b32 v78, v138
	v_dual_mov_b32 v81, v141 :: v_dual_mov_b32 v80, v140
	;; [unrolled: 1-line block ×10, first 2 shown]
.LBB300_45:
	s_or_b32 exec_lo, exec_lo, s2
	s_delay_alu instid0(VALU_DEP_1)
	v_cmp_lt_f32_e32 vcc_lo, v1, v24
	v_mov_b32_e32 v42, v78
	v_cmp_lt_f32_e64 s2, v13, v14
	v_dual_mov_b32 v40, v76 :: v_dual_mov_b32 v41, v77
	v_dual_cndmask_b32 v12, v24, v1 :: v_dual_mov_b32 v43, v79
	v_dual_cndmask_b32 v23, v23, v24 :: v_dual_cndmask_b32 v50, v86, v85
	s_delay_alu instid0(VALU_DEP_2) | instskip(SKIP_2) | instid1(VALU_DEP_3)
	v_dual_mov_b32 v39, v75 :: v_dual_mov_b32 v24, v12
	v_dual_cndmask_b32 v49, v85, v86 :: v_dual_mov_b32 v44, v80
	v_dual_cndmask_b32 v61, v73, v74 :: v_dual_cndmask_b32 v62, v74, v73
	v_dual_mov_b32 v38, v24 :: v_dual_mov_b32 v35, v21
	v_dual_mov_b32 v37, v23 :: v_dual_mov_b32 v36, v22
	;; [unrolled: 1-line block ×13, first 2 shown]
	s_and_saveexec_b32 s3, s2
	s_delay_alu instid0(SALU_CYCLE_1)
	s_xor_b32 s2, exec_lo, s3
	s_cbranch_execz .LBB300_47
; %bb.46:
	v_dual_mov_b32 v1, v14 :: v_dual_mov_b32 v2, v13
	v_dual_mov_b32 v3, v15 :: v_dual_mov_b32 v4, v16
	;; [unrolled: 1-line block ×6, first 2 shown]
	s_delay_alu instid0(VALU_DEP_2) | instskip(NEXT) | instid1(VALU_DEP_2)
	v_dual_mov_b32 v38, v12 :: v_dual_mov_b32 v35, v9
	v_dual_mov_b32 v36, v10 :: v_dual_mov_b32 v37, v11
	;; [unrolled: 1-line block ×16, first 2 shown]
.LBB300_47:
	s_or_b32 exec_lo, exec_lo, s2
	v_dual_mov_b32 v13, v29 :: v_dual_mov_b32 v122, v50
	v_dual_mov_b32 v15, v39 :: v_dual_mov_b32 v16, v40
	;; [unrolled: 1-line block ×30, first 2 shown]
	v_mov_b32_e32 v135, v39
	s_clause 0x2
	scratch_store_b128 off, v[39:42], off offset:48
	scratch_store_b128 off, v[43:46], off offset:64
	scratch_store_b128 off, v[47:50], off offset:80
	v_dual_mov_b32 v1, v51 :: v_dual_mov_b32 v4, v54
	v_dual_mov_b32 v11, v61 :: v_dual_mov_b32 v74, v62
	;; [unrolled: 1-line block ×34, first 2 shown]
	v_mov_b32_e32 v159, v51
	s_mov_b32 s2, exec_lo
	v_dual_mov_b32 v73, v61 :: v_dual_mov_b32 v72, v60
	v_mov_b32_e32 v2, v52
	s_clause 0x2
	scratch_store_b128 off, v[51:54], off
	scratch_store_b128 off, v[55:58], off offset:16
	scratch_store_b128 off, v[59:62], off offset:32
	v_dual_mov_b32 v182, v50 :: v_dual_mov_b32 v181, v49
	v_dual_mov_b32 v180, v48 :: v_dual_mov_b32 v179, v47
	;; [unrolled: 1-line block ×6, first 2 shown]
	v_cmpx_lt_f32_e32 v14, v29
	s_cbranch_execz .LBB300_49
; %bb.48:
	v_dual_mov_b32 v170, v62 :: v_dual_mov_b32 v169, v61
	v_dual_mov_b32 v162, v54 :: v_dual_mov_b32 v161, v53
	v_dual_mov_b32 v160, v52 :: v_dual_mov_b32 v159, v51
	v_dual_mov_b32 v168, v60 :: v_dual_mov_b32 v167, v59
	v_dual_mov_b32 v166, v58 :: v_dual_mov_b32 v165, v57
	v_dual_mov_b32 v164, v56 :: v_dual_mov_b32 v163, v55
	v_dual_mov_b32 v160, v53 :: v_dual_mov_b32 v161, v52
	s_clause 0x2
	scratch_store_b128 off, v[159:162], off
	scratch_store_b128 off, v[163:166], off offset:16
	scratch_store_b128 off, v[167:170], off offset:32
	v_dual_mov_b32 v182, v50 :: v_dual_mov_b32 v181, v49
	v_dual_mov_b32 v172, v40 :: v_dual_mov_b32 v171, v39
	;; [unrolled: 1-line block ×8, first 2 shown]
	s_delay_alu instid0(VALU_DEP_3)
	v_dual_mov_b32 v140, v176 :: v_dual_mov_b32 v141, v177
	v_dual_mov_b32 v138, v174 :: v_dual_mov_b32 v139, v175
	;; [unrolled: 1-line block ×3, first 2 shown]
	v_mov_b32_e32 v146, v182
	v_dual_mov_b32 v136, v172 :: v_dual_mov_b32 v137, v173
	v_mov_b32_e32 v138, v42
	v_dual_mov_b32 v142, v178 :: v_dual_mov_b32 v143, v179
	v_mov_b32_e32 v53, v52
	v_mov_b32_e32 v139, v43
	;; [unrolled: 1-line block ×3, first 2 shown]
	v_dual_mov_b32 v147, v159 :: v_dual_mov_b32 v148, v160
	v_mov_b32_e32 v151, v163
	v_dual_mov_b32 v149, v161 :: v_dual_mov_b32 v150, v162
	v_dual_mov_b32 v153, v165 :: v_dual_mov_b32 v152, v164
	;; [unrolled: 1-line block ×16, first 2 shown]
	v_mov_b32_e32 v122, v146
	v_dual_mov_b32 v114, v138 :: v_dual_mov_b32 v117, v141
	v_dual_mov_b32 v116, v140 :: v_dual_mov_b32 v119, v143
	;; [unrolled: 1-line block ×14, first 2 shown]
	v_mov_b32_e32 v82, v118
	v_dual_mov_b32 v76, v112 :: v_dual_mov_b32 v81, v117
	v_dual_mov_b32 v80, v116 :: v_dual_mov_b32 v85, v121
	;; [unrolled: 1-line block ×6, first 2 shown]
	v_mov_b32_e32 v81, v45
	v_dual_mov_b32 v65, v89 :: v_dual_mov_b32 v72, v96
	v_mov_b32_e32 v29, v14
	s_delay_alu instid0(VALU_DEP_3)
	v_dual_mov_b32 v110, v86 :: v_dual_mov_b32 v105, v81
	v_dual_mov_b32 v70, v94 :: v_dual_mov_b32 v73, v97
	v_dual_mov_b32 v106, v82 :: v_dual_mov_b32 v103, v79
	v_dual_mov_b32 v102, v78 :: v_dual_mov_b32 v99, v75
	v_dual_mov_b32 v64, v88 :: v_dual_mov_b32 v67, v91
	v_dual_mov_b32 v66, v90 :: v_dual_mov_b32 v69, v93
	v_dual_mov_b32 v68, v92 :: v_dual_mov_b32 v71, v95
	v_dual_mov_b32 v74, v98 :: v_dual_mov_b32 v109, v85
	v_dual_mov_b32 v70, v58 :: v_dual_mov_b32 v107, v83
	v_dual_mov_b32 v13, v14 :: v_dual_mov_b32 v108, v84
	v_dual_mov_b32 v104, v80 :: v_dual_mov_b32 v101, v77
	v_mov_b32_e32 v106, v46
	s_clause 0x2
	scratch_store_b128 off, v[1:4], off offset:48
	scratch_store_b128 off, v[5:8], off offset:64
	;; [unrolled: 1-line block ×3, first 2 shown]
	v_dual_mov_b32 v100, v76 :: v_dual_mov_b32 v1, v63
	v_dual_mov_b32 v10, v72 :: v_dual_mov_b32 v3, v65
	;; [unrolled: 1-line block ×16, first 2 shown]
	v_mov_b32_e32 v26, v50
.LBB300_49:
	s_or_b32 exec_lo, exec_lo, s2
	v_mov_b32_e32 v14, v30
	s_mov_b32 s2, exec_lo
	v_cmpx_lt_f32_e32 v13, v30
	s_cbranch_execz .LBB300_51
; %bb.50:
	s_clause 0x2
	scratch_load_b128 v[1:4], off, off
	scratch_load_b128 v[5:8], off, off offset:16
	scratch_load_b128 v[9:12], off, off offset:32
	v_mov_b32_e32 v161, v54
	v_dual_mov_b32 v29, v30 :: v_dual_mov_b32 v30, v13
	v_mov_b32_e32 v54, v53
	s_waitcnt vmcnt(0)
	v_dual_mov_b32 v170, v12 :: v_dual_mov_b32 v169, v11
	v_mov_b32_e32 v162, v4
	v_dual_mov_b32 v162, v53 :: v_dual_mov_b32 v173, v42
	v_dual_mov_b32 v160, v2 :: v_dual_mov_b32 v135, v171
	;; [unrolled: 1-line block ×4, first 2 shown]
	v_mov_b32_e32 v165, v7
	s_delay_alu instid0(VALU_DEP_3)
	v_dual_mov_b32 v1, v159 :: v_dual_mov_b32 v2, v160
	v_dual_mov_b32 v136, v172 :: v_dual_mov_b32 v3, v161
	v_mov_b32_e32 v138, v174
	v_dual_mov_b32 v164, v6 :: v_dual_mov_b32 v163, v5
	s_clause 0x2
	scratch_store_b128 off, v[1:4], off
	scratch_store_b128 off, v[5:8], off offset:16
	scratch_store_b128 off, v[9:12], off offset:32
	v_dual_mov_b32 v137, v173 :: v_dual_mov_b32 v140, v176
	v_dual_mov_b32 v138, v41 :: v_dual_mov_b32 v147, v159
	v_dual_mov_b32 v139, v175 :: v_dual_mov_b32 v142, v178
	v_dual_mov_b32 v145, v181 :: v_dual_mov_b32 v148, v160
	v_dual_mov_b32 v151, v163 :: v_dual_mov_b32 v152, v164
	v_dual_mov_b32 v141, v177 :: v_dual_mov_b32 v144, v180
	v_dual_mov_b32 v143, v179 :: v_dual_mov_b32 v146, v182
	v_dual_mov_b32 v149, v161 :: v_dual_mov_b32 v150, v162
	v_dual_mov_b32 v153, v165 :: v_dual_mov_b32 v154, v166
	v_dual_mov_b32 v155, v167 :: v_dual_mov_b32 v156, v168
	v_dual_mov_b32 v157, v169 :: v_dual_mov_b32 v158, v170
	v_dual_mov_b32 v151, v55 :: v_dual_mov_b32 v6, v140
	v_mov_b32_e32 v139, v43
	v_dual_mov_b32 v123, v147 :: v_dual_mov_b32 v126, v150
	v_dual_mov_b32 v124, v148 :: v_dual_mov_b32 v111, v135
	;; [unrolled: 1-line block ×3, first 2 shown]
	s_delay_alu instid0(VALU_DEP_4)
	v_dual_mov_b32 v128, v152 :: v_dual_mov_b32 v115, v139
	v_dual_mov_b32 v116, v140 :: v_dual_mov_b32 v121, v145
	;; [unrolled: 1-line block ×6, first 2 shown]
	v_mov_b32_e32 v128, v56
	v_dual_mov_b32 v116, v44 :: v_dual_mov_b32 v87, v123
	v_dual_mov_b32 v113, v137 :: v_dual_mov_b32 v114, v138
	;; [unrolled: 1-line block ×17, first 2 shown]
	v_mov_b32_e32 v81, v45
	v_dual_mov_b32 v7, v141 :: v_dual_mov_b32 v8, v142
	v_dual_mov_b32 v9, v143 :: v_dual_mov_b32 v10, v144
	v_dual_mov_b32 v11, v145 :: v_dual_mov_b32 v12, v146
	v_dual_mov_b32 v3, v137 :: v_dual_mov_b32 v4, v138
	v_dual_mov_b32 v63, v87 :: v_dual_mov_b32 v66, v90
	v_mov_b32_e32 v64, v88
	v_dual_mov_b32 v110, v86 :: v_dual_mov_b32 v109, v85
	v_dual_mov_b32 v65, v89 :: v_dual_mov_b32 v68, v92
	;; [unrolled: 1-line block ×10, first 2 shown]
	v_mov_b32_e32 v102, v78
	v_dual_mov_b32 v42, v41 :: v_dual_mov_b32 v103, v79
	v_mov_b32_e32 v100, v76
	v_mov_b32_e32 v106, v46
	s_clause 0x2
	scratch_store_b128 off, v[1:4], off offset:48
	scratch_store_b128 off, v[5:8], off offset:64
	;; [unrolled: 1-line block ×3, first 2 shown]
	v_mov_b32_e32 v1, v63
	v_mov_b32_e32 v5, v67
	v_dual_mov_b32 v3, v65 :: v_dual_mov_b32 v12, v74
	v_dual_mov_b32 v15, v99 :: v_dual_mov_b32 v4, v66
	;; [unrolled: 1-line block ×14, first 2 shown]
	v_mov_b32_e32 v24, v48
	v_mov_b32_e32 v26, v50
.LBB300_51:
	s_or_b32 exec_lo, exec_lo, s2
	v_mov_b32_e32 v13, v31
	s_mov_b32 s2, exec_lo
	v_cmpx_lt_f32_e32 v14, v31
	s_cbranch_execz .LBB300_53
; %bb.52:
	s_clause 0x2
	scratch_load_b128 v[1:4], off, off
	scratch_load_b128 v[5:8], off, off offset:16
	scratch_load_b128 v[9:12], off, off offset:32
	v_dual_mov_b32 v30, v31 :: v_dual_mov_b32 v31, v14
	v_dual_mov_b32 v13, v14 :: v_dual_mov_b32 v162, v55
	v_mov_b32_e32 v55, v54
	s_waitcnt vmcnt(2)
	v_dual_mov_b32 v161, v3 :: v_dual_mov_b32 v160, v2
	s_waitcnt vmcnt(0)
	v_dual_mov_b32 v159, v1 :: v_dual_mov_b32 v170, v12
	v_dual_mov_b32 v169, v11 :: v_dual_mov_b32 v168, v10
	;; [unrolled: 1-line block ×8, first 2 shown]
	s_delay_alu instid0(VALU_DEP_4)
	v_dual_mov_b32 v151, v163 :: v_dual_mov_b32 v156, v168
	v_dual_mov_b32 v157, v169 :: v_dual_mov_b32 v136, v172
	;; [unrolled: 1-line block ×8, first 2 shown]
	v_mov_b32_e32 v145, v181
	v_mov_b32_e32 v139, v42
	;; [unrolled: 1-line block ×3, first 2 shown]
	v_dual_mov_b32 v146, v182 :: v_dual_mov_b32 v123, v147
	v_dual_mov_b32 v111, v135 :: v_dual_mov_b32 v112, v136
	;; [unrolled: 1-line block ×3, first 2 shown]
	s_delay_alu instid0(VALU_DEP_4)
	v_dual_mov_b32 v124, v148 :: v_dual_mov_b32 v127, v151
	v_dual_mov_b32 v128, v152 :: v_dual_mov_b32 v131, v155
	;; [unrolled: 1-line block ×9, first 2 shown]
	v_mov_b32_e32 v120, v144
	v_dual_mov_b32 v116, v44 :: v_dual_mov_b32 v87, v123
	v_mov_b32_e32 v114, v138
	v_dual_mov_b32 v98, v134 :: v_dual_mov_b32 v75, v111
	v_dual_mov_b32 v88, v124 :: v_dual_mov_b32 v89, v125
	;; [unrolled: 1-line block ×3, first 2 shown]
	v_mov_b32_e32 v86, v122
	v_dual_mov_b32 v90, v126 :: v_dual_mov_b32 v91, v127
	v_dual_mov_b32 v92, v128 :: v_dual_mov_b32 v93, v129
	;; [unrolled: 1-line block ×8, first 2 shown]
	v_mov_b32_e32 v79, v115
	v_mov_b32_e32 v81, v45
	v_dual_mov_b32 v63, v87 :: v_dual_mov_b32 v66, v90
	v_dual_mov_b32 v64, v88 :: v_dual_mov_b32 v73, v97
	;; [unrolled: 1-line block ×9, first 2 shown]
	v_mov_b32_e32 v108, v84
	v_dual_mov_b32 v106, v46 :: v_dual_mov_b32 v1, v63
	v_dual_mov_b32 v105, v81 :: v_dual_mov_b32 v104, v80
	;; [unrolled: 1-line block ×19, first 2 shown]
	v_mov_b32_e32 v26, v50
	v_mov_b32_e32 v43, v42
	s_clause 0x2
	scratch_store_b128 off, v[171:174], off offset:48
	scratch_store_b128 off, v[175:178], off offset:64
	scratch_store_b128 off, v[179:182], off offset:80
.LBB300_53:
	s_or_b32 exec_lo, exec_lo, s2
	v_mov_b32_e32 v14, v32
	s_mov_b32 s2, exec_lo
	v_cmpx_lt_f32_e32 v13, v32
	s_cbranch_execz .LBB300_55
; %bb.54:
	s_clause 0x2
	scratch_load_b128 v[1:4], off, off offset:48
	scratch_load_b128 v[5:8], off, off offset:64
	;; [unrolled: 1-line block ×3, first 2 shown]
	v_dual_mov_b32 v163, v56 :: v_dual_mov_b32 v14, v13
	v_dual_mov_b32 v56, v55 :: v_dual_mov_b32 v31, v32
	s_waitcnt vmcnt(2)
	v_dual_mov_b32 v138, v4 :: v_dual_mov_b32 v137, v3
	s_waitcnt vmcnt(0)
	v_dual_mov_b32 v146, v12 :: v_dual_mov_b32 v145, v11
	v_dual_mov_b32 v136, v2 :: v_dual_mov_b32 v135, v1
	;; [unrolled: 1-line block ×17, first 2 shown]
	v_mov_b32_e32 v120, v144
	v_mov_b32_e32 v116, v43
	v_dual_mov_b32 v87, v123 :: v_dual_mov_b32 v88, v124
	v_dual_mov_b32 v89, v125 :: v_dual_mov_b32 v98, v134
	;; [unrolled: 1-line block ×12, first 2 shown]
	v_mov_b32_e32 v79, v115
	v_mov_b32_e32 v81, v45
	v_dual_mov_b32 v63, v87 :: v_dual_mov_b32 v66, v90
	v_dual_mov_b32 v64, v88 :: v_dual_mov_b32 v73, v97
	;; [unrolled: 1-line block ×8, first 2 shown]
	v_mov_b32_e32 v70, v58
	v_dual_mov_b32 v106, v46 :: v_dual_mov_b32 v65, v89
	v_dual_mov_b32 v68, v92 :: v_dual_mov_b32 v105, v81
	;; [unrolled: 1-line block ×4, first 2 shown]
	v_mov_b32_e32 v100, v76
	v_dual_mov_b32 v32, v13 :: v_dual_mov_b32 v1, v63
	v_dual_mov_b32 v12, v74 :: v_dual_mov_b32 v15, v99
	v_mov_b32_e32 v26, v110
	v_dual_mov_b32 v8, v70 :: v_dual_mov_b32 v9, v71
	v_dual_mov_b32 v10, v72 :: v_dual_mov_b32 v11, v73
	;; [unrolled: 1-line block ×20, first 2 shown]
	v_mov_b32_e32 v44, v43
.LBB300_55:
	s_or_b32 exec_lo, exec_lo, s2
	v_mov_b32_e32 v13, v33
	s_mov_b32 s2, exec_lo
	v_cmpx_lt_f32_e32 v14, v33
	s_cbranch_execz .LBB300_57
; %bb.56:
	v_mov_b32_e32 v140, v45
	v_dual_mov_b32 v152, v57 :: v_dual_mov_b32 v75, v135
	v_dual_mov_b32 v87, v147 :: v_dual_mov_b32 v90, v150
	;; [unrolled: 1-line block ×3, first 2 shown]
	s_delay_alu instid0(VALU_DEP_3)
	v_dual_mov_b32 v92, v152 :: v_dual_mov_b32 v93, v153
	v_dual_mov_b32 v76, v136 :: v_dual_mov_b32 v79, v139
	;; [unrolled: 1-line block ×6, first 2 shown]
	v_mov_b32_e32 v93, v56
	v_dual_mov_b32 v84, v144 :: v_dual_mov_b32 v63, v87
	v_dual_mov_b32 v78, v138 :: v_dual_mov_b32 v81, v141
	;; [unrolled: 1-line block ×5, first 2 shown]
	s_delay_alu instid0(VALU_DEP_3) | instskip(SKIP_1) | instid1(VALU_DEP_4)
	v_dual_mov_b32 v110, v86 :: v_dual_mov_b32 v109, v85
	v_dual_mov_b32 v100, v76 :: v_dual_mov_b32 v99, v75
	v_dual_mov_b32 v108, v84 :: v_dual_mov_b32 v107, v83
	v_dual_mov_b32 v69, v93 :: v_dual_mov_b32 v70, v94
	v_dual_mov_b32 v106, v82 :: v_dual_mov_b32 v105, v81
	v_dual_mov_b32 v64, v88 :: v_dual_mov_b32 v65, v89
	v_dual_mov_b32 v67, v91 :: v_dual_mov_b32 v68, v92
	v_dual_mov_b32 v71, v95 :: v_dual_mov_b32 v72, v96
	v_dual_mov_b32 v73, v97 :: v_dual_mov_b32 v74, v98
	v_dual_mov_b32 v104, v80 :: v_dual_mov_b32 v103, v79
	v_dual_mov_b32 v102, v78 :: v_dual_mov_b32 v101, v77
	v_mov_b32_e32 v106, v46
	v_dual_mov_b32 v70, v58 :: v_dual_mov_b32 v15, v99
	v_dual_mov_b32 v1, v63 :: v_dual_mov_b32 v24, v108
	;; [unrolled: 1-line block ×3, first 2 shown]
	s_delay_alu instid0(VALU_DEP_3)
	v_dual_mov_b32 v8, v70 :: v_dual_mov_b32 v9, v71
	v_dual_mov_b32 v10, v72 :: v_dual_mov_b32 v11, v73
	;; [unrolled: 1-line block ×26, first 2 shown]
	v_mov_b32_e32 v13, v14
	v_dual_mov_b32 v134, v158 :: v_dual_mov_b32 v45, v44
	v_mov_b32_e32 v57, v56
.LBB300_57:
	s_or_b32 exec_lo, exec_lo, s2
	v_mov_b32_e32 v14, v34
	s_mov_b32 s2, exec_lo
	v_cmpx_lt_f32_e32 v13, v34
	s_cbranch_execz .LBB300_59
; %bb.58:
	v_mov_b32_e32 v129, v58
	v_dual_mov_b32 v63, v123 :: v_dual_mov_b32 v70, v130
	v_dual_mov_b32 v70, v57 :: v_dual_mov_b32 v71, v131
	v_dual_mov_b32 v117, v46 :: v_dual_mov_b32 v64, v124
	v_dual_mov_b32 v99, v111 :: v_dual_mov_b32 v102, v114
	v_dual_mov_b32 v65, v125 :: v_dual_mov_b32 v68, v128
	v_dual_mov_b32 v66, v126 :: v_dual_mov_b32 v67, v127
	v_dual_mov_b32 v72, v132 :: v_dual_mov_b32 v69, v129
	v_dual_mov_b32 v74, v134 :: v_dual_mov_b32 v73, v133
	v_dual_mov_b32 v100, v112 :: v_dual_mov_b32 v103, v115
	v_dual_mov_b32 v106, v118 :: v_dual_mov_b32 v105, v117
	v_dual_mov_b32 v108, v120 :: v_dual_mov_b32 v107, v119
	v_dual_mov_b32 v110, v122 :: v_dual_mov_b32 v109, v121
	v_dual_mov_b32 v101, v113 :: v_dual_mov_b32 v104, v116
	v_dual_mov_b32 v106, v45 :: v_dual_mov_b32 v1, v63
	v_dual_mov_b32 v2, v64 :: v_dual_mov_b32 v15, v99
	v_dual_mov_b32 v16, v100 :: v_dual_mov_b32 v9, v71
	v_dual_mov_b32 v10, v72 :: v_dual_mov_b32 v11, v73
	v_dual_mov_b32 v12, v74 :: v_dual_mov_b32 v23, v107
	v_dual_mov_b32 v24, v108 :: v_dual_mov_b32 v25, v109
	v_dual_mov_b32 v26, v110 :: v_dual_mov_b32 v75, v111
	v_dual_mov_b32 v76, v112 :: v_dual_mov_b32 v87, v123
	v_dual_mov_b32 v88, v124 :: v_dual_mov_b32 v33, v34
	v_mov_b32_e32 v34, v13
	v_dual_mov_b32 v3, v65 :: v_dual_mov_b32 v4, v66
	v_dual_mov_b32 v5, v67 :: v_dual_mov_b32 v6, v68
	v_dual_mov_b32 v7, v69 :: v_dual_mov_b32 v8, v70
	v_dual_mov_b32 v9, v59 :: v_dual_mov_b32 v10, v60
	v_dual_mov_b32 v11, v61 :: v_dual_mov_b32 v12, v62
	v_dual_mov_b32 v17, v101 :: v_dual_mov_b32 v18, v102
	v_dual_mov_b32 v19, v103 :: v_dual_mov_b32 v20, v104
	v_dual_mov_b32 v21, v105 :: v_dual_mov_b32 v22, v106
	v_dual_mov_b32 v23, v47 :: v_dual_mov_b32 v24, v48
	v_dual_mov_b32 v25, v49 :: v_dual_mov_b32 v26, v50
	v_dual_mov_b32 v77, v113 :: v_dual_mov_b32 v78, v114
	v_dual_mov_b32 v79, v115 :: v_dual_mov_b32 v80, v116
	v_dual_mov_b32 v81, v117 :: v_dual_mov_b32 v82, v118
	v_dual_mov_b32 v83, v119 :: v_dual_mov_b32 v84, v120
	v_dual_mov_b32 v85, v121 :: v_dual_mov_b32 v86, v122
	v_dual_mov_b32 v89, v125 :: v_dual_mov_b32 v90, v126
	v_dual_mov_b32 v91, v127 :: v_dual_mov_b32 v92, v128
	v_dual_mov_b32 v93, v129 :: v_dual_mov_b32 v94, v130
	v_dual_mov_b32 v95, v131 :: v_dual_mov_b32 v96, v132
	v_dual_mov_b32 v97, v133 :: v_dual_mov_b32 v98, v134
	v_mov_b32_e32 v14, v13
	v_mov_b32_e32 v46, v45
	;; [unrolled: 1-line block ×3, first 2 shown]
.LBB300_59:
	s_or_b32 exec_lo, exec_lo, s2
	v_mov_b32_e32 v13, v35
	s_mov_b32 s2, exec_lo
	v_cmpx_lt_f32_e32 v14, v35
	s_cbranch_execz .LBB300_61
; %bb.60:
	v_mov_b32_e32 v94, v59
	v_dual_mov_b32 v34, v35 :: v_dual_mov_b32 v35, v14
	v_mov_b32_e32 v82, v47
	v_dual_mov_b32 v1, v87 :: v_dual_mov_b32 v2, v88
	v_dual_mov_b32 v10, v96 :: v_dual_mov_b32 v7, v93
	;; [unrolled: 1-line block ×13, first 2 shown]
	v_mov_b32_e32 v5, v91
	v_mov_b32_e32 v9, v58
	v_dual_mov_b32 v12, v62 :: v_dual_mov_b32 v17, v77
	v_dual_mov_b32 v16, v76 :: v_dual_mov_b32 v19, v79
	;; [unrolled: 1-line block ×14, first 2 shown]
	v_mov_b32_e32 v47, v46
	v_mov_b32_e32 v59, v58
	;; [unrolled: 1-line block ×3, first 2 shown]
.LBB300_61:
	s_or_b32 exec_lo, exec_lo, s2
	v_mov_b32_e32 v39, v36
	s_mov_b32 s2, exec_lo
	v_cmpx_lt_f32_e32 v13, v36
	s_cbranch_execz .LBB300_63
; %bb.62:
	v_dual_mov_b32 v71, v60 :: v_dual_mov_b32 v72, v59
	v_dual_mov_b32 v73, v61 :: v_dual_mov_b32 v108, v47
	v_dual_mov_b32 v107, v48 :: v_dual_mov_b32 v110, v50
	v_dual_mov_b32 v109, v49 :: v_dual_mov_b32 v74, v62
	v_dual_mov_b32 v15, v99 :: v_dual_mov_b32 v16, v100
	v_dual_mov_b32 v1, v63 :: v_dual_mov_b32 v2, v64
	v_dual_mov_b32 v35, v36 :: v_dual_mov_b32 v36, v13
	v_dual_mov_b32 v17, v101 :: v_dual_mov_b32 v18, v102
	v_dual_mov_b32 v19, v103 :: v_dual_mov_b32 v20, v104
	v_dual_mov_b32 v21, v105 :: v_dual_mov_b32 v22, v106
	v_dual_mov_b32 v23, v107 :: v_dual_mov_b32 v24, v108
	v_dual_mov_b32 v25, v109 :: v_dual_mov_b32 v26, v110
	v_dual_mov_b32 v3, v65 :: v_dual_mov_b32 v4, v66
	v_dual_mov_b32 v5, v67 :: v_dual_mov_b32 v6, v68
	v_dual_mov_b32 v7, v69 :: v_dual_mov_b32 v8, v70
	v_dual_mov_b32 v9, v71 :: v_dual_mov_b32 v10, v72
	v_dual_mov_b32 v11, v73 :: v_dual_mov_b32 v12, v74
	v_mov_b32_e32 v39, v13
.LBB300_63:
	s_or_b32 exec_lo, exec_lo, s2
	s_delay_alu instid0(VALU_DEP_1)
	v_cmp_lt_f32_e32 vcc_lo, v39, v37
	v_dual_mov_b32 v40, v28 :: v_dual_mov_b32 v43, v31
	v_dual_mov_b32 v42, v30 :: v_dual_mov_b32 v45, v33
	v_dual_cndmask_b32 v13, v25, v24 :: v_dual_cndmask_b32 v24, v24, v25
	v_dual_cndmask_b32 v14, v11, v10 :: v_dual_cndmask_b32 v49, v37, v39
	v_dual_cndmask_b32 v10, v10, v11 :: v_dual_mov_b32 v39, v27
	v_dual_cndmask_b32 v48, v36, v37 :: v_dual_mov_b32 v41, v29
	v_dual_mov_b32 v44, v32 :: v_dual_mov_b32 v47, v35
	v_mov_b32_e32 v46, v34
	v_mov_b32_e32 v50, v38
	s_mov_b32 s2, exec_lo
	v_cmpx_lt_f32_e32 v27, v28
	s_cbranch_execz .LBB300_65
; %bb.64:
	v_dual_mov_b32 v28, v40 :: v_dual_mov_b32 v29, v39
	v_dual_mov_b32 v38, v49 :: v_dual_mov_b32 v39, v50
	;; [unrolled: 1-line block ×7, first 2 shown]
	v_mov_b32_e32 v11, v15
	v_swap_b32 v15, v16
	s_delay_alu instid0(VALU_DEP_4)
	v_mov_b32_e32 v48, v37
	v_swap_b32 v1, v2
	v_dual_mov_b32 v49, v38 :: v_dual_mov_b32 v46, v35
	v_dual_mov_b32 v47, v36 :: v_dual_mov_b32 v44, v33
	;; [unrolled: 1-line block ×4, first 2 shown]
	v_mov_b32_e32 v41, v30
	v_dual_mov_b32 v39, v28 :: v_dual_mov_b32 v28, v27
.LBB300_65:
	s_or_b32 exec_lo, exec_lo, s2
	v_mov_b32_e32 v11, v14
	v_dual_mov_b32 v25, v13 :: v_dual_mov_b32 v62, v12
	v_dual_mov_b32 v74, v26 :: v_dual_mov_b32 v63, v15
	v_mov_b32_e32 v86, v26
	v_dual_mov_b32 v72, v24 :: v_dual_mov_b32 v75, v15
	v_dual_mov_b32 v110, v26 :: v_dual_mov_b32 v53, v3
	v_dual_mov_b32 v98, v12 :: v_dual_mov_b32 v99, v15
	v_dual_mov_b32 v134, v26 :: v_dual_mov_b32 v89, v3
	v_dual_mov_b32 v122, v12 :: v_dual_mov_b32 v123, v15
	v_dual_mov_b32 v170, v26 :: v_dual_mov_b32 v113, v3
	v_dual_mov_b32 v146, v12 :: v_dual_mov_b32 v159, v15
	v_dual_mov_b32 v182, v26 :: v_dual_mov_b32 v137, v3
	v_dual_mov_b32 v158, v12 :: v_dual_mov_b32 v73, v25
	v_dual_mov_b32 v71, v23 :: v_dual_mov_b32 v70, v22
	v_dual_mov_b32 v69, v21 :: v_dual_mov_b32 v68, v20
	v_dual_mov_b32 v67, v19 :: v_dual_mov_b32 v66, v18
	v_dual_mov_b32 v65, v17 :: v_dual_mov_b32 v64, v16
	v_dual_mov_b32 v81, v21 :: v_dual_mov_b32 v80, v20
	v_dual_mov_b32 v79, v19 :: v_dual_mov_b32 v78, v18
	v_dual_mov_b32 v77, v17 :: v_dual_mov_b32 v76, v16
	v_dual_mov_b32 v109, v25 :: v_dual_mov_b32 v108, v24
	v_dual_mov_b32 v107, v23 :: v_dual_mov_b32 v106, v22
	v_dual_mov_b32 v105, v21 :: v_dual_mov_b32 v104, v20
	v_dual_mov_b32 v103, v19 :: v_dual_mov_b32 v102, v18
	v_dual_mov_b32 v101, v17 :: v_dual_mov_b32 v100, v16
	v_dual_mov_b32 v133, v25 :: v_dual_mov_b32 v132, v24
	v_dual_mov_b32 v131, v23 :: v_dual_mov_b32 v130, v22
	v_dual_mov_b32 v129, v21 :: v_dual_mov_b32 v128, v20
	v_dual_mov_b32 v127, v19 :: v_dual_mov_b32 v126, v18
	v_dual_mov_b32 v125, v17 :: v_dual_mov_b32 v124, v16
	v_dual_mov_b32 v169, v25 :: v_dual_mov_b32 v168, v24
	v_dual_mov_b32 v167, v23 :: v_dual_mov_b32 v166, v22
	v_dual_mov_b32 v165, v21 :: v_dual_mov_b32 v164, v20
	v_dual_mov_b32 v163, v19 :: v_dual_mov_b32 v162, v18
	v_dual_mov_b32 v161, v17 :: v_dual_mov_b32 v160, v16
	v_dual_mov_b32 v181, v25 :: v_dual_mov_b32 v180, v24
	v_dual_mov_b32 v179, v23 :: v_dual_mov_b32 v178, v22
	v_dual_mov_b32 v177, v21 :: v_dual_mov_b32 v176, v20
	v_dual_mov_b32 v175, v19 :: v_dual_mov_b32 v174, v18
	v_dual_mov_b32 v173, v17 :: v_dual_mov_b32 v172, v16
	v_dual_mov_b32 v171, v15 :: v_dual_mov_b32 v60, v10
	v_dual_mov_b32 v61, v11 :: v_dual_mov_b32 v58, v8
	v_dual_mov_b32 v59, v9 :: v_dual_mov_b32 v56, v6
	v_dual_mov_b32 v57, v7 :: v_dual_mov_b32 v54, v4
	v_dual_mov_b32 v55, v5 :: v_dual_mov_b32 v52, v2
	v_dual_mov_b32 v51, v1 :: v_dual_mov_b32 v96, v10
	v_dual_mov_b32 v97, v11 :: v_dual_mov_b32 v94, v8
	v_dual_mov_b32 v95, v9 :: v_dual_mov_b32 v92, v6
	v_dual_mov_b32 v93, v7 :: v_dual_mov_b32 v90, v4
	v_dual_mov_b32 v91, v5 :: v_dual_mov_b32 v88, v2
	v_dual_mov_b32 v87, v1 :: v_dual_mov_b32 v120, v10
	v_dual_mov_b32 v121, v11 :: v_dual_mov_b32 v118, v8
	v_dual_mov_b32 v119, v9 :: v_dual_mov_b32 v116, v6
	v_dual_mov_b32 v117, v7 :: v_dual_mov_b32 v114, v4
	v_dual_mov_b32 v115, v5 :: v_dual_mov_b32 v112, v2
	v_dual_mov_b32 v111, v1 :: v_dual_mov_b32 v144, v10
	v_dual_mov_b32 v145, v11 :: v_dual_mov_b32 v142, v8
	v_dual_mov_b32 v143, v9 :: v_dual_mov_b32 v140, v6
	v_dual_mov_b32 v141, v7 :: v_dual_mov_b32 v138, v4
	v_dual_mov_b32 v139, v5 :: v_dual_mov_b32 v136, v2
	v_dual_mov_b32 v135, v1 :: v_dual_mov_b32 v156, v10
	v_dual_mov_b32 v157, v11 :: v_dual_mov_b32 v154, v8
	v_dual_mov_b32 v155, v9 :: v_dual_mov_b32 v152, v6
	v_dual_mov_b32 v153, v7 :: v_dual_mov_b32 v150, v4
	v_dual_mov_b32 v151, v5 :: v_dual_mov_b32 v148, v2
	v_mov_b32_e32 v149, v3
	v_mov_b32_e32 v147, v1
	;; [unrolled: 1-line block ×3, first 2 shown]
	s_mov_b32 s2, exec_lo
	v_dual_mov_b32 v85, v25 :: v_dual_mov_b32 v84, v24
	v_dual_mov_b32 v83, v23 :: v_dual_mov_b32 v82, v22
	s_clause 0x2
	scratch_store_b128 off, v[1:4], off
	scratch_store_b128 off, v[5:8], off offset:16
	scratch_store_b128 off, v[9:12], off offset:32
	v_cmpx_lt_f32_e32 v28, v41
	s_cbranch_execz .LBB300_67
; %bb.66:
	v_dual_mov_b32 v158, v12 :: v_dual_mov_b32 v157, v11
	v_dual_mov_b32 v150, v4 :: v_dual_mov_b32 v149, v3
	;; [unrolled: 1-line block ×7, first 2 shown]
	s_clause 0x2
	scratch_store_b128 off, v[147:150], off
	scratch_store_b128 off, v[151:154], off offset:16
	scratch_store_b128 off, v[155:158], off offset:32
	v_dual_mov_b32 v182, v26 :: v_dual_mov_b32 v181, v25
	v_dual_mov_b32 v172, v16 :: v_dual_mov_b32 v171, v15
	;; [unrolled: 1-line block ×8, first 2 shown]
	s_delay_alu instid0(VALU_DEP_4) | instskip(SKIP_1) | instid1(VALU_DEP_4)
	v_dual_mov_b32 v160, v172 :: v_dual_mov_b32 v161, v173
	v_dual_mov_b32 v162, v174 :: v_dual_mov_b32 v163, v175
	;; [unrolled: 1-line block ×4, first 2 shown]
	v_mov_b32_e32 v170, v182
	v_dual_mov_b32 v166, v178 :: v_dual_mov_b32 v167, v179
	v_mov_b32_e32 v162, v18
	v_dual_mov_b32 v40, v41 :: v_dual_mov_b32 v41, v28
	v_mov_b32_e32 v3, v2
	v_mov_b32_e32 v17, v16
	;; [unrolled: 1-line block ×3, first 2 shown]
	v_dual_mov_b32 v137, v149 :: v_dual_mov_b32 v144, v156
	v_dual_mov_b32 v123, v159 :: v_dual_mov_b32 v136, v148
	;; [unrolled: 1-line block ×12, first 2 shown]
	v_mov_b32_e32 v133, v169
	v_dual_mov_b32 v111, v135 :: v_dual_mov_b32 v112, v136
	v_dual_mov_b32 v99, v123 :: v_dual_mov_b32 v100, v124
	;; [unrolled: 1-line block ×12, first 2 shown]
	v_mov_b32_e32 v104, v20
	v_dual_mov_b32 v116, v6 :: v_dual_mov_b32 v75, v99
	v_mov_b32_e32 v87, v111
	v_dual_mov_b32 v93, v117 :: v_dual_mov_b32 v78, v102
	s_delay_alu instid0(VALU_DEP_3)
	v_dual_mov_b32 v81, v105 :: v_dual_mov_b32 v92, v116
	v_dual_mov_b32 v90, v114 :: v_dual_mov_b32 v91, v115
	;; [unrolled: 1-line block ×11, first 2 shown]
	v_mov_b32_e32 v51, v87
	v_dual_mov_b32 v63, v75 :: v_dual_mov_b32 v66, v78
	v_dual_mov_b32 v55, v91 :: v_dual_mov_b32 v58, v94
	;; [unrolled: 1-line block ×13, first 2 shown]
	v_mov_b32_e32 v60, v10
	v_dual_mov_b32 v61, v14 :: v_dual_mov_b32 v62, v12
	v_dual_mov_b32 v70, v22 :: v_dual_mov_b32 v71, v23
	;; [unrolled: 1-line block ×3, first 2 shown]
	v_mov_b32_e32 v74, v26
.LBB300_67:
	s_or_b32 exec_lo, exec_lo, s2
	v_mov_b32_e32 v1, v42
	v_cmp_lt_f32_e32 vcc_lo, v11, v42
	s_mov_b32 s2, exec_lo
	s_clause 0x2
	scratch_load_b128 v[27:30], off, off
	scratch_load_b128 v[31:34], off, off offset:16
	scratch_load_b128 v[35:38], off, off offset:32
	s_and_b32 s3, s2, vcc_lo
	s_delay_alu instid0(SALU_CYCLE_1)
	s_mov_b32 exec_lo, s3
	s_cbranch_execz .LBB300_69
; %bb.68:
	v_mov_b32_e32 v173, v18
	s_waitcnt vmcnt(2)
	v_mov_b32_e32 v29, v4
	v_dual_mov_b32 v159, v171 :: v_dual_mov_b32 v162, v174
	s_waitcnt vmcnt(0)
	v_dual_mov_b32 v158, v38 :: v_dual_mov_b32 v157, v37
	v_dual_mov_b32 v156, v36 :: v_dual_mov_b32 v147, v27
	;; [unrolled: 1-line block ×6, first 2 shown]
	v_mov_b32_e32 v168, v180
	v_dual_mov_b32 v164, v176 :: v_dual_mov_b32 v165, v177
	v_dual_mov_b32 v170, v182 :: v_dual_mov_b32 v155, v35
	;; [unrolled: 1-line block ×4, first 2 shown]
	v_mov_b32_e32 v162, v17
	v_dual_mov_b32 v169, v181 :: v_dual_mov_b32 v150, v3
	v_dual_mov_b32 v123, v159 :: v_dual_mov_b32 v124, v160
	;; [unrolled: 1-line block ×3, first 2 shown]
	s_delay_alu instid0(VALU_DEP_3)
	v_dual_mov_b32 v137, v149 :: v_dual_mov_b32 v138, v150
	v_dual_mov_b32 v139, v151 :: v_dual_mov_b32 v140, v152
	;; [unrolled: 1-line block ×10, first 2 shown]
	v_mov_b32_e32 v127, v19
	v_mov_b32_e32 v139, v5
	v_dual_mov_b32 v99, v123 :: v_dual_mov_b32 v100, v124
	v_dual_mov_b32 v111, v135 :: v_dual_mov_b32 v114, v138
	;; [unrolled: 1-line block ×4, first 2 shown]
	v_mov_b32_e32 v120, v144
	v_dual_mov_b32 v104, v128 :: v_dual_mov_b32 v105, v129
	v_dual_mov_b32 v110, v134 :: v_dual_mov_b32 v115, v139
	;; [unrolled: 1-line block ×22, first 2 shown]
	v_mov_b32_e32 v93, v7
	v_dual_mov_b32 v63, v75 :: v_dual_mov_b32 v68, v80
	v_dual_mov_b32 v64, v76 :: v_dual_mov_b32 v51, v87
	;; [unrolled: 1-line block ×3, first 2 shown]
	s_delay_alu instid0(VALU_DEP_4)
	v_dual_mov_b32 v58, v94 :: v_dual_mov_b32 v57, v93
	v_dual_mov_b32 v60, v96 :: v_dual_mov_b32 v59, v95
	;; [unrolled: 1-line block ×8, first 2 shown]
	v_mov_b32_e32 v60, v10
	v_dual_mov_b32 v52, v88 :: v_dual_mov_b32 v53, v89
	v_dual_mov_b32 v56, v92 :: v_dual_mov_b32 v59, v9
	;; [unrolled: 1-line block ×3, first 2 shown]
	v_mov_b32_e32 v72, v24
	v_dual_mov_b32 v70, v22 :: v_dual_mov_b32 v71, v23
	v_dual_mov_b32 v73, v13 :: v_dual_mov_b32 v74, v26
	;; [unrolled: 1-line block ×3, first 2 shown]
	v_mov_b32_e32 v4, v3
.LBB300_69:
	s_or_b32 exec_lo, exec_lo, s2
	v_mov_b32_e32 v2, v43
	s_mov_b32 s2, exec_lo
	v_cmpx_lt_f32_e32 v1, v43
	s_cbranch_execz .LBB300_71
; %bb.70:
	v_mov_b32_e32 v174, v19
	s_waitcnt vmcnt(2)
	v_dual_mov_b32 v30, v5 :: v_dual_mov_b32 v123, v171
	s_waitcnt vmcnt(0)
	v_dual_mov_b32 v146, v38 :: v_dual_mov_b32 v143, v35
	v_dual_mov_b32 v145, v37 :: v_dual_mov_b32 v142, v34
	s_delay_alu instid0(VALU_DEP_3)
	v_dual_mov_b32 v139, v31 :: v_dual_mov_b32 v138, v30
	v_dual_mov_b32 v135, v27 :: v_dual_mov_b32 v124, v172
	;; [unrolled: 1-line block ×5, first 2 shown]
	v_mov_b32_e32 v127, v18
	v_dual_mov_b32 v134, v182 :: v_dual_mov_b32 v139, v4
	v_dual_mov_b32 v144, v36 :: v_dual_mov_b32 v141, v33
	;; [unrolled: 1-line block ×5, first 2 shown]
	s_delay_alu instid0(VALU_DEP_3)
	v_dual_mov_b32 v111, v135 :: v_dual_mov_b32 v112, v136
	v_dual_mov_b32 v99, v123 :: v_dual_mov_b32 v100, v124
	;; [unrolled: 1-line block ×12, first 2 shown]
	v_mov_b32_e32 v104, v20
	v_dual_mov_b32 v116, v6 :: v_dual_mov_b32 v75, v99
	v_mov_b32_e32 v87, v111
	v_dual_mov_b32 v93, v117 :: v_dual_mov_b32 v78, v102
	s_delay_alu instid0(VALU_DEP_3)
	v_dual_mov_b32 v81, v105 :: v_dual_mov_b32 v92, v116
	v_dual_mov_b32 v80, v104 :: v_dual_mov_b32 v83, v107
	;; [unrolled: 1-line block ×11, first 2 shown]
	v_mov_b32_e32 v63, v75
	s_delay_alu instid0(VALU_DEP_4)
	v_dual_mov_b32 v51, v87 :: v_dual_mov_b32 v52, v88
	v_dual_mov_b32 v71, v83 :: v_dual_mov_b32 v72, v84
	;; [unrolled: 1-line block ×14, first 2 shown]
	v_mov_b32_e32 v68, v80
	v_dual_mov_b32 v58, v8 :: v_dual_mov_b32 v59, v9
	v_dual_mov_b32 v60, v10 :: v_dual_mov_b32 v71, v23
	v_dual_mov_b32 v61, v14 :: v_dual_mov_b32 v62, v12
	v_dual_mov_b32 v70, v22 :: v_dual_mov_b32 v73, v13
	v_dual_mov_b32 v74, v26 :: v_dual_mov_b32 v161, v173
	v_dual_mov_b32 v160, v172 :: v_dual_mov_b32 v163, v175
	v_dual_mov_b32 v162, v174 :: v_dual_mov_b32 v165, v177
	v_dual_mov_b32 v164, v176 :: v_dual_mov_b32 v167, v179
	v_dual_mov_b32 v166, v178 :: v_dual_mov_b32 v169, v181
	v_dual_mov_b32 v168, v180 :: v_dual_mov_b32 v157, v37
	v_dual_mov_b32 v170, v182 :: v_dual_mov_b32 v155, v35
	v_dual_mov_b32 v156, v36 :: v_dual_mov_b32 v151, v31
	v_dual_mov_b32 v154, v34 :: v_dual_mov_b32 v149, v29
	v_dual_mov_b32 v152, v32 :: v_dual_mov_b32 v147, v27
	v_dual_mov_b32 v150, v30 :: v_dual_mov_b32 v5, v4
	v_dual_mov_b32 v148, v28 :: v_dual_mov_b32 v19, v18
	v_mov_b32_e32 v2, v1
.LBB300_71:
	s_or_b32 exec_lo, exec_lo, s2
	v_mov_b32_e32 v1, v44
	s_mov_b32 s2, exec_lo
	s_delay_alu instid0(VALU_DEP_2)
	v_cmpx_lt_f32_e32 v2, v44
	s_cbranch_execz .LBB300_73
; %bb.72:
	v_mov_b32_e32 v163, v20
	v_mov_b32_e32 v151, v6
	v_dual_mov_b32 v99, v159 :: v_dual_mov_b32 v100, v160
	v_dual_mov_b32 v111, v147 :: v_dual_mov_b32 v112, v148
	;; [unrolled: 1-line block ×10, first 2 shown]
	v_mov_b32_e32 v108, v168
	v_dual_mov_b32 v104, v164 :: v_dual_mov_b32 v107, v167
	v_mov_b32_e32 v116, v5
	v_dual_mov_b32 v109, v169 :: v_dual_mov_b32 v104, v19
	v_dual_mov_b32 v87, v111 :: v_dual_mov_b32 v88, v112
	;; [unrolled: 1-line block ×13, first 2 shown]
	v_mov_b32_e32 v93, v7
	v_dual_mov_b32 v43, v44 :: v_dual_mov_b32 v44, v2
	v_mov_b32_e32 v81, v21
	v_dual_mov_b32 v51, v87 :: v_dual_mov_b32 v56, v92
	v_dual_mov_b32 v52, v88 :: v_dual_mov_b32 v63, v75
	;; [unrolled: 1-line block ×14, first 2 shown]
	v_mov_b32_e32 v136, v148
	v_dual_mov_b32 v54, v90 :: v_dual_mov_b32 v59, v9
	v_dual_mov_b32 v62, v12 :: v_dual_mov_b32 v61, v14
	v_mov_b32_e32 v72, v24
	v_dual_mov_b32 v70, v22 :: v_dual_mov_b32 v71, v23
	v_dual_mov_b32 v73, v13 :: v_dual_mov_b32 v74, v26
	v_dual_mov_b32 v125, v161 :: v_dual_mov_b32 v126, v162
	v_dual_mov_b32 v127, v163 :: v_dual_mov_b32 v128, v164
	v_dual_mov_b32 v129, v165 :: v_dual_mov_b32 v130, v166
	v_dual_mov_b32 v131, v167 :: v_dual_mov_b32 v132, v168
	v_dual_mov_b32 v133, v169 :: v_dual_mov_b32 v134, v170
	v_dual_mov_b32 v137, v149 :: v_dual_mov_b32 v138, v150
	v_dual_mov_b32 v139, v151 :: v_dual_mov_b32 v140, v152
	v_dual_mov_b32 v141, v153 :: v_dual_mov_b32 v142, v154
	v_dual_mov_b32 v143, v155 :: v_dual_mov_b32 v144, v156
	v_dual_mov_b32 v145, v157 :: v_dual_mov_b32 v146, v158
	v_dual_mov_b32 v1, v2 :: v_dual_mov_b32 v20, v19
	v_mov_b32_e32 v6, v5
.LBB300_73:
	s_or_b32 exec_lo, exec_lo, s2
	v_mov_b32_e32 v2, v45
	s_mov_b32 s2, exec_lo
	v_cmpx_lt_f32_e32 v1, v45
	s_cbranch_execz .LBB300_75
; %bb.74:
	v_mov_b32_e32 v140, v7
	v_dual_mov_b32 v128, v21 :: v_dual_mov_b32 v87, v135
	v_mov_b32_e32 v93, v141
	v_mov_b32_e32 v93, v6
	;; [unrolled: 1-line block ×3, first 2 shown]
	v_dual_mov_b32 v92, v140 :: v_dual_mov_b32 v95, v143
	v_dual_mov_b32 v96, v144 :: v_dual_mov_b32 v97, v145
	;; [unrolled: 1-line block ×42, first 2 shown]
	v_mov_b32_e32 v2, v1
.LBB300_75:
	s_or_b32 exec_lo, exec_lo, s2
	v_mov_b32_e32 v1, v46
	s_mov_b32 s2, exec_lo
	s_delay_alu instid0(VALU_DEP_2)
	v_cmpx_lt_f32_e32 v2, v46
	s_cbranch_execz .LBB300_77
; %bb.76:
	v_mov_b32_e32 v117, v8
	v_mov_b32_e32 v45, v46
	v_mov_b32_e32 v46, v2
	v_mov_b32_e32 v105, v22
	v_dual_mov_b32 v51, v111 :: v_dual_mov_b32 v54, v114
	v_dual_mov_b32 v56, v116 :: v_dual_mov_b32 v63, v99
	v_dual_mov_b32 v66, v102 :: v_dual_mov_b32 v53, v113
	v_dual_mov_b32 v58, v118 :: v_dual_mov_b32 v55, v115
	v_dual_mov_b32 v60, v120 :: v_dual_mov_b32 v57, v117
	v_dual_mov_b32 v62, v122 :: v_dual_mov_b32 v59, v119
	v_dual_mov_b32 v60, v10 :: v_dual_mov_b32 v61, v121
	v_mov_b32_e32 v58, v7
	v_dual_mov_b32 v67, v103 :: v_dual_mov_b32 v70, v106
	v_dual_mov_b32 v69, v105 :: v_dual_mov_b32 v72, v108
	v_dual_mov_b32 v71, v107 :: v_dual_mov_b32 v74, v110
	v_dual_mov_b32 v73, v109 :: v_dual_mov_b32 v72, v24
	v_dual_mov_b32 v75, v99 :: v_dual_mov_b32 v76, v100
	v_dual_mov_b32 v87, v111 :: v_dual_mov_b32 v88, v112
	v_dual_mov_b32 v52, v112 :: v_dual_mov_b32 v59, v9
	v_dual_mov_b32 v62, v12 :: v_dual_mov_b32 v61, v14
	v_dual_mov_b32 v64, v100 :: v_dual_mov_b32 v65, v101
	v_mov_b32_e32 v68, v104
	v_dual_mov_b32 v70, v21 :: v_dual_mov_b32 v71, v23
	v_dual_mov_b32 v73, v13 :: v_dual_mov_b32 v74, v26
	;; [unrolled: 10-line block ×3, first 2 shown]
	v_dual_mov_b32 v95, v119 :: v_dual_mov_b32 v96, v120
	v_dual_mov_b32 v97, v121 :: v_dual_mov_b32 v98, v122
.LBB300_77:
	s_or_b32 exec_lo, exec_lo, s2
	v_mov_b32_e32 v2, v47
	s_mov_b32 s2, exec_lo
	v_cmpx_lt_f32_e32 v1, v47
	s_cbranch_execz .LBB300_79
; %bb.78:
	v_dual_mov_b32 v83, v22 :: v_dual_mov_b32 v84, v24
	v_dual_mov_b32 v94, v9 :: v_dual_mov_b32 v95, v8
	;; [unrolled: 1-line block ×4, first 2 shown]
	v_mov_b32_e32 v86, v26
	v_dual_mov_b32 v46, v47 :: v_dual_mov_b32 v47, v1
	v_dual_mov_b32 v98, v12 :: v_dual_mov_b32 v63, v75
	;; [unrolled: 1-line block ×13, first 2 shown]
	v_mov_b32_e32 v62, v98
	v_mov_b32_e32 v2, v1
.LBB300_79:
	s_or_b32 exec_lo, exec_lo, s2
	s_delay_alu instid0(VALU_DEP_1)
	v_cmp_lt_f32_e32 vcc_lo, v2, v48
	v_dual_mov_b32 v1, v39 :: v_dual_mov_b32 v6, v44
	v_dual_mov_b32 v3, v41 :: v_dual_mov_b32 v8, v46
	s_waitcnt vmcnt(0)
	v_dual_cndmask_b32 v37, v72, v71 :: v_dual_mov_b32 v4, v42
	v_dual_cndmask_b32 v71, v71, v72 :: v_dual_cndmask_b32 v38, v60, v59
	v_dual_cndmask_b32 v59, v59, v60 :: v_dual_cndmask_b32 v10, v48, v2
	v_dual_cndmask_b32 v9, v47, v48 :: v_dual_mov_b32 v2, v40
	v_dual_mov_b32 v5, v43 :: v_dual_mov_b32 v12, v50
	v_mov_b32_e32 v7, v45
	v_mov_b32_e32 v11, v49
	s_mov_b32 s2, exec_lo
	v_cmpx_lt_f32_e32 v39, v40
	s_cbranch_execz .LBB300_81
; %bb.80:
	v_dual_mov_b32 v13, v2 :: v_dual_mov_b32 v14, v1
	v_dual_mov_b32 v15, v3 :: v_dual_mov_b32 v16, v4
	;; [unrolled: 1-line block ×6, first 2 shown]
	v_mov_b32_e32 v25, v63
	v_dual_mov_b32 v26, v51 :: v_dual_mov_b32 v1, v13
	v_swap_b32 v63, v64
	v_swap_b32 v51, v52
	v_dual_mov_b32 v2, v14 :: v_dual_mov_b32 v3, v15
	v_dual_mov_b32 v4, v16 :: v_dual_mov_b32 v5, v17
	;; [unrolled: 1-line block ×5, first 2 shown]
	v_mov_b32_e32 v12, v24
	v_mov_b32_e32 v40, v39
.LBB300_81:
	s_or_b32 exec_lo, exec_lo, s2
	v_mov_b32_e32 v60, v38
	v_dual_mov_b32 v72, v37 :: v_dual_mov_b32 v13, v51
	v_dual_mov_b32 v25, v63 :: v_dual_mov_b32 v98, v74
	;; [unrolled: 1-line block ×60, first 2 shown]
	s_mov_b32 s2, exec_lo
	v_dual_mov_b32 v96, v72 :: v_dual_mov_b32 v93, v69
	v_cmpx_lt_f32_e32 v40, v3
	s_cbranch_execz .LBB300_83
; %bb.82:
	v_dual_mov_b32 v134, v62 :: v_dual_mov_b32 v133, v61
	v_dual_mov_b32 v124, v52 :: v_dual_mov_b32 v123, v51
	v_mov_b32_e32 v124, v53
	v_dual_mov_b32 v128, v56 :: v_dual_mov_b32 v127, v55
	v_dual_mov_b32 v132, v60 :: v_dual_mov_b32 v131, v59
	;; [unrolled: 1-line block ×11, first 2 shown]
	v_mov_b32_e32 v141, v69
	v_dual_mov_b32 v136, v65 :: v_dual_mov_b32 v137, v64
	v_dual_mov_b32 v160, v124 :: v_dual_mov_b32 v159, v123
	;; [unrolled: 1-line block ×40, first 2 shown]
	v_mov_b32_e32 v22, v84
	v_dual_mov_b32 v22, v38 :: v_dual_mov_b32 v25, v87
	v_dual_mov_b32 v16, v78 :: v_dual_mov_b32 v19, v81
	;; [unrolled: 1-line block ×16, first 2 shown]
	v_mov_b32_e32 v35, v73
	v_dual_mov_b32 v34, v37 :: v_dual_mov_b32 v39, v40
	v_dual_mov_b32 v36, v74 :: v_dual_mov_b32 v65, v64
	v_mov_b32_e32 v53, v52
.LBB300_83:
	s_or_b32 exec_lo, exec_lo, s2
	v_mov_b32_e32 v40, v4
	s_mov_b32 s2, exec_lo
	v_cmpx_lt_f32_e32 v39, v4
	s_cbranch_execz .LBB300_85
; %bb.84:
	v_mov_b32_e32 v137, v66
	v_mov_b32_e32 v125, v54
	;; [unrolled: 1-line block ×4, first 2 shown]
	v_dual_mov_b32 v170, v134 :: v_dual_mov_b32 v169, v133
	v_dual_mov_b32 v168, v132 :: v_dual_mov_b32 v159, v123
	;; [unrolled: 1-line block ×9, first 2 shown]
	v_mov_b32_e32 v157, v145
	v_dual_mov_b32 v155, v143 :: v_dual_mov_b32 v152, v140
	v_mov_b32_e32 v162, v53
	v_mov_b32_e32 v149, v137
	v_dual_mov_b32 v150, v65 :: v_dual_mov_b32 v111, v159
	v_dual_mov_b32 v112, v160 :: v_dual_mov_b32 v99, v147
	;; [unrolled: 1-line block ×13, first 2 shown]
	v_mov_b32_e32 v115, v55
	v_dual_mov_b32 v87, v99 :: v_dual_mov_b32 v88, v100
	v_dual_mov_b32 v75, v111 :: v_dual_mov_b32 v78, v114
	v_dual_mov_b32 v76, v112 :: v_dual_mov_b32 v77, v113
	s_delay_alu instid0(VALU_DEP_4)
	v_dual_mov_b32 v80, v116 :: v_dual_mov_b32 v79, v115
	v_dual_mov_b32 v82, v118 :: v_dual_mov_b32 v81, v117
	;; [unrolled: 1-line block ×6, first 2 shown]
	v_mov_b32_e32 v96, v108
	v_dual_mov_b32 v92, v104 :: v_dual_mov_b32 v93, v105
	v_dual_mov_b32 v98, v110 :: v_dual_mov_b32 v95, v107
	;; [unrolled: 1-line block ×21, first 2 shown]
	v_mov_b32_e32 v34, v37
	v_dual_mov_b32 v35, v73 :: v_dual_mov_b32 v36, v74
	v_mov_b32_e32 v40, v39
	v_mov_b32_e32 v66, v65
	;; [unrolled: 1-line block ×3, first 2 shown]
.LBB300_85:
	s_or_b32 exec_lo, exec_lo, s2
	v_mov_b32_e32 v39, v5
	s_mov_b32 s2, exec_lo
	v_cmpx_lt_f32_e32 v40, v5
	s_cbranch_execz .LBB300_87
; %bb.86:
	v_mov_b32_e32 v126, v55
	v_mov_b32_e32 v111, v123
	;; [unrolled: 1-line block ×3, first 2 shown]
	v_dual_mov_b32 v115, v54 :: v_dual_mov_b32 v116, v128
	v_dual_mov_b32 v138, v67 :: v_dual_mov_b32 v113, v125
	v_mov_b32_e32 v112, v124
	v_dual_mov_b32 v118, v130 :: v_dual_mov_b32 v119, v131
	v_dual_mov_b32 v120, v132 :: v_dual_mov_b32 v121, v133
	;; [unrolled: 1-line block ×24, first 2 shown]
	v_mov_b32_e32 v22, v84
	v_dual_mov_b32 v22, v38 :: v_dual_mov_b32 v25, v87
	v_dual_mov_b32 v16, v78 :: v_dual_mov_b32 v19, v81
	;; [unrolled: 1-line block ×18, first 2 shown]
	v_mov_b32_e32 v35, v73
	v_dual_mov_b32 v34, v37 :: v_dual_mov_b32 v155, v143
	v_dual_mov_b32 v36, v74 :: v_dual_mov_b32 v157, v145
	;; [unrolled: 1-line block ×12, first 2 shown]
	v_mov_b32_e32 v55, v54
.LBB300_87:
	s_or_b32 exec_lo, exec_lo, s2
	v_mov_b32_e32 v40, v6
	s_mov_b32 s2, exec_lo
	v_cmpx_lt_f32_e32 v39, v6
	s_cbranch_execz .LBB300_89
; %bb.88:
	v_mov_b32_e32 v163, v56
	v_dual_mov_b32 v75, v159 :: v_dual_mov_b32 v80, v164
	v_dual_mov_b32 v80, v55 :: v_dual_mov_b32 v81, v165
	;; [unrolled: 1-line block ×7, first 2 shown]
	v_mov_b32_e32 v85, v169
	v_dual_mov_b32 v89, v149 :: v_dual_mov_b32 v92, v152
	v_dual_mov_b32 v91, v151 :: v_dual_mov_b32 v94, v154
	;; [unrolled: 1-line block ×6, first 2 shown]
	v_mov_b32_e32 v88, v148
	v_mov_b32_e32 v6, v39
	s_delay_alu instid0(VALU_DEP_3) | instskip(NEXT) | instid1(VALU_DEP_3)
	v_dual_mov_b32 v13, v75 :: v_dual_mov_b32 v14, v76
	v_dual_mov_b32 v25, v87 :: v_dual_mov_b32 v26, v88
	;; [unrolled: 1-line block ×30, first 2 shown]
	v_mov_b32_e32 v40, v39
	v_mov_b32_e32 v68, v67
	;; [unrolled: 1-line block ×3, first 2 shown]
.LBB300_89:
	s_or_b32 exec_lo, exec_lo, s2
	v_mov_b32_e32 v39, v7
	s_mov_b32 s2, exec_lo
	v_cmpx_lt_f32_e32 v40, v7
	s_cbranch_execz .LBB300_91
; %bb.90:
	v_mov_b32_e32 v116, v57
	v_dual_mov_b32 v6, v7 :: v_dual_mov_b32 v7, v40
	v_dual_mov_b32 v104, v69 :: v_dual_mov_b32 v13, v111
	v_mov_b32_e32 v22, v120
	v_dual_mov_b32 v22, v38 :: v_dual_mov_b32 v25, v99
	v_mov_b32_e32 v34, v108
	v_dual_mov_b32 v34, v37 :: v_dual_mov_b32 v87, v99
	v_dual_mov_b32 v16, v114 :: v_dual_mov_b32 v19, v117
	;; [unrolled: 1-line block ×12, first 2 shown]
	v_mov_b32_e32 v23, v61
	v_dual_mov_b32 v21, v59 :: v_dual_mov_b32 v24, v62
	v_dual_mov_b32 v27, v101 :: v_dual_mov_b32 v26, v100
	;; [unrolled: 1-line block ×3, first 2 shown]
	v_mov_b32_e32 v35, v73
	v_dual_mov_b32 v33, v71 :: v_dual_mov_b32 v36, v74
	v_dual_mov_b32 v89, v101 :: v_dual_mov_b32 v88, v100
	;; [unrolled: 1-line block ×9, first 2 shown]
	v_mov_b32_e32 v39, v40
	v_mov_b32_e32 v69, v68
	v_dual_mov_b32 v57, v56 :: v_dual_mov_b32 v94, v106
	v_dual_mov_b32 v97, v109 :: v_dual_mov_b32 v82, v118
	;; [unrolled: 1-line block ×3, first 2 shown]
.LBB300_91:
	s_or_b32 exec_lo, exec_lo, s2
	v_mov_b32_e32 v40, v8
	s_mov_b32 s2, exec_lo
	v_cmpx_lt_f32_e32 v39, v8
	s_cbranch_execz .LBB300_93
; %bb.92:
	v_dual_mov_b32 v81, v58 :: v_dual_mov_b32 v82, v57
	v_dual_mov_b32 v83, v59 :: v_dual_mov_b32 v84, v38
	;; [unrolled: 1-line block ×19, first 2 shown]
	v_mov_b32_e32 v40, v39
.LBB300_93:
	s_or_b32 exec_lo, exec_lo, s2
	s_delay_alu instid0(VALU_DEP_1)
	v_cmp_lt_f32_e32 vcc_lo, v40, v9
	v_dual_mov_b32 v38, v2 :: v_dual_mov_b32 v41, v5
	v_dual_mov_b32 v42, v6 :: v_dual_mov_b32 v47, v11
	v_dual_cndmask_b32 v145, v33, v32 :: v_dual_cndmask_b32 v32, v32, v33
	v_dual_cndmask_b32 v146, v21, v20 :: v_dual_mov_b32 v39, v3
	v_dual_cndmask_b32 v20, v20, v21 :: v_dual_cndmask_b32 v45, v9, v40
	v_dual_cndmask_b32 v44, v8, v9 :: v_dual_mov_b32 v37, v1
	v_dual_mov_b32 v40, v4 :: v_dual_mov_b32 v43, v7
	v_mov_b32_e32 v46, v10
	v_mov_b32_e32 v48, v12
	s_mov_b32 s2, exec_lo
	v_cmpx_lt_f32_e32 v1, v2
	s_cbranch_execz .LBB300_95
; %bb.94:
	v_dual_mov_b32 v49, v38 :: v_dual_mov_b32 v50, v37
	v_dual_mov_b32 v51, v39 :: v_dual_mov_b32 v52, v40
	v_dual_mov_b32 v53, v41 :: v_dual_mov_b32 v54, v42
	v_dual_mov_b32 v55, v43 :: v_dual_mov_b32 v56, v44
	v_dual_mov_b32 v57, v45 :: v_dual_mov_b32 v58, v46
	v_dual_mov_b32 v59, v47 :: v_dual_mov_b32 v60, v48
	v_mov_b32_e32 v3, v25
	v_mov_b32_e32 v4, v13
	v_dual_mov_b32 v37, v49 :: v_dual_mov_b32 v40, v52
	v_swap_b32 v25, v26
	v_swap_b32 v13, v14
	v_dual_mov_b32 v38, v50 :: v_dual_mov_b32 v39, v51
	v_dual_mov_b32 v41, v53 :: v_dual_mov_b32 v42, v54
	;; [unrolled: 1-line block ×5, first 2 shown]
	v_mov_b32_e32 v2, v1
.LBB300_95:
	s_or_b32 exec_lo, exec_lo, s2
	v_mov_b32_e32 v21, v146
	v_dual_mov_b32 v33, v145 :: v_dual_mov_b32 v60, v24
	v_dual_mov_b32 v72, v36 :: v_dual_mov_b32 v61, v25
	;; [unrolled: 1-line block ×43, first 2 shown]
	v_mov_b32_e32 v97, v13
	v_mov_b32_e32 v1, v39
	s_mov_b32 s2, exec_lo
	v_dual_mov_b32 v95, v35 :: v_dual_mov_b32 v94, v34
	v_dual_mov_b32 v93, v33 :: v_dual_mov_b32 v92, v32
	;; [unrolled: 1-line block ×5, first 2 shown]
	v_cmpx_lt_f32_e32 v2, v39
	s_cbranch_execz .LBB300_97
; %bb.96:
	v_dual_mov_b32 v108, v24 :: v_dual_mov_b32 v107, v23
	v_dual_mov_b32 v98, v14 :: v_dual_mov_b32 v97, v13
	v_mov_b32_e32 v98, v15
	v_dual_mov_b32 v104, v20 :: v_dual_mov_b32 v103, v19
	v_dual_mov_b32 v100, v16 :: v_dual_mov_b32 v99, v15
	;; [unrolled: 1-line block ×26, first 2 shown]
	v_mov_b32_e32 v84, v144
	v_dual_mov_b32 v74, v134 :: v_dual_mov_b32 v77, v137
	v_mov_b32_e32 v75, v135
	v_dual_mov_b32 v38, v39 :: v_dual_mov_b32 v85, v121
	v_dual_mov_b32 v76, v136 :: v_dual_mov_b32 v79, v139
	;; [unrolled: 1-line block ×10, first 2 shown]
	v_mov_b32_e32 v39, v2
	v_dual_mov_b32 v49, v73 :: v_dual_mov_b32 v50, v74
	v_dual_mov_b32 v59, v83 :: v_dual_mov_b32 v60, v84
	;; [unrolled: 1-line block ×18, first 2 shown]
	v_mov_b32_e32 v70, v34
	v_dual_mov_b32 v72, v36 :: v_dual_mov_b32 v1, v2
	v_mov_b32_e32 v27, v26
	v_mov_b32_e32 v15, v14
.LBB300_97:
	s_or_b32 exec_lo, exec_lo, s2
	v_mov_b32_e32 v2, v40
	s_mov_b32 s2, exec_lo
	v_cmpx_lt_f32_e32 v1, v40
	s_cbranch_execz .LBB300_99
; %bb.98:
	v_mov_b32_e32 v99, v16
	v_mov_b32_e32 v144, v108
	;; [unrolled: 1-line block ×3, first 2 shown]
	v_dual_mov_b32 v136, v15 :: v_dual_mov_b32 v111, v28
	v_dual_mov_b32 v142, v106 :: v_dual_mov_b32 v133, v97
	;; [unrolled: 1-line block ×4, first 2 shown]
	v_mov_b32_e32 v135, v99
	v_dual_mov_b32 v125, v113 :: v_dual_mov_b32 v124, v112
	v_mov_b32_e32 v143, v107
	v_dual_mov_b32 v141, v105 :: v_dual_mov_b32 v140, v104
	v_dual_mov_b32 v139, v103 :: v_dual_mov_b32 v138, v102
	;; [unrolled: 1-line block ×18, first 2 shown]
	v_mov_b32_e32 v95, v131
	v_dual_mov_b32 v89, v29 :: v_dual_mov_b32 v88, v124
	v_dual_mov_b32 v49, v73 :: v_dual_mov_b32 v54, v78
	v_mov_b32_e32 v50, v74
	v_dual_mov_b32 v52, v76 :: v_dual_mov_b32 v61, v85
	s_delay_alu instid0(VALU_DEP_4)
	v_dual_mov_b32 v64, v88 :: v_dual_mov_b32 v51, v75
	v_dual_mov_b32 v56, v80 :: v_dual_mov_b32 v53, v77
	;; [unrolled: 1-line block ×12, first 2 shown]
	v_mov_b32_e32 v58, v22
	v_dual_mov_b32 v57, v146 :: v_dual_mov_b32 v60, v24
	v_dual_mov_b32 v59, v23 :: v_dual_mov_b32 v62, v86
	;; [unrolled: 1-line block ×5, first 2 shown]
	v_mov_b32_e32 v2, v1
	v_mov_b32_e32 v28, v27
	;; [unrolled: 1-line block ×3, first 2 shown]
.LBB300_99:
	s_or_b32 exec_lo, exec_lo, s2
	v_mov_b32_e32 v1, v41
	s_mov_b32 s2, exec_lo
	v_cmpx_lt_f32_e32 v2, v41
	s_cbranch_execz .LBB300_101
; %bb.100:
	v_mov_b32_e32 v100, v17
	v_mov_b32_e32 v73, v97
	;; [unrolled: 1-line block ×3, first 2 shown]
	v_dual_mov_b32 v77, v16 :: v_dual_mov_b32 v78, v102
	v_dual_mov_b32 v112, v29 :: v_dual_mov_b32 v75, v99
	v_dual_mov_b32 v82, v106 :: v_dual_mov_b32 v83, v107
	v_mov_b32_e32 v84, v108
	v_dual_mov_b32 v74, v98 :: v_dual_mov_b32 v85, v109
	v_mov_b32_e32 v86, v110
	v_dual_mov_b32 v76, v100 :: v_dual_mov_b32 v79, v103
	v_dual_mov_b32 v80, v104 :: v_dual_mov_b32 v81, v105
	;; [unrolled: 1-line block ×8, first 2 shown]
	v_mov_b32_e32 v49, v73
	v_dual_mov_b32 v89, v28 :: v_dual_mov_b32 v50, v74
	v_dual_mov_b32 v59, v83 :: v_dual_mov_b32 v60, v84
	;; [unrolled: 1-line block ×32, first 2 shown]
	v_mov_b32_e32 v17, v16
.LBB300_101:
	s_or_b32 exec_lo, exec_lo, s2
	v_mov_b32_e32 v2, v42
	s_mov_b32 s2, exec_lo
	v_cmpx_lt_f32_e32 v1, v42
	s_cbranch_execz .LBB300_103
; %bb.102:
	v_mov_b32_e32 v137, v18
	v_mov_b32_e32 v125, v30
	v_dual_mov_b32 v41, v42 :: v_dual_mov_b32 v42, v1
	v_dual_mov_b32 v49, v133 :: v_dual_mov_b32 v50, v134
	;; [unrolled: 1-line block ×13, first 2 shown]
	v_mov_b32_e32 v66, v29
	v_dual_mov_b32 v85, v121 :: v_dual_mov_b32 v86, v122
	v_dual_mov_b32 v73, v133 :: v_dual_mov_b32 v74, v134
	;; [unrolled: 1-line block ×4, first 2 shown]
	v_mov_b32_e32 v64, v124
	v_dual_mov_b32 v58, v22 :: v_dual_mov_b32 v59, v23
	v_dual_mov_b32 v67, v31 :: v_dual_mov_b32 v68, v32
	;; [unrolled: 1-line block ×8, first 2 shown]
	v_mov_b32_e32 v2, v1
	v_mov_b32_e32 v30, v29
	v_dual_mov_b32 v18, v17 :: v_dual_mov_b32 v91, v127
	v_dual_mov_b32 v92, v128 :: v_dual_mov_b32 v93, v129
	;; [unrolled: 1-line block ×6, first 2 shown]
	v_mov_b32_e32 v84, v144
.LBB300_103:
	s_or_b32 exec_lo, exec_lo, s2
	v_mov_b32_e32 v1, v43
	s_mov_b32 s2, exec_lo
	v_cmpx_lt_f32_e32 v2, v43
	s_cbranch_execz .LBB300_105
; %bb.104:
	v_dual_mov_b32 v94, v34 :: v_dual_mov_b32 v95, v35
	v_dual_mov_b32 v78, v19 :: v_dual_mov_b32 v79, v18
	;; [unrolled: 1-line block ×6, first 2 shown]
	v_mov_b32_e32 v96, v36
	v_dual_mov_b32 v42, v43 :: v_dual_mov_b32 v43, v2
	v_dual_mov_b32 v84, v24 :: v_dual_mov_b32 v61, v85
	;; [unrolled: 1-line block ×14, first 2 shown]
.LBB300_105:
	s_or_b32 exec_lo, exec_lo, s2
	s_delay_alu instid0(VALU_DEP_1)
	v_cmp_lt_f32_e32 vcc_lo, v1, v44
	v_dual_mov_b32 v3, v39 :: v_dual_mov_b32 v10, v46
	v_dual_mov_b32 v5, v41 :: v_dual_mov_b32 v12, v48
	v_dual_cndmask_b32 v121, v68, v67 :: v_dual_mov_b32 v2, v38
	v_dual_cndmask_b32 v67, v67, v68 :: v_dual_cndmask_b32 v122, v56, v55
	v_dual_cndmask_b32 v55, v55, v56 :: v_dual_cndmask_b32 v8, v44, v1
	v_dual_cndmask_b32 v7, v43, v44 :: v_dual_mov_b32 v4, v40
	v_dual_mov_b32 v1, v37 :: v_dual_mov_b32 v6, v42
	v_mov_b32_e32 v9, v45
	v_mov_b32_e32 v11, v47
	s_mov_b32 s2, exec_lo
	v_cmpx_lt_f32_e32 v37, v38
	s_cbranch_execz .LBB300_107
; %bb.106:
	v_dual_mov_b32 v13, v2 :: v_dual_mov_b32 v14, v1
	v_dual_mov_b32 v15, v3 :: v_dual_mov_b32 v16, v4
	;; [unrolled: 1-line block ×6, first 2 shown]
	v_mov_b32_e32 v25, v61
	v_mov_b32_e32 v26, v49
	v_dual_mov_b32 v1, v13 :: v_dual_mov_b32 v4, v16
	v_swap_b32 v61, v62
	v_swap_b32 v49, v50
	v_dual_mov_b32 v2, v14 :: v_dual_mov_b32 v3, v15
	v_dual_mov_b32 v5, v17 :: v_dual_mov_b32 v6, v18
	;; [unrolled: 1-line block ×5, first 2 shown]
	v_mov_b32_e32 v38, v37
.LBB300_107:
	s_or_b32 exec_lo, exec_lo, s2
	v_mov_b32_e32 v56, v122
	v_mov_b32_e32 v68, v121
	;; [unrolled: 1-line block ×3, first 2 shown]
	v_dual_mov_b32 v27, v51 :: v_dual_mov_b32 v84, v72
	v_mov_b32_e32 v81, v69
	v_dual_mov_b32 v83, v71 :: v_dual_mov_b32 v96, v60
	v_dual_mov_b32 v91, v55 :: v_dual_mov_b32 v120, v72
	v_dual_mov_b32 v117, v69 :: v_dual_mov_b32 v108, v72
	v_dual_mov_b32 v105, v69 :: v_dual_mov_b32 v88, v52
	v_dual_mov_b32 v13, v49 :: v_dual_mov_b32 v82, v70
	v_dual_mov_b32 v79, v67 :: v_dual_mov_b32 v80, v68
	v_dual_mov_b32 v77, v65 :: v_dual_mov_b32 v78, v66
	v_dual_mov_b32 v75, v63 :: v_dual_mov_b32 v76, v64
	v_dual_mov_b32 v73, v61 :: v_dual_mov_b32 v74, v62
	v_dual_mov_b32 v119, v71 :: v_dual_mov_b32 v114, v66
	v_dual_mov_b32 v111, v63 :: v_dual_mov_b32 v112, v64
	v_dual_mov_b32 v109, v61 :: v_dual_mov_b32 v110, v62
	v_dual_mov_b32 v107, v71 :: v_dual_mov_b32 v106, v70
	v_dual_mov_b32 v103, v67 :: v_dual_mov_b32 v104, v68
	v_dual_mov_b32 v101, v65 :: v_dual_mov_b32 v102, v66
	v_dual_mov_b32 v99, v63 :: v_dual_mov_b32 v100, v64
	v_dual_mov_b32 v97, v61 :: v_dual_mov_b32 v98, v62
	v_dual_mov_b32 v29, v53 :: v_dual_mov_b32 v26, v50
	v_dual_mov_b32 v28, v52 :: v_dual_mov_b32 v31, v55
	v_dual_mov_b32 v30, v54 :: v_dual_mov_b32 v33, v57
	v_dual_mov_b32 v32, v56 :: v_dual_mov_b32 v35, v59
	v_dual_mov_b32 v34, v58 :: v_dual_mov_b32 v95, v59
	v_dual_mov_b32 v36, v60 :: v_dual_mov_b32 v93, v57
	v_dual_mov_b32 v92, v56 :: v_dual_mov_b32 v87, v51
	v_dual_mov_b32 v90, v54 :: v_dual_mov_b32 v85, v49
	v_dual_mov_b32 v86, v50 :: v_dual_mov_b32 v15, v51
	v_dual_mov_b32 v14, v50 :: v_dual_mov_b32 v17, v53
	v_dual_mov_b32 v16, v52 :: v_dual_mov_b32 v19, v55
	v_dual_mov_b32 v18, v54 :: v_dual_mov_b32 v21, v57
	v_dual_mov_b32 v20, v56 :: v_dual_mov_b32 v23, v59
	v_dual_mov_b32 v22, v58 :: v_dual_mov_b32 v37, v3
	v_mov_b32_e32 v24, v60
	s_mov_b32 s2, exec_lo
	v_dual_mov_b32 v118, v70 :: v_dual_mov_b32 v115, v67
	v_dual_mov_b32 v116, v68 :: v_dual_mov_b32 v113, v65
	;; [unrolled: 1-line block ×3, first 2 shown]
	v_cmpx_lt_f32_e32 v38, v3
	s_cbranch_execz .LBB300_109
; %bb.108:
	v_dual_mov_b32 v13, v49 :: v_dual_mov_b32 v14, v50
	v_dual_mov_b32 v23, v59 :: v_dual_mov_b32 v24, v60
	;; [unrolled: 1-line block ×30, first 2 shown]
	v_mov_b32_e32 v112, v64
	v_dual_mov_b32 v34, v94 :: v_dual_mov_b32 v35, v95
	v_dual_mov_b32 v35, v59 :: v_dual_mov_b32 v34, v58
	;; [unrolled: 1-line block ×15, first 2 shown]
	v_mov_b32_e32 v81, v69
	v_dual_mov_b32 v80, v121 :: v_dual_mov_b32 v83, v71
	v_mov_b32_e32 v82, v70
	v_dual_mov_b32 v84, v72 :: v_dual_mov_b32 v37, v38
	v_mov_b32_e32 v63, v62
	v_mov_b32_e32 v51, v50
.LBB300_109:
	s_or_b32 exec_lo, exec_lo, s2
	v_mov_b32_e32 v38, v4
	s_mov_b32 s2, exec_lo
	v_cmpx_lt_f32_e32 v37, v4
	s_cbranch_execz .LBB300_111
; %bb.110:
	v_mov_b32_e32 v15, v52
	v_mov_b32_e32 v96, v24
	;; [unrolled: 1-line block ×3, first 2 shown]
	v_dual_mov_b32 v88, v51 :: v_dual_mov_b32 v99, v64
	v_dual_mov_b32 v94, v22 :: v_dual_mov_b32 v85, v13
	;; [unrolled: 1-line block ×3, first 2 shown]
	v_mov_b32_e32 v95, v23
	v_dual_mov_b32 v93, v21 :: v_dual_mov_b32 v92, v20
	v_dual_mov_b32 v91, v19 :: v_dual_mov_b32 v90, v18
	;; [unrolled: 1-line block ×7, first 2 shown]
	v_mov_b32_e32 v87, v15
	v_dual_mov_b32 v111, v99 :: v_dual_mov_b32 v110, v98
	v_dual_mov_b32 v112, v63 :: v_dual_mov_b32 v25, v85
	;; [unrolled: 1-line block ×3, first 2 shown]
	s_delay_alu instid0(VALU_DEP_3)
	v_dual_mov_b32 v74, v110 :: v_dual_mov_b32 v29, v89
	v_dual_mov_b32 v30, v90 :: v_dual_mov_b32 v31, v91
	;; [unrolled: 1-line block ×8, first 2 shown]
	v_mov_b32_e32 v84, v120
	v_dual_mov_b32 v3, v4 :: v_dual_mov_b32 v4, v37
	v_dual_mov_b32 v27, v87 :: v_dual_mov_b32 v28, v88
	;; [unrolled: 1-line block ×11, first 2 shown]
	v_mov_b32_e32 v38, v37
	v_mov_b32_e32 v64, v63
	;; [unrolled: 1-line block ×3, first 2 shown]
.LBB300_111:
	s_or_b32 exec_lo, exec_lo, s2
	v_mov_b32_e32 v16, v5
	s_mov_b32 s2, exec_lo
	v_cmpx_lt_f32_e32 v38, v5
	s_cbranch_execz .LBB300_113
; %bb.112:
	v_mov_b32_e32 v100, v65
	v_mov_b32_e32 v16, v53
	v_dual_mov_b32 v4, v5 :: v_dual_mov_b32 v5, v38
	v_dual_mov_b32 v36, v24 :: v_dual_mov_b32 v33, v21
	;; [unrolled: 1-line block ×3, first 2 shown]
	v_mov_b32_e32 v31, v19
	v_dual_mov_b32 v35, v59 :: v_dual_mov_b32 v34, v58
	v_dual_mov_b32 v73, v97 :: v_dual_mov_b32 v32, v20
	;; [unrolled: 1-line block ×8, first 2 shown]
	v_mov_b32_e32 v77, v64
	v_dual_mov_b32 v84, v108 :: v_dual_mov_b32 v79, v67
	v_dual_mov_b32 v120, v108 :: v_dual_mov_b32 v115, v103
	;; [unrolled: 1-line block ×19, first 2 shown]
	v_mov_b32_e32 v88, v16
	v_dual_mov_b32 v86, v14 :: v_dual_mov_b32 v65, v64
	v_dual_mov_b32 v16, v38 :: v_dual_mov_b32 v53, v52
	v_dual_mov_b32 v118, v106 :: v_dual_mov_b32 v113, v101
.LBB300_113:
	s_or_b32 exec_lo, exec_lo, s2
	v_mov_b32_e32 v13, v6
	s_mov_b32 s2, exec_lo
	v_cmpx_lt_f32_e32 v16, v6
	s_cbranch_execz .LBB300_115
; %bb.114:
	v_dual_mov_b32 v89, v54 :: v_dual_mov_b32 v90, v53
	v_dual_mov_b32 v91, v55 :: v_dual_mov_b32 v92, v122
	;; [unrolled: 1-line block ×21, first 2 shown]
	v_mov_b32_e32 v13, v16
.LBB300_115:
	s_or_b32 exec_lo, exec_lo, s2
	s_delay_alu instid0(VALU_DEP_1)
	v_cmp_lt_f32_e32 vcc_lo, v13, v7
	v_dual_mov_b32 v14, v2 :: v_dual_mov_b32 v17, v5
	v_dual_mov_b32 v16, v4 :: v_dual_mov_b32 v21, v9
	v_dual_cndmask_b32 v37, v79, v78 :: v_dual_cndmask_b32 v78, v78, v79
	v_cndmask_b32_e32 v38, v31, v30, vcc_lo
	v_dual_cndmask_b32 v30, v30, v31 :: v_dual_cndmask_b32 v19, v7, v13
	v_dual_cndmask_b32 v18, v6, v7 :: v_dual_mov_b32 v15, v3
	v_dual_mov_b32 v13, v1 :: v_dual_mov_b32 v20, v8
	v_dual_mov_b32 v23, v11 :: v_dual_mov_b32 v22, v10
	v_mov_b32_e32 v24, v12
	s_mov_b32 s2, exec_lo
	v_cmpx_lt_f32_e32 v1, v2
	s_cbranch_execz .LBB300_117
; %bb.116:
	v_dual_mov_b32 v2, v14 :: v_dual_mov_b32 v3, v13
	v_dual_mov_b32 v12, v23 :: v_dual_mov_b32 v13, v24
	;; [unrolled: 1-line block ×6, first 2 shown]
	v_mov_b32_e32 v24, v13
	v_mov_b32_e32 v31, v73
	v_dual_mov_b32 v39, v25 :: v_dual_mov_b32 v18, v7
	v_swap_b32 v73, v74
	v_swap_b32 v25, v26
	v_dual_mov_b32 v23, v12 :: v_dual_mov_b32 v20, v9
	v_dual_mov_b32 v22, v11 :: v_dual_mov_b32 v21, v10
	;; [unrolled: 1-line block ×4, first 2 shown]
	v_mov_b32_e32 v15, v4
	v_dual_mov_b32 v13, v2 :: v_dual_mov_b32 v2, v1
.LBB300_117:
	s_or_b32 exec_lo, exec_lo, s2
	v_mov_b32_e32 v31, v38
	v_dual_mov_b32 v79, v37 :: v_dual_mov_b32 v50, v36
	v_dual_mov_b32 v51, v73 :: v_dual_mov_b32 v52, v74
	v_dual_mov_b32 v54, v76 :: v_dual_mov_b32 v61, v83
	v_dual_mov_b32 v108, v84 :: v_dual_mov_b32 v41, v27
	v_dual_mov_b32 v96, v36 :: v_dual_mov_b32 v53, v75
	v_dual_mov_b32 v56, v78 :: v_dual_mov_b32 v55, v77
	v_dual_mov_b32 v58, v80 :: v_dual_mov_b32 v57, v79
	v_dual_mov_b32 v60, v82 :: v_dual_mov_b32 v59, v81
	v_dual_mov_b32 v62, v84 :: v_dual_mov_b32 v107, v83
	v_dual_mov_b32 v106, v82 :: v_dual_mov_b32 v105, v81
	v_dual_mov_b32 v104, v80 :: v_dual_mov_b32 v103, v79
	v_dual_mov_b32 v102, v78 :: v_dual_mov_b32 v101, v77
	v_dual_mov_b32 v100, v76 :: v_dual_mov_b32 v99, v75
	v_dual_mov_b32 v98, v74 :: v_dual_mov_b32 v97, v73
	v_dual_mov_b32 v48, v34 :: v_dual_mov_b32 v49, v35
	v_dual_mov_b32 v46, v32 :: v_dual_mov_b32 v47, v33
	v_dual_mov_b32 v44, v30 :: v_dual_mov_b32 v45, v31
	v_dual_mov_b32 v42, v28 :: v_dual_mov_b32 v43, v29
	v_dual_mov_b32 v40, v26 :: v_dual_mov_b32 v39, v25
	v_dual_mov_b32 v94, v34 :: v_dual_mov_b32 v95, v35
	v_dual_mov_b32 v92, v32 :: v_dual_mov_b32 v93, v33
	v_dual_mov_b32 v90, v30 :: v_dual_mov_b32 v91, v31
	v_dual_mov_b32 v88, v28 :: v_dual_mov_b32 v89, v29
	v_dual_mov_b32 v86, v26 :: v_dual_mov_b32 v87, v27
	v_mov_b32_e32 v85, v25
	v_mov_b32_e32 v1, v15
	s_mov_b32 s2, exec_lo
	v_cmpx_lt_f32_e32 v2, v15
	s_cbranch_execz .LBB300_119
; %bb.118:
	v_dual_mov_b32 v96, v36 :: v_dual_mov_b32 v95, v35
	v_dual_mov_b32 v86, v26 :: v_dual_mov_b32 v85, v25
	;; [unrolled: 1-line block ×8, first 2 shown]
	v_mov_b32_e32 v105, v81
	v_dual_mov_b32 v43, v89 :: v_dual_mov_b32 v44, v90
	v_dual_mov_b32 v100, v76 :: v_dual_mov_b32 v97, v73
	;; [unrolled: 1-line block ×6, first 2 shown]
	v_mov_b32_e32 v98, v74
	v_dual_mov_b32 v98, v75 :: v_dual_mov_b32 v99, v74
	v_dual_mov_b32 v49, v95 :: v_dual_mov_b32 v50, v96
	;; [unrolled: 1-line block ×12, first 2 shown]
	v_mov_b32_e32 v40, v86
	v_dual_mov_b32 v42, v28 :: v_dual_mov_b32 v43, v29
	v_dual_mov_b32 v45, v38 :: v_dual_mov_b32 v46, v32
	;; [unrolled: 1-line block ×9, first 2 shown]
	v_mov_b32_e32 v75, v74
	v_mov_b32_e32 v27, v26
.LBB300_119:
	s_or_b32 exec_lo, exec_lo, s2
	v_mov_b32_e32 v2, v16
	s_mov_b32 s2, exec_lo
	v_cmpx_lt_f32_e32 v1, v16
	s_cbranch_execz .LBB300_121
; %bb.120:
	v_mov_b32_e32 v87, v28
	v_mov_b32_e32 v99, v76
	v_dual_mov_b32 v15, v16 :: v_dual_mov_b32 v16, v1
	v_dual_mov_b32 v39, v85 :: v_dual_mov_b32 v42, v88
	;; [unrolled: 1-line block ×13, first 2 shown]
	v_mov_b32_e32 v56, v78
	v_mov_b32_e32 v40, v86
	v_dual_mov_b32 v42, v27 :: v_dual_mov_b32 v43, v29
	v_dual_mov_b32 v45, v38 :: v_dual_mov_b32 v46, v32
	;; [unrolled: 1-line block ×8, first 2 shown]
	v_mov_b32_e32 v2, v1
	v_mov_b32_e32 v76, v75
	;; [unrolled: 1-line block ×3, first 2 shown]
.LBB300_121:
	s_or_b32 exec_lo, exec_lo, s2
	v_mov_b32_e32 v1, v17
	s_mov_b32 s2, exec_lo
	v_cmpx_lt_f32_e32 v2, v17
	s_cbranch_execz .LBB300_123
; %bb.122:
	v_dual_mov_b32 v106, v82 :: v_dual_mov_b32 v107, v83
	v_dual_mov_b32 v88, v29 :: v_dual_mov_b32 v89, v28
	;; [unrolled: 1-line block ×8, first 2 shown]
	v_mov_b32_e32 v108, v84
	v_dual_mov_b32 v16, v17 :: v_dual_mov_b32 v17, v2
	v_dual_mov_b32 v96, v36 :: v_dual_mov_b32 v51, v97
	;; [unrolled: 1-line block ×14, first 2 shown]
.LBB300_123:
	s_or_b32 exec_lo, exec_lo, s2
	s_delay_alu instid0(VALU_DEP_1)
	v_cmp_lt_f32_e32 vcc_lo, v1, v18
	v_dual_mov_b32 v27, v13 :: v_dual_mov_b32 v34, v20
	v_dual_mov_b32 v29, v15 :: v_dual_mov_b32 v36, v22
	v_dual_cndmask_b32 v63, v56, v55 :: v_dual_cndmask_b32 v32, v18, v1
	v_dual_cndmask_b32 v55, v55, v56 :: v_dual_cndmask_b32 v64, v44, v43
	v_dual_cndmask_b32 v43, v43, v44 :: v_dual_mov_b32 v28, v14
	v_dual_cndmask_b32 v31, v17, v18 :: v_dual_mov_b32 v30, v16
	v_dual_mov_b32 v33, v19 :: v_dual_mov_b32 v38, v24
	v_mov_b32_e32 v35, v21
	v_mov_b32_e32 v37, v23
	s_mov_b32 s2, exec_lo
	v_cmpx_lt_f32_e32 v13, v14
	s_cbranch_execz .LBB300_125
; %bb.124:
	s_delay_alu instid0(VALU_DEP_2)
	v_dual_mov_b32 v11, v37 :: v_dual_mov_b32 v12, v38
	v_dual_mov_b32 v1, v28 :: v_dual_mov_b32 v2, v27
	;; [unrolled: 1-line block ×7, first 2 shown]
	s_delay_alu instid0(VALU_DEP_2)
	v_dual_mov_b32 v16, v39 :: v_dual_mov_b32 v35, v9
	v_swap_b32 v51, v52
	v_swap_b32 v39, v40
	v_dual_mov_b32 v37, v11 :: v_dual_mov_b32 v36, v10
	v_dual_mov_b32 v34, v8 :: v_dual_mov_b32 v33, v7
	;; [unrolled: 1-line block ×5, first 2 shown]
	v_mov_b32_e32 v14, v13
.LBB300_125:
	s_or_b32 exec_lo, exec_lo, s2
	v_mov_b32_e32 v44, v64
	v_mov_b32_e32 v56, v63
	;; [unrolled: 1-line block ×4, first 2 shown]
	v_dual_mov_b32 v15, v51 :: v_dual_mov_b32 v2, v40
	v_dual_mov_b32 v16, v52 :: v_dual_mov_b32 v17, v53
	;; [unrolled: 1-line block ×11, first 2 shown]
	v_mov_b32_e32 v12, v50
	s_mov_b32 s2, exec_lo
	v_cmpx_lt_f32_e32 v14, v29
	s_cbranch_execz .LBB300_127
; %bb.126:
	v_dual_mov_b32 v1, v39 :: v_dual_mov_b32 v2, v40
	v_dual_mov_b32 v11, v49 :: v_dual_mov_b32 v12, v50
	;; [unrolled: 1-line block ×25, first 2 shown]
	v_mov_b32_e32 v41, v40
.LBB300_127:
	s_or_b32 exec_lo, exec_lo, s2
	v_mov_b32_e32 v39, v30
	s_mov_b32 s2, exec_lo
	v_cmpx_lt_f32_e32 v13, v30
	s_cbranch_execz .LBB300_129
; %bb.128:
	v_dual_mov_b32 v29, v30 :: v_dual_mov_b32 v30, v13
	v_dual_mov_b32 v3, v42 :: v_dual_mov_b32 v4, v41
	;; [unrolled: 1-line block ×11, first 2 shown]
	v_mov_b32_e32 v39, v13
.LBB300_129:
	s_or_b32 exec_lo, exec_lo, s2
	s_delay_alu instid0(VALU_DEP_1)
	v_cmp_lt_f32_e32 vcc_lo, v39, v31
	v_dual_mov_b32 v40, v28 :: v_dual_mov_b32 v45, v33
	v_dual_mov_b32 v44, v32 :: v_dual_mov_b32 v47, v35
	v_dual_cndmask_b32 v13, v19, v18 :: v_dual_cndmask_b32 v18, v18, v19
	v_dual_cndmask_b32 v14, v5, v4 :: v_dual_cndmask_b32 v43, v31, v39
	v_dual_cndmask_b32 v4, v4, v5 :: v_dual_mov_b32 v39, v27
	v_dual_cndmask_b32 v42, v30, v31 :: v_dual_mov_b32 v41, v29
	v_dual_mov_b32 v46, v34 :: v_dual_mov_b32 v49, v37
	v_mov_b32_e32 v48, v36
	v_mov_b32_e32 v50, v38
	s_mov_b32 s2, exec_lo
	v_cmpx_lt_f32_e32 v27, v28
	s_cbranch_execz .LBB300_131
; %bb.130:
	v_dual_mov_b32 v28, v40 :: v_dual_mov_b32 v29, v39
	v_dual_mov_b32 v38, v49 :: v_dual_mov_b32 v39, v50
	;; [unrolled: 1-line block ×7, first 2 shown]
	v_mov_b32_e32 v5, v15
	v_swap_b32 v15, v16
	s_delay_alu instid0(VALU_DEP_4)
	v_mov_b32_e32 v48, v37
	v_swap_b32 v1, v2
	v_dual_mov_b32 v49, v38 :: v_dual_mov_b32 v46, v35
	v_dual_mov_b32 v47, v36 :: v_dual_mov_b32 v44, v33
	;; [unrolled: 1-line block ×4, first 2 shown]
	v_mov_b32_e32 v41, v30
	v_dual_mov_b32 v39, v28 :: v_dual_mov_b32 v28, v27
.LBB300_131:
	s_or_b32 exec_lo, exec_lo, s2
	v_mov_b32_e32 v5, v14
	v_mov_b32_e32 v19, v13
	;; [unrolled: 1-line block ×3, first 2 shown]
	s_mov_b32 s2, exec_lo
	v_cmpx_lt_f32_e32 v28, v41
	s_cbranch_execz .LBB300_133
; %bb.132:
	v_dual_mov_b32 v74, v26 :: v_dual_mov_b32 v73, v25
	v_dual_mov_b32 v62, v12 :: v_dual_mov_b32 v61, v11
	;; [unrolled: 1-line block ×22, first 2 shown]
	v_mov_b32_e32 v74, v26
	v_dual_mov_b32 v40, v41 :: v_dual_mov_b32 v41, v28
	v_dual_mov_b32 v62, v12 :: v_dual_mov_b32 v15, v63
	;; [unrolled: 1-line block ×14, first 2 shown]
.LBB300_133:
	s_or_b32 exec_lo, exec_lo, s2
	s_delay_alu instid0(VALU_DEP_1)
	v_cmp_lt_f32_e32 vcc_lo, v27, v42
	v_dual_mov_b32 v28, v23 :: v_dual_mov_b32 v29, v24
	v_dual_mov_b32 v30, v25 :: v_dual_mov_b32 v31, v26
	v_dual_cndmask_b32 v13, v18, v17 :: v_dual_cndmask_b32 v14, v4, v3
	v_dual_cndmask_b32 v51, v17, v18 :: v_dual_cndmask_b32 v56, v3, v4
	;; [unrolled: 1-line block ×3, first 2 shown]
	v_cmp_lt_f32_e32 vcc_lo, v39, v40
	v_dual_mov_b32 v4, v19 :: v_dual_mov_b32 v17, v20
	v_dual_mov_b32 v18, v21 :: v_dual_mov_b32 v27, v22
	;; [unrolled: 1-line block ×10, first 2 shown]
	v_mov_b32_e32 v59, v50
	s_and_saveexec_b32 s2, vcc_lo
	s_cbranch_execz .LBB300_135
; %bb.134:
	v_dual_mov_b32 v42, v40 :: v_dual_mov_b32 v27, v22
	v_dual_mov_b32 v4, v15 :: v_dual_mov_b32 v17, v20
	;; [unrolled: 1-line block ×3, first 2 shown]
	v_swap_b32 v15, v16
	v_swap_b32 v1, v2
	v_dual_mov_b32 v40, v39 :: v_dual_mov_b32 v29, v24
	v_dual_mov_b32 v4, v19 :: v_dual_mov_b32 v31, v26
	;; [unrolled: 1-line block ×11, first 2 shown]
	v_mov_b32_e32 v54, v46
	v_mov_b32_e32 v58, v49
.LBB300_135:
	s_or_b32 exec_lo, exec_lo, s2
	s_clause 0x1
	s_load_b32 s8, s[0:1], 0x28
	s_load_b128 s[4:7], s[0:1], 0x10
	s_waitcnt lgkmcnt(0)
	s_cmp_lt_i32 s8, 1
	s_cbranch_scc1 .LBB300_141
; %bb.136:
	v_cmp_lt_f32_e32 vcc_lo, v40, v60
	v_dual_mov_b32 v7, 0 :: v_dual_mov_b32 v6, 0
	s_mov_b32 s9, 0x76543210
	s_mov_b32 s10, s8
	v_dual_cndmask_b32 v5, v56, v2 :: v_dual_cndmask_b32 v12, v61, v60
	v_dual_cndmask_b32 v10, v2, v56 :: v_dual_cndmask_b32 v19, v16, v51
	v_cndmask_b32_e32 v2, v60, v40, vcc_lo
	v_cndmask_b32_e32 v8, v51, v16, vcc_lo
	s_delay_alu instid0(VALU_DEP_4) | instskip(NEXT) | instid1(VALU_DEP_1)
	v_cmp_lt_f32_e64 s2, v39, v12
	v_cndmask_b32_e64 v9, v10, v1, s2
	v_cndmask_b32_e64 v10, v1, v10, s2
	;; [unrolled: 1-line block ×6, first 2 shown]
	v_mov_b32_e32 v19, v0
	v_mov_b32_e32 v1, 0
.LBB300_137:                            ; =>This Inner Loop Header: Depth=1
	v_cmp_eq_u32_e32 vcc_lo, 1, v7
	v_cmp_eq_u32_e64 s2, 2, v7
	v_cmp_gt_u32_e64 s3, 12, v7
	v_dual_cndmask_b32 v20, v12, v11 :: v_dual_cndmask_b32 v21, v10, v9
	s_delay_alu instid0(VALU_DEP_1) | instskip(NEXT) | instid1(VALU_DEP_2)
	v_cndmask_b32_e64 v20, v20, v2, s2
	v_cndmask_b32_e64 v21, v21, v5, s2
	v_cndmask_b32_e32 v22, v15, v16, vcc_lo
	v_cmp_eq_u32_e32 vcc_lo, 3, v7
	s_delay_alu instid0(VALU_DEP_3) | instskip(NEXT) | instid1(VALU_DEP_3)
	v_cndmask_b32_e32 v21, v21, v14, vcc_lo
	v_cndmask_b32_e64 v22, v22, v8, s2
	v_cmp_eq_u32_e64 s2, 4, v7
	s_delay_alu instid0(VALU_DEP_2) | instskip(NEXT) | instid1(VALU_DEP_2)
	v_cndmask_b32_e32 v22, v22, v13, vcc_lo
	v_cndmask_b32_e64 v21, v21, v32, s2
	v_cndmask_b32_e32 v20, v20, v3, vcc_lo
	v_cmp_eq_u32_e32 vcc_lo, 5, v7
	s_delay_alu instid0(VALU_DEP_4) | instskip(NEXT) | instid1(VALU_DEP_4)
	v_cndmask_b32_e64 v22, v22, v4, s2
	v_cndmask_b32_e32 v21, v21, v33, vcc_lo
	s_delay_alu instid0(VALU_DEP_4) | instskip(SKIP_1) | instid1(VALU_DEP_4)
	v_cndmask_b32_e64 v20, v20, v42, s2
	v_cmp_eq_u32_e64 s2, 6, v7
	v_cndmask_b32_e32 v22, v22, v17, vcc_lo
	s_delay_alu instid0(VALU_DEP_3) | instskip(SKIP_1) | instid1(VALU_DEP_4)
	v_cndmask_b32_e32 v20, v20, v52, vcc_lo
	v_cmp_eq_u32_e32 vcc_lo, 7, v7
	v_cndmask_b32_e64 v21, v21, v34, s2
	s_delay_alu instid0(VALU_DEP_4) | instskip(NEXT) | instid1(VALU_DEP_4)
	v_cndmask_b32_e64 v22, v22, v18, s2
	v_cndmask_b32_e64 v20, v20, v53, s2
	v_cmp_eq_u32_e64 s2, 8, v7
	s_delay_alu instid0(VALU_DEP_4) | instskip(NEXT) | instid1(VALU_DEP_4)
	v_cndmask_b32_e32 v21, v21, v35, vcc_lo
	v_cndmask_b32_e32 v22, v22, v27, vcc_lo
	s_delay_alu instid0(VALU_DEP_4) | instskip(SKIP_1) | instid1(VALU_DEP_4)
	v_cndmask_b32_e32 v20, v20, v54, vcc_lo
	v_cmp_eq_u32_e32 vcc_lo, 9, v7
	v_cndmask_b32_e64 v21, v21, v36, s2
	s_delay_alu instid0(VALU_DEP_4) | instskip(NEXT) | instid1(VALU_DEP_4)
	v_cndmask_b32_e64 v22, v22, v28, s2
	v_cndmask_b32_e64 v20, v20, v55, s2
	v_cmp_eq_u32_e64 s2, 10, v7
	s_delay_alu instid0(VALU_DEP_4) | instskip(NEXT) | instid1(VALU_DEP_4)
	v_cndmask_b32_e32 v21, v21, v37, vcc_lo
	v_cndmask_b32_e32 v22, v22, v29, vcc_lo
	s_delay_alu instid0(VALU_DEP_4) | instskip(SKIP_1) | instid1(VALU_DEP_4)
	v_cndmask_b32_e32 v20, v20, v57, vcc_lo
	v_cmp_eq_u32_e32 vcc_lo, 11, v7
	v_cndmask_b32_e64 v21, v21, v38, s2
	s_delay_alu instid0(VALU_DEP_3) | instskip(NEXT) | instid1(VALU_DEP_1)
	v_cndmask_b32_e64 v20, v20, v58, s2
	v_dual_cndmask_b32 v21, v21, v41 :: v_dual_cndmask_b32 v20, v20, v59
	s_delay_alu instid0(VALU_DEP_1)
	v_cndmask_b32_e64 v20, 0xff800000, v20, s3
	;;#ASMSTART
	v_max_f32 v23, v20, v20 quad_perm:[1,0,3,2] row_mask:0xf bank_mask:0xf bound_ctrl:1
	;;#ASMEND
	;;#ASMSTART
	v_max_f32 v24, v23, v23 quad_perm:[2,3,0,1] row_mask:0xf bank_mask:0xf bound_ctrl:1
	;;#ASMEND
	;;#ASMSTART
	v_max_f32 v23, v24, v24 row_half_mirror row_mask:0xf bank_mask:0xf bound_ctrl:1
	;;#ASMEND
	;;#ASMSTART
	v_max_f32 v24, v23, v23 row_mirror row_mask:0xf bank_mask:0xf bound_ctrl:1
	;;#ASMEND
	v_permlanex16_b32 v23, v24, s9, 0xfedcba98 op_sel:[1,1]
	s_delay_alu instid0(VALU_DEP_1) | instskip(NEXT) | instid1(VALU_DEP_1)
	v_dual_max_f32 v24, v24, v24 :: v_dual_max_f32 v23, v23, v23
	v_max_f32_e32 v23, v24, v23
	v_cndmask_b32_e64 v22, v22, v30, s2
	s_delay_alu instid0(VALU_DEP_2) | instskip(SKIP_1) | instid1(VALU_DEP_2)
	v_cmp_eq_f32_e64 s2, v20, v23
	v_cndmask_b32_e64 v20, 0, v21, s3
	s_ctz_i32_b32 s11, s2
	s_cmp_lg_u32 s2, 0
	s_cselect_b32 s2, s11, 0
	s_add_i32 s10, s10, -1
	v_readlane_b32 s11, v20, s2
	v_cndmask_b32_e32 v20, v22, v31, vcc_lo
	s_delay_alu instid0(VALU_DEP_2)
	v_cmp_eq_u32_e32 vcc_lo, s11, v21
	s_and_b32 s2, s11, 31
	s_and_b32 vcc_lo, s3, vcc_lo
	s_cmp_eq_u32 s10, 0
	v_cndmask_b32_e32 v20, 0, v20, vcc_lo
	v_add_co_ci_u32_e32 v7, vcc_lo, 0, v7, vcc_lo
	s_delay_alu instid0(VALU_DEP_2) | instskip(SKIP_2) | instid1(VALU_DEP_2)
	v_readlane_b32 s3, v20, s2
	v_cmp_eq_u32_e64 s2, 0, v19
	v_add_nc_u32_e32 v19, -1, v19
	v_cndmask_b32_e64 v6, v6, s3, s2
	v_cndmask_b32_e64 v1, v1, s11, s2
	s_cbranch_scc0 .LBB300_137
; %bb.138:
	s_mov_b32 s2, exec_lo
	v_cmpx_gt_i32_e64 s8, v0
	s_cbranch_execz .LBB300_140
.LBB300_139:
	s_clause 0x1
	s_load_b64 s[2:3], s[0:1], 0x20
	s_load_b32 s8, s[0:1], 0x30
	s_ashr_i32 s0, s15, 31
	v_lshlrev_b32_e32 v0, 2, v0
	s_waitcnt lgkmcnt(0)
	s_mul_i32 s1, s15, s3
	s_mul_hi_u32 s3, s15, s2
	s_mul_i32 s0, s0, s2
	s_add_i32 s1, s3, s1
	v_mul_f32_e32 v2, s8, v6
	s_add_i32 s1, s1, s0
	s_mul_i32 s0, s15, s2
	s_delay_alu instid0(SALU_CYCLE_1) | instskip(NEXT) | instid1(SALU_CYCLE_1)
	s_lshl_b64 s[0:1], s[0:1], 2
	s_add_u32 s2, s4, s0
	s_addc_u32 s3, s5, s1
	s_add_u32 s0, s6, s0
	s_addc_u32 s1, s7, s1
	s_clause 0x1
	global_store_b32 v0, v2, s[2:3]
	global_store_b32 v0, v1, s[0:1]
.LBB300_140:
	s_endpgm
.LBB300_141:
	v_dual_mov_b32 v1, 0 :: v_dual_mov_b32 v6, 0
	s_mov_b32 s2, exec_lo
	v_cmpx_gt_i32_e64 s8, v0
	s_cbranch_execnz .LBB300_139
	s_branch .LBB300_140
	.section	.rodata,"a",@progbits
	.p2align	6, 0x0
	.amdhsa_kernel _ZN5aiter24topk_softplus_kernel_optI12hip_bfloat16S1_Li384ELb0ELi0EEEvPKT_PKT0_PfPimiif
		.amdhsa_group_segment_fixed_size 0
		.amdhsa_private_segment_fixed_size 196
		.amdhsa_kernarg_size 52
		.amdhsa_user_sgpr_count 15
		.amdhsa_user_sgpr_dispatch_ptr 0
		.amdhsa_user_sgpr_queue_ptr 0
		.amdhsa_user_sgpr_kernarg_segment_ptr 1
		.amdhsa_user_sgpr_dispatch_id 0
		.amdhsa_user_sgpr_private_segment_size 0
		.amdhsa_wavefront_size32 1
		.amdhsa_uses_dynamic_stack 0
		.amdhsa_enable_private_segment 1
		.amdhsa_system_sgpr_workgroup_id_x 1
		.amdhsa_system_sgpr_workgroup_id_y 0
		.amdhsa_system_sgpr_workgroup_id_z 0
		.amdhsa_system_sgpr_workgroup_info 0
		.amdhsa_system_vgpr_workitem_id 0
		.amdhsa_next_free_vgpr 183
		.amdhsa_next_free_sgpr 16
		.amdhsa_reserve_vcc 1
		.amdhsa_float_round_mode_32 0
		.amdhsa_float_round_mode_16_64 0
		.amdhsa_float_denorm_mode_32 3
		.amdhsa_float_denorm_mode_16_64 3
		.amdhsa_dx10_clamp 1
		.amdhsa_ieee_mode 1
		.amdhsa_fp16_overflow 0
		.amdhsa_workgroup_processor_mode 1
		.amdhsa_memory_ordered 1
		.amdhsa_forward_progress 0
		.amdhsa_shared_vgpr_count 0
		.amdhsa_exception_fp_ieee_invalid_op 0
		.amdhsa_exception_fp_denorm_src 0
		.amdhsa_exception_fp_ieee_div_zero 0
		.amdhsa_exception_fp_ieee_overflow 0
		.amdhsa_exception_fp_ieee_underflow 0
		.amdhsa_exception_fp_ieee_inexact 0
		.amdhsa_exception_int_div_zero 0
	.end_amdhsa_kernel
	.section	.text._ZN5aiter24topk_softplus_kernel_optI12hip_bfloat16S1_Li384ELb0ELi0EEEvPKT_PKT0_PfPimiif,"axG",@progbits,_ZN5aiter24topk_softplus_kernel_optI12hip_bfloat16S1_Li384ELb0ELi0EEEvPKT_PKT0_PfPimiif,comdat
.Lfunc_end300:
	.size	_ZN5aiter24topk_softplus_kernel_optI12hip_bfloat16S1_Li384ELb0ELi0EEEvPKT_PKT0_PfPimiif, .Lfunc_end300-_ZN5aiter24topk_softplus_kernel_optI12hip_bfloat16S1_Li384ELb0ELi0EEEvPKT_PKT0_PfPimiif
                                        ; -- End function
	.section	.AMDGPU.csdata,"",@progbits
; Kernel info:
; codeLenInByte = 30440
; NumSgprs: 18
; NumVgprs: 183
; ScratchSize: 196
; MemoryBound: 0
; FloatMode: 240
; IeeeMode: 1
; LDSByteSize: 0 bytes/workgroup (compile time only)
; SGPRBlocks: 2
; VGPRBlocks: 22
; NumSGPRsForWavesPerEU: 18
; NumVGPRsForWavesPerEU: 183
; Occupancy: 8
; WaveLimiterHint : 0
; COMPUTE_PGM_RSRC2:SCRATCH_EN: 1
; COMPUTE_PGM_RSRC2:USER_SGPR: 15
; COMPUTE_PGM_RSRC2:TRAP_HANDLER: 0
; COMPUTE_PGM_RSRC2:TGID_X_EN: 1
; COMPUTE_PGM_RSRC2:TGID_Y_EN: 0
; COMPUTE_PGM_RSRC2:TGID_Z_EN: 0
; COMPUTE_PGM_RSRC2:TIDIG_COMP_CNT: 0
	.section	.text._ZN5aiter20topk_softplus_kernelI12hip_bfloat16S1_Dv4_fLb1ELi0EEEvPKT_PKT0_PfPimiiif,"axG",@progbits,_ZN5aiter20topk_softplus_kernelI12hip_bfloat16S1_Dv4_fLb1ELi0EEEvPKT_PKT0_PfPimiiif,comdat
	.protected	_ZN5aiter20topk_softplus_kernelI12hip_bfloat16S1_Dv4_fLb1ELi0EEEvPKT_PKT0_PfPimiiif ; -- Begin function _ZN5aiter20topk_softplus_kernelI12hip_bfloat16S1_Dv4_fLb1ELi0EEEvPKT_PKT0_PfPimiiif
	.globl	_ZN5aiter20topk_softplus_kernelI12hip_bfloat16S1_Dv4_fLb1ELi0EEEvPKT_PKT0_PfPimiiif
	.p2align	8
	.type	_ZN5aiter20topk_softplus_kernelI12hip_bfloat16S1_Dv4_fLb1ELi0EEEvPKT_PKT0_PfPimiiif,@function
_ZN5aiter20topk_softplus_kernelI12hip_bfloat16S1_Dv4_fLb1ELi0EEEvPKT_PKT0_PfPimiiif: ; @_ZN5aiter20topk_softplus_kernelI12hip_bfloat16S1_Dv4_fLb1ELi0EEEvPKT_PKT0_PfPimiiif
; %bb.0:
	s_clause 0x1
	s_load_b64 s[12:13], s[0:1], 0x28
	s_load_b256 s[4:11], s[0:1], 0x0
	v_lshlrev_b32_e32 v11, 2, v0
	v_lshl_add_u32 v12, v0, 4, 0
	s_waitcnt lgkmcnt(0)
	s_ashr_i32 s2, s12, 31
	s_mul_i32 s16, s15, s12
	s_lshr_b32 s2, s2, 30
	s_ashr_i32 s17, s16, 31
	s_add_i32 s2, s12, s2
	s_delay_alu instid0(SALU_CYCLE_1) | instskip(NEXT) | instid1(SALU_CYCLE_1)
	s_ashr_i32 s14, s2, 2
	v_cmp_gt_i32_e64 s2, s14, v0
	s_delay_alu instid0(VALU_DEP_1)
	s_and_saveexec_b32 s18, s2
	s_cbranch_execz .LBB301_11
; %bb.1:
	s_load_b32 s3, s[0:1], 0x44
	s_cmp_lg_u64 s[6:7], 0
	v_dual_mov_b32 v6, 0 :: v_dual_lshlrev_b32 v1, 3, v0
	s_cselect_b32 s20, -1, 0
	v_dual_mov_b32 v14, v0 :: v_dual_lshlrev_b32 v5, 2, v0
	v_lshl_add_u32 v13, v0, 4, 0
	s_mov_b32 s19, 0
	s_waitcnt lgkmcnt(0)
	s_and_b32 s21, s3, 0xffff
	s_add_u32 s22, s6, 2
	s_addc_u32 s23, s7, 0
	s_add_u32 s24, s6, 4
	s_addc_u32 s25, s7, 0
	;; [unrolled: 2-line block ×3, first 2 shown]
	s_lshl_b64 s[28:29], s[16:17], 1
	s_delay_alu instid0(SALU_CYCLE_1) | instskip(SKIP_2) | instid1(VALU_DEP_1)
	s_add_u32 s3, s4, s28
	s_addc_u32 s28, s5, s29
	v_add_co_u32 v7, s3, s3, v1
	v_add_co_ci_u32_e64 v8, null, s28, 0, s3
	s_lshl_b32 s28, s21, 3
	s_lshl_b32 s29, s21, 2
	;; [unrolled: 1-line block ×3, first 2 shown]
	s_branch .LBB301_3
.LBB301_2:                              ;   in Loop: Header=BB301_3 Depth=1
	v_add_nc_u32_e32 v14, s21, v14
	v_add_co_u32 v7, s3, v7, s28
	ds_store_b128 v13, v[1:4]
	v_add_co_ci_u32_e64 v8, s3, 0, v8, s3
	v_cmp_le_i32_e32 vcc_lo, s14, v14
	v_add_nc_u32_e32 v5, s29, v5
	v_add_nc_u32_e32 v13, s30, v13
	s_or_b32 s19, vcc_lo, s19
	s_delay_alu instid0(SALU_CYCLE_1)
	s_and_not1_b32 exec_lo, exec_lo, s19
	s_cbranch_execz .LBB301_11
.LBB301_3:                              ; =>This Inner Loop Header: Depth=1
	global_load_b64 v[3:4], v[7:8], off
	s_waitcnt vmcnt(0)
	v_and_b32_e32 v1, 0xffff, v3
	s_delay_alu instid0(VALU_DEP_1) | instskip(NEXT) | instid1(VALU_DEP_1)
	v_cvt_f32_u32_e32 v1, v1
	v_mul_f32_e32 v2, 0x3fb8aa3b, v1
	s_delay_alu instid0(VALU_DEP_1) | instskip(SKIP_2) | instid1(VALU_DEP_2)
	v_cmp_gt_f32_e32 vcc_lo, 0xc2fc0000, v2
	v_cndmask_b32_e64 v2, 0, 0x42800000, vcc_lo
	v_cndmask_b32_e64 v9, 1.0, 0x1f800000, vcc_lo
	v_fmac_f32_e32 v2, 0x3fb8aa3b, v1
	s_delay_alu instid0(VALU_DEP_1) | instskip(SKIP_2) | instid1(VALU_DEP_1)
	v_exp_f32_e32 v2, v2
	s_waitcnt_depctr 0xfff
	v_fma_f32 v2, v2, v9, 1.0
	v_cmp_gt_f32_e32 vcc_lo, 0x800000, v2
	v_cndmask_b32_e64 v9, 1.0, 0x4f800000, vcc_lo
	s_delay_alu instid0(VALU_DEP_1) | instskip(SKIP_2) | instid1(VALU_DEP_3)
	v_mul_f32_e32 v2, v2, v9
	v_cndmask_b32_e64 v9, 0, 0x42000000, vcc_lo
	v_cmp_lt_u16_e32 vcc_lo, 20, v3
	v_log_f32_e32 v2, v2
	s_waitcnt_depctr 0xfff
	v_sub_f32_e32 v2, v2, v9
	s_delay_alu instid0(VALU_DEP_1) | instskip(NEXT) | instid1(VALU_DEP_1)
	v_mul_f32_e32 v2, 0x3f317218, v2
	v_cndmask_b32_e32 v1, v2, v1, vcc_lo
	s_delay_alu instid0(VALU_DEP_1) | instskip(SKIP_1) | instid1(VALU_DEP_2)
	v_mul_f32_e32 v2, 0x4f800000, v1
	v_cmp_gt_f32_e32 vcc_lo, 0xf800000, v1
	v_cndmask_b32_e32 v1, v1, v2, vcc_lo
	s_delay_alu instid0(VALU_DEP_1) | instskip(SKIP_3) | instid1(VALU_DEP_2)
	v_sqrt_f32_e32 v2, v1
	s_waitcnt_depctr 0xfff
	v_add_nc_u32_e32 v9, -1, v2
	v_add_nc_u32_e32 v10, 1, v2
	v_fma_f32 v15, -v9, v2, v1
	s_delay_alu instid0(VALU_DEP_2) | instskip(NEXT) | instid1(VALU_DEP_2)
	v_fma_f32 v16, -v10, v2, v1
	v_cmp_ge_f32_e64 s3, 0, v15
	s_delay_alu instid0(VALU_DEP_1) | instskip(NEXT) | instid1(VALU_DEP_3)
	v_cndmask_b32_e64 v2, v2, v9, s3
	v_cmp_lt_f32_e64 s3, 0, v16
	s_delay_alu instid0(VALU_DEP_1) | instskip(NEXT) | instid1(VALU_DEP_1)
	v_cndmask_b32_e64 v2, v2, v10, s3
	v_mul_f32_e32 v9, 0x37800000, v2
	s_delay_alu instid0(VALU_DEP_1) | instskip(SKIP_2) | instid1(VALU_DEP_3)
	v_cndmask_b32_e32 v2, v2, v9, vcc_lo
	v_cmp_class_f32_e64 vcc_lo, v1, 0x260
	v_lshlrev_b64 v[9:10], 1, v[5:6]
	v_cndmask_b32_e32 v1, v2, v1, vcc_lo
	s_and_not1_b32 vcc_lo, exec_lo, s20
	s_cbranch_vccnz .LBB301_5
; %bb.4:                                ;   in Loop: Header=BB301_3 Depth=1
	s_delay_alu instid0(VALU_DEP_2) | instskip(NEXT) | instid1(VALU_DEP_3)
	v_add_co_u32 v15, vcc_lo, s6, v9
	v_add_co_ci_u32_e32 v16, vcc_lo, s7, v10, vcc_lo
	global_load_u16 v2, v[15:16], off
	s_waitcnt vmcnt(0)
	v_lshlrev_b32_e32 v2, 16, v2
	s_delay_alu instid0(VALU_DEP_1)
	v_add_f32_e32 v1, v1, v2
.LBB301_5:                              ;   in Loop: Header=BB301_3 Depth=1
	v_lshrrev_b32_e32 v2, 16, v3
	s_delay_alu instid0(VALU_DEP_1) | instskip(NEXT) | instid1(VALU_DEP_1)
	v_cvt_f32_u32_e32 v3, v2
	v_mul_f32_e32 v15, 0x3fb8aa3b, v3
	s_delay_alu instid0(VALU_DEP_1) | instskip(SKIP_2) | instid1(VALU_DEP_2)
	v_cmp_gt_f32_e32 vcc_lo, 0xc2fc0000, v15
	v_cndmask_b32_e64 v15, 0, 0x42800000, vcc_lo
	v_cndmask_b32_e64 v16, 1.0, 0x1f800000, vcc_lo
	v_fmac_f32_e32 v15, 0x3fb8aa3b, v3
	s_delay_alu instid0(VALU_DEP_1) | instskip(SKIP_2) | instid1(VALU_DEP_1)
	v_exp_f32_e32 v15, v15
	s_waitcnt_depctr 0xfff
	v_fma_f32 v15, v15, v16, 1.0
	v_cmp_gt_f32_e32 vcc_lo, 0x800000, v15
	v_cndmask_b32_e64 v16, 1.0, 0x4f800000, vcc_lo
	s_delay_alu instid0(VALU_DEP_1) | instskip(SKIP_2) | instid1(VALU_DEP_3)
	v_mul_f32_e32 v15, v15, v16
	v_cndmask_b32_e64 v16, 0, 0x42000000, vcc_lo
	v_cmp_lt_u16_e32 vcc_lo, 20, v2
	v_log_f32_e32 v15, v15
	s_waitcnt_depctr 0xfff
	v_sub_f32_e32 v15, v15, v16
	s_delay_alu instid0(VALU_DEP_1) | instskip(NEXT) | instid1(VALU_DEP_1)
	v_mul_f32_e32 v15, 0x3f317218, v15
	v_cndmask_b32_e32 v2, v15, v3, vcc_lo
	s_delay_alu instid0(VALU_DEP_1) | instskip(SKIP_1) | instid1(VALU_DEP_2)
	v_mul_f32_e32 v3, 0x4f800000, v2
	v_cmp_gt_f32_e32 vcc_lo, 0xf800000, v2
	v_cndmask_b32_e32 v2, v2, v3, vcc_lo
	s_delay_alu instid0(VALU_DEP_1) | instskip(SKIP_3) | instid1(VALU_DEP_2)
	v_sqrt_f32_e32 v3, v2
	s_waitcnt_depctr 0xfff
	v_add_nc_u32_e32 v16, 1, v3
	v_add_nc_u32_e32 v15, -1, v3
	v_fma_f32 v18, -v16, v3, v2
	s_delay_alu instid0(VALU_DEP_2) | instskip(NEXT) | instid1(VALU_DEP_1)
	v_fma_f32 v17, -v15, v3, v2
	v_cmp_ge_f32_e64 s3, 0, v17
	s_delay_alu instid0(VALU_DEP_1) | instskip(NEXT) | instid1(VALU_DEP_4)
	v_cndmask_b32_e64 v3, v3, v15, s3
	v_cmp_lt_f32_e64 s3, 0, v18
	s_delay_alu instid0(VALU_DEP_1) | instskip(NEXT) | instid1(VALU_DEP_1)
	v_cndmask_b32_e64 v3, v3, v16, s3
	v_mul_f32_e32 v15, 0x37800000, v3
	s_delay_alu instid0(VALU_DEP_1) | instskip(SKIP_1) | instid1(VALU_DEP_2)
	v_cndmask_b32_e32 v3, v3, v15, vcc_lo
	v_cmp_class_f32_e64 vcc_lo, v2, 0x260
	v_cndmask_b32_e32 v2, v3, v2, vcc_lo
	s_and_not1_b32 vcc_lo, exec_lo, s20
	s_cbranch_vccnz .LBB301_7
; %bb.6:                                ;   in Loop: Header=BB301_3 Depth=1
	v_add_co_u32 v15, vcc_lo, s22, v9
	v_add_co_ci_u32_e32 v16, vcc_lo, s23, v10, vcc_lo
	global_load_u16 v3, v[15:16], off
	s_waitcnt vmcnt(0)
	v_lshlrev_b32_e32 v3, 16, v3
	s_delay_alu instid0(VALU_DEP_1)
	v_add_f32_e32 v2, v2, v3
.LBB301_7:                              ;   in Loop: Header=BB301_3 Depth=1
	v_and_b32_e32 v3, 0xffff, v4
	s_delay_alu instid0(VALU_DEP_1) | instskip(NEXT) | instid1(VALU_DEP_1)
	v_cvt_f32_u32_e32 v3, v3
	v_mul_f32_e32 v15, 0x3fb8aa3b, v3
	s_delay_alu instid0(VALU_DEP_1) | instskip(SKIP_2) | instid1(VALU_DEP_2)
	v_cmp_gt_f32_e32 vcc_lo, 0xc2fc0000, v15
	v_cndmask_b32_e64 v15, 0, 0x42800000, vcc_lo
	v_cndmask_b32_e64 v16, 1.0, 0x1f800000, vcc_lo
	v_fmac_f32_e32 v15, 0x3fb8aa3b, v3
	s_delay_alu instid0(VALU_DEP_1) | instskip(SKIP_2) | instid1(VALU_DEP_1)
	v_exp_f32_e32 v15, v15
	s_waitcnt_depctr 0xfff
	v_fma_f32 v15, v15, v16, 1.0
	v_cmp_gt_f32_e32 vcc_lo, 0x800000, v15
	v_cndmask_b32_e64 v16, 1.0, 0x4f800000, vcc_lo
	s_delay_alu instid0(VALU_DEP_1) | instskip(SKIP_2) | instid1(VALU_DEP_3)
	v_mul_f32_e32 v15, v15, v16
	v_cndmask_b32_e64 v16, 0, 0x42000000, vcc_lo
	v_cmp_lt_u16_e32 vcc_lo, 20, v4
	v_log_f32_e32 v15, v15
	s_waitcnt_depctr 0xfff
	v_sub_f32_e32 v15, v15, v16
	s_delay_alu instid0(VALU_DEP_1) | instskip(NEXT) | instid1(VALU_DEP_1)
	v_mul_f32_e32 v15, 0x3f317218, v15
	v_cndmask_b32_e32 v3, v15, v3, vcc_lo
	s_delay_alu instid0(VALU_DEP_1) | instskip(SKIP_1) | instid1(VALU_DEP_2)
	v_mul_f32_e32 v15, 0x4f800000, v3
	v_cmp_gt_f32_e32 vcc_lo, 0xf800000, v3
	v_cndmask_b32_e32 v3, v3, v15, vcc_lo
	s_delay_alu instid0(VALU_DEP_1) | instskip(SKIP_3) | instid1(VALU_DEP_2)
	v_sqrt_f32_e32 v15, v3
	s_waitcnt_depctr 0xfff
	v_add_nc_u32_e32 v16, -1, v15
	v_add_nc_u32_e32 v17, 1, v15
	v_fma_f32 v18, -v16, v15, v3
	s_delay_alu instid0(VALU_DEP_2) | instskip(NEXT) | instid1(VALU_DEP_2)
	v_fma_f32 v19, -v17, v15, v3
	v_cmp_ge_f32_e64 s3, 0, v18
	s_delay_alu instid0(VALU_DEP_1) | instskip(NEXT) | instid1(VALU_DEP_3)
	v_cndmask_b32_e64 v15, v15, v16, s3
	v_cmp_lt_f32_e64 s3, 0, v19
	s_delay_alu instid0(VALU_DEP_1) | instskip(NEXT) | instid1(VALU_DEP_1)
	v_cndmask_b32_e64 v15, v15, v17, s3
	v_mul_f32_e32 v16, 0x37800000, v15
	s_delay_alu instid0(VALU_DEP_1) | instskip(SKIP_1) | instid1(VALU_DEP_2)
	v_cndmask_b32_e32 v15, v15, v16, vcc_lo
	v_cmp_class_f32_e64 vcc_lo, v3, 0x260
	v_cndmask_b32_e32 v3, v15, v3, vcc_lo
	s_and_not1_b32 vcc_lo, exec_lo, s20
	s_cbranch_vccnz .LBB301_9
; %bb.8:                                ;   in Loop: Header=BB301_3 Depth=1
	v_add_co_u32 v15, vcc_lo, s24, v9
	v_add_co_ci_u32_e32 v16, vcc_lo, s25, v10, vcc_lo
	global_load_u16 v15, v[15:16], off
	s_waitcnt vmcnt(0)
	v_lshlrev_b32_e32 v15, 16, v15
	s_delay_alu instid0(VALU_DEP_1)
	v_add_f32_e32 v3, v3, v15
.LBB301_9:                              ;   in Loop: Header=BB301_3 Depth=1
	v_lshrrev_b32_e32 v4, 16, v4
	s_delay_alu instid0(VALU_DEP_1) | instskip(NEXT) | instid1(VALU_DEP_1)
	v_cvt_f32_u32_e32 v15, v4
	v_mul_f32_e32 v16, 0x3fb8aa3b, v15
	s_delay_alu instid0(VALU_DEP_1) | instskip(SKIP_2) | instid1(VALU_DEP_2)
	v_cmp_gt_f32_e32 vcc_lo, 0xc2fc0000, v16
	v_cndmask_b32_e64 v16, 0, 0x42800000, vcc_lo
	v_cndmask_b32_e64 v17, 1.0, 0x1f800000, vcc_lo
	v_fmac_f32_e32 v16, 0x3fb8aa3b, v15
	s_delay_alu instid0(VALU_DEP_1) | instskip(SKIP_2) | instid1(VALU_DEP_1)
	v_exp_f32_e32 v16, v16
	s_waitcnt_depctr 0xfff
	v_fma_f32 v16, v16, v17, 1.0
	v_cmp_gt_f32_e32 vcc_lo, 0x800000, v16
	v_cndmask_b32_e64 v17, 1.0, 0x4f800000, vcc_lo
	s_delay_alu instid0(VALU_DEP_1) | instskip(SKIP_2) | instid1(VALU_DEP_3)
	v_mul_f32_e32 v16, v16, v17
	v_cndmask_b32_e64 v17, 0, 0x42000000, vcc_lo
	v_cmp_lt_u16_e32 vcc_lo, 20, v4
	v_log_f32_e32 v16, v16
	s_waitcnt_depctr 0xfff
	v_sub_f32_e32 v16, v16, v17
	s_delay_alu instid0(VALU_DEP_1) | instskip(NEXT) | instid1(VALU_DEP_1)
	v_mul_f32_e32 v16, 0x3f317218, v16
	v_cndmask_b32_e32 v4, v16, v15, vcc_lo
	s_delay_alu instid0(VALU_DEP_1) | instskip(SKIP_1) | instid1(VALU_DEP_2)
	v_mul_f32_e32 v15, 0x4f800000, v4
	v_cmp_gt_f32_e32 vcc_lo, 0xf800000, v4
	v_cndmask_b32_e32 v4, v4, v15, vcc_lo
	s_delay_alu instid0(VALU_DEP_1) | instskip(SKIP_3) | instid1(VALU_DEP_2)
	v_sqrt_f32_e32 v15, v4
	s_waitcnt_depctr 0xfff
	v_add_nc_u32_e32 v16, -1, v15
	v_add_nc_u32_e32 v17, 1, v15
	v_fma_f32 v18, -v16, v15, v4
	s_delay_alu instid0(VALU_DEP_2) | instskip(NEXT) | instid1(VALU_DEP_2)
	v_fma_f32 v19, -v17, v15, v4
	v_cmp_ge_f32_e64 s3, 0, v18
	s_delay_alu instid0(VALU_DEP_1) | instskip(NEXT) | instid1(VALU_DEP_3)
	v_cndmask_b32_e64 v15, v15, v16, s3
	v_cmp_lt_f32_e64 s3, 0, v19
	s_delay_alu instid0(VALU_DEP_1) | instskip(NEXT) | instid1(VALU_DEP_1)
	v_cndmask_b32_e64 v15, v15, v17, s3
	v_mul_f32_e32 v16, 0x37800000, v15
	s_delay_alu instid0(VALU_DEP_1) | instskip(SKIP_1) | instid1(VALU_DEP_2)
	v_cndmask_b32_e32 v15, v15, v16, vcc_lo
	v_cmp_class_f32_e64 vcc_lo, v4, 0x260
	v_cndmask_b32_e32 v4, v15, v4, vcc_lo
	s_and_not1_b32 vcc_lo, exec_lo, s20
	s_cbranch_vccnz .LBB301_2
; %bb.10:                               ;   in Loop: Header=BB301_3 Depth=1
	v_add_co_u32 v9, vcc_lo, s26, v9
	v_add_co_ci_u32_e32 v10, vcc_lo, s27, v10, vcc_lo
	global_load_u16 v9, v[9:10], off
	s_waitcnt vmcnt(0)
	v_lshlrev_b32_e32 v9, 16, v9
	s_delay_alu instid0(VALU_DEP_1)
	v_add_f32_e32 v4, v4, v9
	s_branch .LBB301_2
.LBB301_11:
	s_or_b32 exec_lo, exec_lo, s18
	v_lshl_add_u32 v1, s14, 2, v0
	s_mov_b32 s18, exec_lo
	s_delay_alu instid0(VALU_DEP_1)
	v_cmpx_gt_i32_e64 s12, v1
	s_cbranch_execz .LBB301_16
; %bb.12:
	s_load_b32 s3, s[0:1], 0x44
	s_lshl_b64 s[16:17], s[16:17], 1
	v_lshlrev_b32_e32 v2, 2, v0
	s_add_u32 s4, s4, s16
	s_addc_u32 s5, s5, s17
	s_cmp_lg_u64 s[6:7], 0
	s_mov_b32 s19, 0
	s_cselect_b32 s16, -1, 0
	s_lshl_b32 s17, s14, 4
	s_delay_alu instid0(SALU_CYCLE_1) | instskip(SKIP_2) | instid1(SALU_CYCLE_1)
	v_add3_u32 v4, 0, s17, v2
	s_waitcnt lgkmcnt(0)
	s_and_b32 s17, s3, 0xffff
	s_lshl_b32 s20, s17, 2
	s_branch .LBB301_14
.LBB301_13:                             ;   in Loop: Header=BB301_14 Depth=1
	v_add_nc_u32_e32 v1, s17, v1
	v_add_nc_u32_e32 v4, s20, v4
	s_delay_alu instid0(VALU_DEP_2) | instskip(SKIP_1) | instid1(SALU_CYCLE_1)
	v_cmp_le_i32_e32 vcc_lo, s12, v1
	s_or_b32 s19, vcc_lo, s19
	s_and_not1_b32 exec_lo, exec_lo, s19
	s_cbranch_execz .LBB301_16
.LBB301_14:                             ; =>This Inner Loop Header: Depth=1
	v_ashrrev_i32_e32 v2, 31, v1
	s_delay_alu instid0(VALU_DEP_1) | instskip(NEXT) | instid1(VALU_DEP_1)
	v_lshlrev_b64 v[2:3], 1, v[1:2]
	v_add_co_u32 v5, vcc_lo, s4, v2
	s_delay_alu instid0(VALU_DEP_2) | instskip(SKIP_3) | instid1(VALU_DEP_1)
	v_add_co_ci_u32_e32 v6, vcc_lo, s5, v3, vcc_lo
	global_load_u16 v5, v[5:6], off
	s_waitcnt vmcnt(0)
	v_lshlrev_b32_e32 v5, 16, v5
	v_mul_f32_e32 v6, 0x3fb8aa3b, v5
	s_delay_alu instid0(VALU_DEP_1) | instskip(SKIP_2) | instid1(VALU_DEP_2)
	v_cmp_gt_f32_e32 vcc_lo, 0xc2fc0000, v6
	v_cndmask_b32_e64 v6, 0, 0x42800000, vcc_lo
	v_cndmask_b32_e64 v7, 1.0, 0x1f800000, vcc_lo
	v_fmac_f32_e32 v6, 0x3fb8aa3b, v5
	s_delay_alu instid0(VALU_DEP_1) | instskip(SKIP_2) | instid1(VALU_DEP_1)
	v_exp_f32_e32 v6, v6
	s_waitcnt_depctr 0xfff
	v_fma_f32 v6, v6, v7, 1.0
	v_cmp_gt_f32_e32 vcc_lo, 0x800000, v6
	v_cndmask_b32_e64 v7, 1.0, 0x4f800000, vcc_lo
	s_delay_alu instid0(VALU_DEP_1) | instskip(SKIP_2) | instid1(VALU_DEP_3)
	v_mul_f32_e32 v6, v6, v7
	v_cndmask_b32_e64 v7, 0, 0x42000000, vcc_lo
	v_cmp_lt_f32_e32 vcc_lo, 0x41a00000, v5
	v_log_f32_e32 v6, v6
	s_waitcnt_depctr 0xfff
	v_sub_f32_e32 v6, v6, v7
	s_delay_alu instid0(VALU_DEP_1) | instskip(NEXT) | instid1(VALU_DEP_1)
	v_mul_f32_e32 v6, 0x3f317218, v6
	v_cndmask_b32_e32 v5, v6, v5, vcc_lo
	s_delay_alu instid0(VALU_DEP_1) | instskip(SKIP_1) | instid1(VALU_DEP_2)
	v_mul_f32_e32 v6, 0x4f800000, v5
	v_cmp_gt_f32_e32 vcc_lo, 0xf800000, v5
	v_cndmask_b32_e32 v5, v5, v6, vcc_lo
	s_delay_alu instid0(VALU_DEP_1) | instskip(SKIP_3) | instid1(VALU_DEP_2)
	v_sqrt_f32_e32 v6, v5
	s_waitcnt_depctr 0xfff
	v_add_nc_u32_e32 v7, -1, v6
	v_add_nc_u32_e32 v8, 1, v6
	v_fma_f32 v9, -v7, v6, v5
	s_delay_alu instid0(VALU_DEP_2) | instskip(NEXT) | instid1(VALU_DEP_2)
	v_fma_f32 v10, -v8, v6, v5
	v_cmp_ge_f32_e64 s3, 0, v9
	s_delay_alu instid0(VALU_DEP_1) | instskip(NEXT) | instid1(VALU_DEP_3)
	v_cndmask_b32_e64 v6, v6, v7, s3
	v_cmp_lt_f32_e64 s3, 0, v10
	s_delay_alu instid0(VALU_DEP_1) | instskip(NEXT) | instid1(VALU_DEP_1)
	v_cndmask_b32_e64 v6, v6, v8, s3
	v_mul_f32_e32 v7, 0x37800000, v6
	s_delay_alu instid0(VALU_DEP_1) | instskip(SKIP_1) | instid1(VALU_DEP_2)
	v_cndmask_b32_e32 v6, v6, v7, vcc_lo
	v_cmp_class_f32_e64 vcc_lo, v5, 0x260
	v_cndmask_b32_e32 v5, v6, v5, vcc_lo
	s_and_not1_b32 vcc_lo, exec_lo, s16
	ds_store_b32 v4, v5
	s_cbranch_vccnz .LBB301_13
; %bb.15:                               ;   in Loop: Header=BB301_14 Depth=1
	v_add_co_u32 v2, vcc_lo, s6, v2
	v_add_co_ci_u32_e32 v3, vcc_lo, s7, v3, vcc_lo
	global_load_u16 v2, v[2:3], off
	s_waitcnt vmcnt(0)
	v_lshlrev_b32_e32 v2, 16, v2
	s_delay_alu instid0(VALU_DEP_1)
	v_add_f32_e32 v2, v5, v2
	ds_store_b32 v4, v2
	s_branch .LBB301_13
.LBB301_16:
	s_or_b32 exec_lo, exec_lo, s18
	v_mov_b32_e32 v2, 0
	s_cmp_lt_i32 s13, 1
	s_waitcnt lgkmcnt(0)
	s_barrier
	buffer_gl0_inv
	s_cbranch_scc1 .LBB301_25
; %bb.17:
	s_add_u32 s4, s0, 56
	s_addc_u32 s5, s1, 0
	v_dual_mov_b32 v2, 0 :: v_dual_mov_b32 v5, 0xff800000
	v_dual_mov_b32 v4, 0 :: v_dual_mov_b32 v1, 0
	v_mov_b32_e32 v3, 0
	s_cmp_lg_u64 s[6:7], 0
	s_mov_b32 s18, 0
	s_cselect_b32 s12, -1, 0
	s_mov_b32 s19, 0x76543210
	s_branch .LBB301_19
.LBB301_18:                             ;   in Loop: Header=BB301_19 Depth=1
	v_cmp_eq_u32_e32 vcc_lo, s18, v0
	s_delay_alu instid0(VALU_DEP_2)
	s_lshl_b32 s3, s16, 2
	s_add_i32 s18, s18, 1
	s_add_i32 s3, s3, 0
	v_add_f32_e32 v3, v3, v8
	v_cndmask_b32_e64 v1, v1, s16, vcc_lo
	v_mov_b32_e32 v6, s3
	v_cndmask_b32_e32 v2, v2, v8, vcc_lo
	s_cmp_eq_u32 s18, s13
	ds_store_b32 v6, v5
	s_cbranch_scc1 .LBB301_26
.LBB301_19:                             ; =>This Loop Header: Depth=1
                                        ;     Child Loop BB301_21 Depth 2
	v_dual_mov_b32 v6, s18 :: v_dual_mov_b32 v7, 0xff800000
	s_and_saveexec_b32 s16, s2
	s_cbranch_execz .LBB301_23
; %bb.20:                               ;   in Loop: Header=BB301_19 Depth=1
	s_load_b32 s3, s[4:5], 0xc
	v_dual_mov_b32 v6, s18 :: v_dual_mov_b32 v7, 0xff800000
	v_dual_mov_b32 v8, v12 :: v_dual_mov_b32 v9, v11
	v_mov_b32_e32 v10, v0
	s_mov_b32 s21, 0
	s_waitcnt lgkmcnt(0)
	s_and_b32 s17, s3, 0xffff
	s_delay_alu instid0(SALU_CYCLE_1)
	s_lshl_b32 s20, s17, 2
	s_lshl_b32 s22, s17, 4
	.p2align	6
.LBB301_21:                             ;   Parent Loop BB301_19 Depth=1
                                        ; =>  This Inner Loop Header: Depth=2
	ds_load_b128 v[13:16], v8
	v_add_nc_u32_e32 v8, s22, v8
	v_add_nc_u32_e32 v10, s17, v10
	s_delay_alu instid0(VALU_DEP_1) | instskip(NEXT) | instid1(VALU_DEP_1)
	v_cmp_le_i32_e64 s3, s14, v10
	s_or_b32 s21, s3, s21
	s_waitcnt lgkmcnt(0)
	v_cmp_gt_f32_e32 vcc_lo, v13, v7
	v_cndmask_b32_e32 v7, v7, v13, vcc_lo
	v_cndmask_b32_e32 v6, v6, v9, vcc_lo
	s_delay_alu instid0(VALU_DEP_2) | instskip(SKIP_2) | instid1(VALU_DEP_1)
	v_cmp_gt_f32_e32 vcc_lo, v14, v7
	v_dual_cndmask_b32 v7, v7, v14 :: v_dual_add_nc_u32 v14, 2, v9
	v_add_nc_u32_e32 v13, 1, v9
	v_cndmask_b32_e32 v6, v6, v13, vcc_lo
	s_delay_alu instid0(VALU_DEP_3) | instskip(SKIP_2) | instid1(VALU_DEP_4)
	v_cmp_gt_f32_e32 vcc_lo, v15, v7
	v_add_nc_u32_e32 v13, 3, v9
	v_add_nc_u32_e32 v9, s20, v9
	v_dual_cndmask_b32 v7, v7, v15 :: v_dual_cndmask_b32 v6, v6, v14
	s_delay_alu instid0(VALU_DEP_1) | instskip(NEXT) | instid1(VALU_DEP_2)
	v_cmp_gt_f32_e32 vcc_lo, v16, v7
	v_dual_cndmask_b32 v7, v7, v16 :: v_dual_cndmask_b32 v6, v6, v13
	s_and_not1_b32 exec_lo, exec_lo, s21
	s_cbranch_execnz .LBB301_21
; %bb.22:                               ;   in Loop: Header=BB301_19 Depth=1
	s_or_b32 exec_lo, exec_lo, s21
.LBB301_23:                             ;   in Loop: Header=BB301_19 Depth=1
	s_delay_alu instid0(SALU_CYCLE_1)
	s_or_b32 exec_lo, exec_lo, s16
	;;#ASMSTART
	v_max_f32 v8, v7, v7 quad_perm:[1,0,3,2] row_mask:0xf bank_mask:0xf bound_ctrl:1
	;;#ASMEND
	;;#ASMSTART
	v_max_f32 v9, v8, v8 quad_perm:[2,3,0,1] row_mask:0xf bank_mask:0xf bound_ctrl:1
	;;#ASMEND
	;;#ASMSTART
	v_max_f32 v8, v9, v9 row_half_mirror row_mask:0xf bank_mask:0xf bound_ctrl:1
	;;#ASMEND
	;;#ASMSTART
	v_max_f32 v9, v8, v8 row_mirror row_mask:0xf bank_mask:0xf bound_ctrl:1
	;;#ASMEND
	v_permlanex16_b32 v8, v9, s19, 0xfedcba98 op_sel:[1,1]
	s_delay_alu instid0(VALU_DEP_1) | instskip(NEXT) | instid1(VALU_DEP_1)
	v_dual_max_f32 v9, v9, v9 :: v_dual_max_f32 v8, v8, v8
	v_max_f32_e32 v8, v9, v8
	s_delay_alu instid0(VALU_DEP_1)
	v_cmp_eq_f32_e32 vcc_lo, v7, v8
	s_ctz_i32_b32 s3, vcc_lo
	s_cmp_lg_u32 vcc_lo, 0
	s_cselect_b32 s3, s3, 0
	s_and_b32 vcc_lo, exec_lo, s12
	v_readlane_b32 s16, v6, s3
	s_cbranch_vccz .LBB301_18
; %bb.24:                               ;   in Loop: Header=BB301_19 Depth=1
	s_delay_alu instid0(VALU_DEP_1) | instskip(NEXT) | instid1(SALU_CYCLE_1)
	s_ashr_i32 s17, s16, 31
	s_lshl_b64 s[20:21], s[16:17], 1
	s_delay_alu instid0(SALU_CYCLE_1) | instskip(SKIP_4) | instid1(VALU_DEP_1)
	s_add_u32 s20, s6, s20
	s_addc_u32 s21, s7, s21
	global_load_u16 v6, v4, s[20:21]
	s_waitcnt vmcnt(0)
	v_lshlrev_b32_e32 v6, 16, v6
	v_sub_f32_e32 v8, v8, v6
	s_branch .LBB301_18
.LBB301_25:
	v_mov_b32_e32 v1, 0
	v_mov_b32_e32 v3, 0
.LBB301_26:
	s_mov_b32 s2, exec_lo
	v_cmpx_gt_i32_e64 s13, v0
	s_cbranch_execz .LBB301_29
; %bb.27:
	s_clause 0x1
	s_load_b32 s2, s[0:1], 0x34
	s_load_b32 s3, s[0:1], 0x44
	v_max_f32_e32 v3, v3, v3
	s_load_b64 s[0:1], s[0:1], 0x20
	s_ashr_i32 s4, s15, 31
	s_delay_alu instid0(VALU_DEP_1) | instskip(SKIP_1) | instid1(VALU_DEP_1)
	v_max_f32_e32 v3, 0x1e3ce508, v3
	s_waitcnt lgkmcnt(0)
	v_div_scale_f32 v4, null, v3, v3, s2
	v_div_scale_f32 v7, vcc_lo, s2, v3, s2
	s_mul_i32 s1, s15, s1
	s_delay_alu instid0(VALU_DEP_2) | instskip(SKIP_4) | instid1(VALU_DEP_1)
	v_rcp_f32_e32 v5, v4
	s_mul_i32 s4, s4, s0
	s_and_b32 s3, s3, 0xffff
	s_waitcnt_depctr 0xfff
	v_fma_f32 v6, -v4, v5, 1.0
	v_fmac_f32_e32 v5, v6, v5
	s_delay_alu instid0(VALU_DEP_1) | instskip(NEXT) | instid1(VALU_DEP_1)
	v_mul_f32_e32 v6, v7, v5
	v_fma_f32 v8, -v4, v6, v7
	s_delay_alu instid0(VALU_DEP_1) | instskip(NEXT) | instid1(VALU_DEP_1)
	v_fmac_f32_e32 v6, v8, v5
	v_fma_f32 v4, -v4, v6, v7
	s_delay_alu instid0(VALU_DEP_1) | instskip(NEXT) | instid1(VALU_DEP_1)
	v_div_fmas_f32 v4, v4, v5, v6
	v_div_fixup_f32 v3, v4, v3, s2
	s_mul_hi_u32 s2, s15, s0
	s_delay_alu instid0(SALU_CYCLE_1) | instskip(SKIP_1) | instid1(VALU_DEP_1)
	s_add_i32 s1, s2, s1
	s_mul_i32 s2, s15, s0
	v_mul_f32_e32 v2, v2, v3
	s_add_i32 s1, s1, s4
	s_mov_b32 s4, 0
	.p2align	6
.LBB301_28:                             ; =>This Inner Loop Header: Depth=1
	v_ashrrev_i32_e32 v4, 31, v0
	v_add_co_u32 v3, vcc_lo, s2, v0
	v_add_nc_u32_e32 v0, s3, v0
	s_delay_alu instid0(VALU_DEP_3) | instskip(NEXT) | instid1(VALU_DEP_2)
	v_add_co_ci_u32_e32 v4, vcc_lo, s1, v4, vcc_lo
	v_cmp_le_i32_e32 vcc_lo, s13, v0
	s_delay_alu instid0(VALU_DEP_2) | instskip(SKIP_1) | instid1(VALU_DEP_1)
	v_lshlrev_b64 v[3:4], 2, v[3:4]
	s_or_b32 s4, vcc_lo, s4
	v_add_co_u32 v5, s0, s8, v3
	s_delay_alu instid0(VALU_DEP_1) | instskip(SKIP_1) | instid1(VALU_DEP_1)
	v_add_co_ci_u32_e64 v6, s0, s9, v4, s0
	v_add_co_u32 v3, s0, s10, v3
	v_add_co_ci_u32_e64 v4, s0, s11, v4, s0
	global_store_b32 v[5:6], v2, off
	global_store_b32 v[3:4], v1, off
	s_and_not1_b32 exec_lo, exec_lo, s4
	s_cbranch_execnz .LBB301_28
.LBB301_29:
	s_nop 0
	s_sendmsg sendmsg(MSG_DEALLOC_VGPRS)
	s_endpgm
	.section	.rodata,"a",@progbits
	.p2align	6, 0x0
	.amdhsa_kernel _ZN5aiter20topk_softplus_kernelI12hip_bfloat16S1_Dv4_fLb1ELi0EEEvPKT_PKT0_PfPimiiif
		.amdhsa_group_segment_fixed_size 0
		.amdhsa_private_segment_fixed_size 0
		.amdhsa_kernarg_size 312
		.amdhsa_user_sgpr_count 15
		.amdhsa_user_sgpr_dispatch_ptr 0
		.amdhsa_user_sgpr_queue_ptr 0
		.amdhsa_user_sgpr_kernarg_segment_ptr 1
		.amdhsa_user_sgpr_dispatch_id 0
		.amdhsa_user_sgpr_private_segment_size 0
		.amdhsa_wavefront_size32 1
		.amdhsa_uses_dynamic_stack 0
		.amdhsa_enable_private_segment 0
		.amdhsa_system_sgpr_workgroup_id_x 1
		.amdhsa_system_sgpr_workgroup_id_y 0
		.amdhsa_system_sgpr_workgroup_id_z 0
		.amdhsa_system_sgpr_workgroup_info 0
		.amdhsa_system_vgpr_workitem_id 0
		.amdhsa_next_free_vgpr 20
		.amdhsa_next_free_sgpr 31
		.amdhsa_reserve_vcc 1
		.amdhsa_float_round_mode_32 0
		.amdhsa_float_round_mode_16_64 0
		.amdhsa_float_denorm_mode_32 3
		.amdhsa_float_denorm_mode_16_64 3
		.amdhsa_dx10_clamp 1
		.amdhsa_ieee_mode 1
		.amdhsa_fp16_overflow 0
		.amdhsa_workgroup_processor_mode 1
		.amdhsa_memory_ordered 1
		.amdhsa_forward_progress 0
		.amdhsa_shared_vgpr_count 0
		.amdhsa_exception_fp_ieee_invalid_op 0
		.amdhsa_exception_fp_denorm_src 0
		.amdhsa_exception_fp_ieee_div_zero 0
		.amdhsa_exception_fp_ieee_overflow 0
		.amdhsa_exception_fp_ieee_underflow 0
		.amdhsa_exception_fp_ieee_inexact 0
		.amdhsa_exception_int_div_zero 0
	.end_amdhsa_kernel
	.section	.text._ZN5aiter20topk_softplus_kernelI12hip_bfloat16S1_Dv4_fLb1ELi0EEEvPKT_PKT0_PfPimiiif,"axG",@progbits,_ZN5aiter20topk_softplus_kernelI12hip_bfloat16S1_Dv4_fLb1ELi0EEEvPKT_PKT0_PfPimiiif,comdat
.Lfunc_end301:
	.size	_ZN5aiter20topk_softplus_kernelI12hip_bfloat16S1_Dv4_fLb1ELi0EEEvPKT_PKT0_PfPimiiif, .Lfunc_end301-_ZN5aiter20topk_softplus_kernelI12hip_bfloat16S1_Dv4_fLb1ELi0EEEvPKT_PKT0_PfPimiiif
                                        ; -- End function
	.section	.AMDGPU.csdata,"",@progbits
; Kernel info:
; codeLenInByte = 3052
; NumSgprs: 33
; NumVgprs: 20
; ScratchSize: 0
; MemoryBound: 0
; FloatMode: 240
; IeeeMode: 1
; LDSByteSize: 0 bytes/workgroup (compile time only)
; SGPRBlocks: 4
; VGPRBlocks: 2
; NumSGPRsForWavesPerEU: 33
; NumVGPRsForWavesPerEU: 20
; Occupancy: 16
; WaveLimiterHint : 0
; COMPUTE_PGM_RSRC2:SCRATCH_EN: 0
; COMPUTE_PGM_RSRC2:USER_SGPR: 15
; COMPUTE_PGM_RSRC2:TRAP_HANDLER: 0
; COMPUTE_PGM_RSRC2:TGID_X_EN: 1
; COMPUTE_PGM_RSRC2:TGID_Y_EN: 0
; COMPUTE_PGM_RSRC2:TGID_Z_EN: 0
; COMPUTE_PGM_RSRC2:TIDIG_COMP_CNT: 0
	.section	.text._ZN5aiter20topk_softplus_kernelI12hip_bfloat16S1_Dv4_fLb0ELi0EEEvPKT_PKT0_PfPimiiif,"axG",@progbits,_ZN5aiter20topk_softplus_kernelI12hip_bfloat16S1_Dv4_fLb0ELi0EEEvPKT_PKT0_PfPimiiif,comdat
	.protected	_ZN5aiter20topk_softplus_kernelI12hip_bfloat16S1_Dv4_fLb0ELi0EEEvPKT_PKT0_PfPimiiif ; -- Begin function _ZN5aiter20topk_softplus_kernelI12hip_bfloat16S1_Dv4_fLb0ELi0EEEvPKT_PKT0_PfPimiiif
	.globl	_ZN5aiter20topk_softplus_kernelI12hip_bfloat16S1_Dv4_fLb0ELi0EEEvPKT_PKT0_PfPimiiif
	.p2align	8
	.type	_ZN5aiter20topk_softplus_kernelI12hip_bfloat16S1_Dv4_fLb0ELi0EEEvPKT_PKT0_PfPimiiif,@function
_ZN5aiter20topk_softplus_kernelI12hip_bfloat16S1_Dv4_fLb0ELi0EEEvPKT_PKT0_PfPimiiif: ; @_ZN5aiter20topk_softplus_kernelI12hip_bfloat16S1_Dv4_fLb0ELi0EEEvPKT_PKT0_PfPimiiif
; %bb.0:
	s_clause 0x1
	s_load_b64 s[12:13], s[0:1], 0x28
	s_load_b256 s[4:11], s[0:1], 0x0
	v_lshlrev_b32_e32 v11, 2, v0
	v_lshl_add_u32 v12, v0, 4, 0
	s_waitcnt lgkmcnt(0)
	s_ashr_i32 s2, s12, 31
	s_mul_i32 s16, s15, s12
	s_lshr_b32 s2, s2, 30
	s_ashr_i32 s17, s16, 31
	s_add_i32 s2, s12, s2
	s_delay_alu instid0(SALU_CYCLE_1) | instskip(NEXT) | instid1(SALU_CYCLE_1)
	s_ashr_i32 s14, s2, 2
	v_cmp_gt_i32_e64 s2, s14, v0
	s_delay_alu instid0(VALU_DEP_1)
	s_and_saveexec_b32 s18, s2
	s_cbranch_execz .LBB302_11
; %bb.1:
	s_load_b32 s3, s[0:1], 0x44
	s_cmp_lg_u64 s[6:7], 0
	v_dual_mov_b32 v6, 0 :: v_dual_lshlrev_b32 v1, 3, v0
	s_cselect_b32 s20, -1, 0
	v_dual_mov_b32 v14, v0 :: v_dual_lshlrev_b32 v5, 2, v0
	v_lshl_add_u32 v13, v0, 4, 0
	s_mov_b32 s19, 0
	s_waitcnt lgkmcnt(0)
	s_and_b32 s21, s3, 0xffff
	s_add_u32 s22, s6, 2
	s_addc_u32 s23, s7, 0
	s_add_u32 s24, s6, 4
	s_addc_u32 s25, s7, 0
	;; [unrolled: 2-line block ×3, first 2 shown]
	s_lshl_b64 s[28:29], s[16:17], 1
	s_delay_alu instid0(SALU_CYCLE_1) | instskip(SKIP_2) | instid1(VALU_DEP_1)
	s_add_u32 s3, s4, s28
	s_addc_u32 s28, s5, s29
	v_add_co_u32 v7, s3, s3, v1
	v_add_co_ci_u32_e64 v8, null, s28, 0, s3
	s_lshl_b32 s28, s21, 3
	s_lshl_b32 s29, s21, 2
	;; [unrolled: 1-line block ×3, first 2 shown]
	s_branch .LBB302_3
.LBB302_2:                              ;   in Loop: Header=BB302_3 Depth=1
	v_add_nc_u32_e32 v14, s21, v14
	v_add_co_u32 v7, s3, v7, s28
	ds_store_b128 v13, v[1:4]
	v_add_co_ci_u32_e64 v8, s3, 0, v8, s3
	v_cmp_le_i32_e32 vcc_lo, s14, v14
	v_add_nc_u32_e32 v5, s29, v5
	v_add_nc_u32_e32 v13, s30, v13
	s_or_b32 s19, vcc_lo, s19
	s_delay_alu instid0(SALU_CYCLE_1)
	s_and_not1_b32 exec_lo, exec_lo, s19
	s_cbranch_execz .LBB302_11
.LBB302_3:                              ; =>This Inner Loop Header: Depth=1
	global_load_b64 v[3:4], v[7:8], off
	s_waitcnt vmcnt(0)
	v_and_b32_e32 v1, 0xffff, v3
	s_delay_alu instid0(VALU_DEP_1) | instskip(NEXT) | instid1(VALU_DEP_1)
	v_cvt_f32_u32_e32 v1, v1
	v_mul_f32_e32 v2, 0x3fb8aa3b, v1
	s_delay_alu instid0(VALU_DEP_1) | instskip(SKIP_2) | instid1(VALU_DEP_2)
	v_cmp_gt_f32_e32 vcc_lo, 0xc2fc0000, v2
	v_cndmask_b32_e64 v2, 0, 0x42800000, vcc_lo
	v_cndmask_b32_e64 v9, 1.0, 0x1f800000, vcc_lo
	v_fmac_f32_e32 v2, 0x3fb8aa3b, v1
	s_delay_alu instid0(VALU_DEP_1) | instskip(SKIP_2) | instid1(VALU_DEP_1)
	v_exp_f32_e32 v2, v2
	s_waitcnt_depctr 0xfff
	v_fma_f32 v2, v2, v9, 1.0
	v_cmp_gt_f32_e32 vcc_lo, 0x800000, v2
	v_cndmask_b32_e64 v9, 1.0, 0x4f800000, vcc_lo
	s_delay_alu instid0(VALU_DEP_1) | instskip(SKIP_2) | instid1(VALU_DEP_3)
	v_mul_f32_e32 v2, v2, v9
	v_cndmask_b32_e64 v9, 0, 0x42000000, vcc_lo
	v_cmp_lt_u16_e32 vcc_lo, 20, v3
	v_log_f32_e32 v2, v2
	s_waitcnt_depctr 0xfff
	v_sub_f32_e32 v2, v2, v9
	s_delay_alu instid0(VALU_DEP_1) | instskip(NEXT) | instid1(VALU_DEP_1)
	v_mul_f32_e32 v2, 0x3f317218, v2
	v_cndmask_b32_e32 v1, v2, v1, vcc_lo
	s_delay_alu instid0(VALU_DEP_1) | instskip(SKIP_1) | instid1(VALU_DEP_2)
	v_mul_f32_e32 v2, 0x4f800000, v1
	v_cmp_gt_f32_e32 vcc_lo, 0xf800000, v1
	v_cndmask_b32_e32 v1, v1, v2, vcc_lo
	s_delay_alu instid0(VALU_DEP_1) | instskip(SKIP_3) | instid1(VALU_DEP_2)
	v_sqrt_f32_e32 v2, v1
	s_waitcnt_depctr 0xfff
	v_add_nc_u32_e32 v9, -1, v2
	v_add_nc_u32_e32 v10, 1, v2
	v_fma_f32 v15, -v9, v2, v1
	s_delay_alu instid0(VALU_DEP_2) | instskip(NEXT) | instid1(VALU_DEP_2)
	v_fma_f32 v16, -v10, v2, v1
	v_cmp_ge_f32_e64 s3, 0, v15
	s_delay_alu instid0(VALU_DEP_1) | instskip(NEXT) | instid1(VALU_DEP_3)
	v_cndmask_b32_e64 v2, v2, v9, s3
	v_cmp_lt_f32_e64 s3, 0, v16
	s_delay_alu instid0(VALU_DEP_1) | instskip(NEXT) | instid1(VALU_DEP_1)
	v_cndmask_b32_e64 v2, v2, v10, s3
	v_mul_f32_e32 v9, 0x37800000, v2
	s_delay_alu instid0(VALU_DEP_1) | instskip(SKIP_2) | instid1(VALU_DEP_3)
	v_cndmask_b32_e32 v2, v2, v9, vcc_lo
	v_cmp_class_f32_e64 vcc_lo, v1, 0x260
	v_lshlrev_b64 v[9:10], 1, v[5:6]
	v_cndmask_b32_e32 v1, v2, v1, vcc_lo
	s_and_not1_b32 vcc_lo, exec_lo, s20
	s_cbranch_vccnz .LBB302_5
; %bb.4:                                ;   in Loop: Header=BB302_3 Depth=1
	s_delay_alu instid0(VALU_DEP_2) | instskip(NEXT) | instid1(VALU_DEP_3)
	v_add_co_u32 v15, vcc_lo, s6, v9
	v_add_co_ci_u32_e32 v16, vcc_lo, s7, v10, vcc_lo
	global_load_u16 v2, v[15:16], off
	s_waitcnt vmcnt(0)
	v_lshlrev_b32_e32 v2, 16, v2
	s_delay_alu instid0(VALU_DEP_1)
	v_add_f32_e32 v1, v1, v2
.LBB302_5:                              ;   in Loop: Header=BB302_3 Depth=1
	v_lshrrev_b32_e32 v2, 16, v3
	s_delay_alu instid0(VALU_DEP_1) | instskip(NEXT) | instid1(VALU_DEP_1)
	v_cvt_f32_u32_e32 v3, v2
	v_mul_f32_e32 v15, 0x3fb8aa3b, v3
	s_delay_alu instid0(VALU_DEP_1) | instskip(SKIP_2) | instid1(VALU_DEP_2)
	v_cmp_gt_f32_e32 vcc_lo, 0xc2fc0000, v15
	v_cndmask_b32_e64 v15, 0, 0x42800000, vcc_lo
	v_cndmask_b32_e64 v16, 1.0, 0x1f800000, vcc_lo
	v_fmac_f32_e32 v15, 0x3fb8aa3b, v3
	s_delay_alu instid0(VALU_DEP_1) | instskip(SKIP_2) | instid1(VALU_DEP_1)
	v_exp_f32_e32 v15, v15
	s_waitcnt_depctr 0xfff
	v_fma_f32 v15, v15, v16, 1.0
	v_cmp_gt_f32_e32 vcc_lo, 0x800000, v15
	v_cndmask_b32_e64 v16, 1.0, 0x4f800000, vcc_lo
	s_delay_alu instid0(VALU_DEP_1) | instskip(SKIP_2) | instid1(VALU_DEP_3)
	v_mul_f32_e32 v15, v15, v16
	v_cndmask_b32_e64 v16, 0, 0x42000000, vcc_lo
	v_cmp_lt_u16_e32 vcc_lo, 20, v2
	v_log_f32_e32 v15, v15
	s_waitcnt_depctr 0xfff
	v_sub_f32_e32 v15, v15, v16
	s_delay_alu instid0(VALU_DEP_1) | instskip(NEXT) | instid1(VALU_DEP_1)
	v_mul_f32_e32 v15, 0x3f317218, v15
	v_cndmask_b32_e32 v2, v15, v3, vcc_lo
	s_delay_alu instid0(VALU_DEP_1) | instskip(SKIP_1) | instid1(VALU_DEP_2)
	v_mul_f32_e32 v3, 0x4f800000, v2
	v_cmp_gt_f32_e32 vcc_lo, 0xf800000, v2
	v_cndmask_b32_e32 v2, v2, v3, vcc_lo
	s_delay_alu instid0(VALU_DEP_1) | instskip(SKIP_3) | instid1(VALU_DEP_2)
	v_sqrt_f32_e32 v3, v2
	s_waitcnt_depctr 0xfff
	v_add_nc_u32_e32 v16, 1, v3
	v_add_nc_u32_e32 v15, -1, v3
	v_fma_f32 v18, -v16, v3, v2
	s_delay_alu instid0(VALU_DEP_2) | instskip(NEXT) | instid1(VALU_DEP_1)
	v_fma_f32 v17, -v15, v3, v2
	v_cmp_ge_f32_e64 s3, 0, v17
	s_delay_alu instid0(VALU_DEP_1) | instskip(NEXT) | instid1(VALU_DEP_4)
	v_cndmask_b32_e64 v3, v3, v15, s3
	v_cmp_lt_f32_e64 s3, 0, v18
	s_delay_alu instid0(VALU_DEP_1) | instskip(NEXT) | instid1(VALU_DEP_1)
	v_cndmask_b32_e64 v3, v3, v16, s3
	v_mul_f32_e32 v15, 0x37800000, v3
	s_delay_alu instid0(VALU_DEP_1) | instskip(SKIP_1) | instid1(VALU_DEP_2)
	v_cndmask_b32_e32 v3, v3, v15, vcc_lo
	v_cmp_class_f32_e64 vcc_lo, v2, 0x260
	v_cndmask_b32_e32 v2, v3, v2, vcc_lo
	s_and_not1_b32 vcc_lo, exec_lo, s20
	s_cbranch_vccnz .LBB302_7
; %bb.6:                                ;   in Loop: Header=BB302_3 Depth=1
	v_add_co_u32 v15, vcc_lo, s22, v9
	v_add_co_ci_u32_e32 v16, vcc_lo, s23, v10, vcc_lo
	global_load_u16 v3, v[15:16], off
	s_waitcnt vmcnt(0)
	v_lshlrev_b32_e32 v3, 16, v3
	s_delay_alu instid0(VALU_DEP_1)
	v_add_f32_e32 v2, v2, v3
.LBB302_7:                              ;   in Loop: Header=BB302_3 Depth=1
	v_and_b32_e32 v3, 0xffff, v4
	s_delay_alu instid0(VALU_DEP_1) | instskip(NEXT) | instid1(VALU_DEP_1)
	v_cvt_f32_u32_e32 v3, v3
	v_mul_f32_e32 v15, 0x3fb8aa3b, v3
	s_delay_alu instid0(VALU_DEP_1) | instskip(SKIP_2) | instid1(VALU_DEP_2)
	v_cmp_gt_f32_e32 vcc_lo, 0xc2fc0000, v15
	v_cndmask_b32_e64 v15, 0, 0x42800000, vcc_lo
	v_cndmask_b32_e64 v16, 1.0, 0x1f800000, vcc_lo
	v_fmac_f32_e32 v15, 0x3fb8aa3b, v3
	s_delay_alu instid0(VALU_DEP_1) | instskip(SKIP_2) | instid1(VALU_DEP_1)
	v_exp_f32_e32 v15, v15
	s_waitcnt_depctr 0xfff
	v_fma_f32 v15, v15, v16, 1.0
	v_cmp_gt_f32_e32 vcc_lo, 0x800000, v15
	v_cndmask_b32_e64 v16, 1.0, 0x4f800000, vcc_lo
	s_delay_alu instid0(VALU_DEP_1) | instskip(SKIP_2) | instid1(VALU_DEP_3)
	v_mul_f32_e32 v15, v15, v16
	v_cndmask_b32_e64 v16, 0, 0x42000000, vcc_lo
	v_cmp_lt_u16_e32 vcc_lo, 20, v4
	v_log_f32_e32 v15, v15
	s_waitcnt_depctr 0xfff
	v_sub_f32_e32 v15, v15, v16
	s_delay_alu instid0(VALU_DEP_1) | instskip(NEXT) | instid1(VALU_DEP_1)
	v_mul_f32_e32 v15, 0x3f317218, v15
	v_cndmask_b32_e32 v3, v15, v3, vcc_lo
	s_delay_alu instid0(VALU_DEP_1) | instskip(SKIP_1) | instid1(VALU_DEP_2)
	v_mul_f32_e32 v15, 0x4f800000, v3
	v_cmp_gt_f32_e32 vcc_lo, 0xf800000, v3
	v_cndmask_b32_e32 v3, v3, v15, vcc_lo
	s_delay_alu instid0(VALU_DEP_1) | instskip(SKIP_3) | instid1(VALU_DEP_2)
	v_sqrt_f32_e32 v15, v3
	s_waitcnt_depctr 0xfff
	v_add_nc_u32_e32 v16, -1, v15
	v_add_nc_u32_e32 v17, 1, v15
	v_fma_f32 v18, -v16, v15, v3
	s_delay_alu instid0(VALU_DEP_2) | instskip(NEXT) | instid1(VALU_DEP_2)
	v_fma_f32 v19, -v17, v15, v3
	v_cmp_ge_f32_e64 s3, 0, v18
	s_delay_alu instid0(VALU_DEP_1) | instskip(NEXT) | instid1(VALU_DEP_3)
	v_cndmask_b32_e64 v15, v15, v16, s3
	v_cmp_lt_f32_e64 s3, 0, v19
	s_delay_alu instid0(VALU_DEP_1) | instskip(NEXT) | instid1(VALU_DEP_1)
	v_cndmask_b32_e64 v15, v15, v17, s3
	v_mul_f32_e32 v16, 0x37800000, v15
	s_delay_alu instid0(VALU_DEP_1) | instskip(SKIP_1) | instid1(VALU_DEP_2)
	v_cndmask_b32_e32 v15, v15, v16, vcc_lo
	v_cmp_class_f32_e64 vcc_lo, v3, 0x260
	v_cndmask_b32_e32 v3, v15, v3, vcc_lo
	s_and_not1_b32 vcc_lo, exec_lo, s20
	s_cbranch_vccnz .LBB302_9
; %bb.8:                                ;   in Loop: Header=BB302_3 Depth=1
	v_add_co_u32 v15, vcc_lo, s24, v9
	v_add_co_ci_u32_e32 v16, vcc_lo, s25, v10, vcc_lo
	global_load_u16 v15, v[15:16], off
	s_waitcnt vmcnt(0)
	v_lshlrev_b32_e32 v15, 16, v15
	s_delay_alu instid0(VALU_DEP_1)
	v_add_f32_e32 v3, v3, v15
.LBB302_9:                              ;   in Loop: Header=BB302_3 Depth=1
	v_lshrrev_b32_e32 v4, 16, v4
	s_delay_alu instid0(VALU_DEP_1) | instskip(NEXT) | instid1(VALU_DEP_1)
	v_cvt_f32_u32_e32 v15, v4
	v_mul_f32_e32 v16, 0x3fb8aa3b, v15
	s_delay_alu instid0(VALU_DEP_1) | instskip(SKIP_2) | instid1(VALU_DEP_2)
	v_cmp_gt_f32_e32 vcc_lo, 0xc2fc0000, v16
	v_cndmask_b32_e64 v16, 0, 0x42800000, vcc_lo
	v_cndmask_b32_e64 v17, 1.0, 0x1f800000, vcc_lo
	v_fmac_f32_e32 v16, 0x3fb8aa3b, v15
	s_delay_alu instid0(VALU_DEP_1) | instskip(SKIP_2) | instid1(VALU_DEP_1)
	v_exp_f32_e32 v16, v16
	s_waitcnt_depctr 0xfff
	v_fma_f32 v16, v16, v17, 1.0
	v_cmp_gt_f32_e32 vcc_lo, 0x800000, v16
	v_cndmask_b32_e64 v17, 1.0, 0x4f800000, vcc_lo
	s_delay_alu instid0(VALU_DEP_1) | instskip(SKIP_2) | instid1(VALU_DEP_3)
	v_mul_f32_e32 v16, v16, v17
	v_cndmask_b32_e64 v17, 0, 0x42000000, vcc_lo
	v_cmp_lt_u16_e32 vcc_lo, 20, v4
	v_log_f32_e32 v16, v16
	s_waitcnt_depctr 0xfff
	v_sub_f32_e32 v16, v16, v17
	s_delay_alu instid0(VALU_DEP_1) | instskip(NEXT) | instid1(VALU_DEP_1)
	v_mul_f32_e32 v16, 0x3f317218, v16
	v_cndmask_b32_e32 v4, v16, v15, vcc_lo
	s_delay_alu instid0(VALU_DEP_1) | instskip(SKIP_1) | instid1(VALU_DEP_2)
	v_mul_f32_e32 v15, 0x4f800000, v4
	v_cmp_gt_f32_e32 vcc_lo, 0xf800000, v4
	v_cndmask_b32_e32 v4, v4, v15, vcc_lo
	s_delay_alu instid0(VALU_DEP_1) | instskip(SKIP_3) | instid1(VALU_DEP_2)
	v_sqrt_f32_e32 v15, v4
	s_waitcnt_depctr 0xfff
	v_add_nc_u32_e32 v16, -1, v15
	v_add_nc_u32_e32 v17, 1, v15
	v_fma_f32 v18, -v16, v15, v4
	s_delay_alu instid0(VALU_DEP_2) | instskip(NEXT) | instid1(VALU_DEP_2)
	v_fma_f32 v19, -v17, v15, v4
	v_cmp_ge_f32_e64 s3, 0, v18
	s_delay_alu instid0(VALU_DEP_1) | instskip(NEXT) | instid1(VALU_DEP_3)
	v_cndmask_b32_e64 v15, v15, v16, s3
	v_cmp_lt_f32_e64 s3, 0, v19
	s_delay_alu instid0(VALU_DEP_1) | instskip(NEXT) | instid1(VALU_DEP_1)
	v_cndmask_b32_e64 v15, v15, v17, s3
	v_mul_f32_e32 v16, 0x37800000, v15
	s_delay_alu instid0(VALU_DEP_1) | instskip(SKIP_1) | instid1(VALU_DEP_2)
	v_cndmask_b32_e32 v15, v15, v16, vcc_lo
	v_cmp_class_f32_e64 vcc_lo, v4, 0x260
	v_cndmask_b32_e32 v4, v15, v4, vcc_lo
	s_and_not1_b32 vcc_lo, exec_lo, s20
	s_cbranch_vccnz .LBB302_2
; %bb.10:                               ;   in Loop: Header=BB302_3 Depth=1
	v_add_co_u32 v9, vcc_lo, s26, v9
	v_add_co_ci_u32_e32 v10, vcc_lo, s27, v10, vcc_lo
	global_load_u16 v9, v[9:10], off
	s_waitcnt vmcnt(0)
	v_lshlrev_b32_e32 v9, 16, v9
	s_delay_alu instid0(VALU_DEP_1)
	v_add_f32_e32 v4, v4, v9
	s_branch .LBB302_2
.LBB302_11:
	s_or_b32 exec_lo, exec_lo, s18
	v_lshl_add_u32 v1, s14, 2, v0
	s_mov_b32 s18, exec_lo
	s_delay_alu instid0(VALU_DEP_1)
	v_cmpx_gt_i32_e64 s12, v1
	s_cbranch_execz .LBB302_16
; %bb.12:
	s_load_b32 s3, s[0:1], 0x44
	s_lshl_b64 s[16:17], s[16:17], 1
	v_lshlrev_b32_e32 v2, 2, v0
	s_add_u32 s4, s4, s16
	s_addc_u32 s5, s5, s17
	s_cmp_lg_u64 s[6:7], 0
	s_mov_b32 s19, 0
	s_cselect_b32 s16, -1, 0
	s_lshl_b32 s17, s14, 4
	s_delay_alu instid0(SALU_CYCLE_1) | instskip(SKIP_2) | instid1(SALU_CYCLE_1)
	v_add3_u32 v4, 0, s17, v2
	s_waitcnt lgkmcnt(0)
	s_and_b32 s17, s3, 0xffff
	s_lshl_b32 s20, s17, 2
	s_branch .LBB302_14
.LBB302_13:                             ;   in Loop: Header=BB302_14 Depth=1
	v_add_nc_u32_e32 v1, s17, v1
	v_add_nc_u32_e32 v4, s20, v4
	s_delay_alu instid0(VALU_DEP_2) | instskip(SKIP_1) | instid1(SALU_CYCLE_1)
	v_cmp_le_i32_e32 vcc_lo, s12, v1
	s_or_b32 s19, vcc_lo, s19
	s_and_not1_b32 exec_lo, exec_lo, s19
	s_cbranch_execz .LBB302_16
.LBB302_14:                             ; =>This Inner Loop Header: Depth=1
	v_ashrrev_i32_e32 v2, 31, v1
	s_delay_alu instid0(VALU_DEP_1) | instskip(NEXT) | instid1(VALU_DEP_1)
	v_lshlrev_b64 v[2:3], 1, v[1:2]
	v_add_co_u32 v5, vcc_lo, s4, v2
	s_delay_alu instid0(VALU_DEP_2) | instskip(SKIP_3) | instid1(VALU_DEP_1)
	v_add_co_ci_u32_e32 v6, vcc_lo, s5, v3, vcc_lo
	global_load_u16 v5, v[5:6], off
	s_waitcnt vmcnt(0)
	v_lshlrev_b32_e32 v5, 16, v5
	v_mul_f32_e32 v6, 0x3fb8aa3b, v5
	s_delay_alu instid0(VALU_DEP_1) | instskip(SKIP_2) | instid1(VALU_DEP_2)
	v_cmp_gt_f32_e32 vcc_lo, 0xc2fc0000, v6
	v_cndmask_b32_e64 v6, 0, 0x42800000, vcc_lo
	v_cndmask_b32_e64 v7, 1.0, 0x1f800000, vcc_lo
	v_fmac_f32_e32 v6, 0x3fb8aa3b, v5
	s_delay_alu instid0(VALU_DEP_1) | instskip(SKIP_2) | instid1(VALU_DEP_1)
	v_exp_f32_e32 v6, v6
	s_waitcnt_depctr 0xfff
	v_fma_f32 v6, v6, v7, 1.0
	v_cmp_gt_f32_e32 vcc_lo, 0x800000, v6
	v_cndmask_b32_e64 v7, 1.0, 0x4f800000, vcc_lo
	s_delay_alu instid0(VALU_DEP_1) | instskip(SKIP_2) | instid1(VALU_DEP_3)
	v_mul_f32_e32 v6, v6, v7
	v_cndmask_b32_e64 v7, 0, 0x42000000, vcc_lo
	v_cmp_lt_f32_e32 vcc_lo, 0x41a00000, v5
	v_log_f32_e32 v6, v6
	s_waitcnt_depctr 0xfff
	v_sub_f32_e32 v6, v6, v7
	s_delay_alu instid0(VALU_DEP_1) | instskip(NEXT) | instid1(VALU_DEP_1)
	v_mul_f32_e32 v6, 0x3f317218, v6
	v_cndmask_b32_e32 v5, v6, v5, vcc_lo
	s_delay_alu instid0(VALU_DEP_1) | instskip(SKIP_1) | instid1(VALU_DEP_2)
	v_mul_f32_e32 v6, 0x4f800000, v5
	v_cmp_gt_f32_e32 vcc_lo, 0xf800000, v5
	v_cndmask_b32_e32 v5, v5, v6, vcc_lo
	s_delay_alu instid0(VALU_DEP_1) | instskip(SKIP_3) | instid1(VALU_DEP_2)
	v_sqrt_f32_e32 v6, v5
	s_waitcnt_depctr 0xfff
	v_add_nc_u32_e32 v7, -1, v6
	v_add_nc_u32_e32 v8, 1, v6
	v_fma_f32 v9, -v7, v6, v5
	s_delay_alu instid0(VALU_DEP_2) | instskip(NEXT) | instid1(VALU_DEP_2)
	v_fma_f32 v10, -v8, v6, v5
	v_cmp_ge_f32_e64 s3, 0, v9
	s_delay_alu instid0(VALU_DEP_1) | instskip(NEXT) | instid1(VALU_DEP_3)
	v_cndmask_b32_e64 v6, v6, v7, s3
	v_cmp_lt_f32_e64 s3, 0, v10
	s_delay_alu instid0(VALU_DEP_1) | instskip(NEXT) | instid1(VALU_DEP_1)
	v_cndmask_b32_e64 v6, v6, v8, s3
	v_mul_f32_e32 v7, 0x37800000, v6
	s_delay_alu instid0(VALU_DEP_1) | instskip(SKIP_1) | instid1(VALU_DEP_2)
	v_cndmask_b32_e32 v6, v6, v7, vcc_lo
	v_cmp_class_f32_e64 vcc_lo, v5, 0x260
	v_cndmask_b32_e32 v5, v6, v5, vcc_lo
	s_and_not1_b32 vcc_lo, exec_lo, s16
	ds_store_b32 v4, v5
	s_cbranch_vccnz .LBB302_13
; %bb.15:                               ;   in Loop: Header=BB302_14 Depth=1
	v_add_co_u32 v2, vcc_lo, s6, v2
	v_add_co_ci_u32_e32 v3, vcc_lo, s7, v3, vcc_lo
	global_load_u16 v2, v[2:3], off
	s_waitcnt vmcnt(0)
	v_lshlrev_b32_e32 v2, 16, v2
	s_delay_alu instid0(VALU_DEP_1)
	v_add_f32_e32 v2, v5, v2
	ds_store_b32 v4, v2
	s_branch .LBB302_13
.LBB302_16:
	s_or_b32 exec_lo, exec_lo, s18
	s_cmp_lt_i32 s13, 1
	s_waitcnt lgkmcnt(0)
	s_barrier
	buffer_gl0_inv
	s_cbranch_scc1 .LBB302_25
; %bb.17:
	s_add_u32 s4, s0, 56
	s_addc_u32 s5, s1, 0
	v_dual_mov_b32 v3, 0 :: v_dual_mov_b32 v4, 0xff800000
	v_dual_mov_b32 v1, 0 :: v_dual_mov_b32 v2, 0
	s_cmp_lg_u64 s[6:7], 0
	s_mov_b32 s18, 0
	s_cselect_b32 s12, -1, 0
	s_mov_b32 s19, 0x76543210
	s_branch .LBB302_19
.LBB302_18:                             ;   in Loop: Header=BB302_19 Depth=1
	v_cmp_eq_u32_e32 vcc_lo, s18, v0
	s_delay_alu instid0(VALU_DEP_2)
	s_lshl_b32 s3, s16, 2
	s_add_i32 s18, s18, 1
	s_add_i32 s3, s3, 0
	s_cmp_eq_u32 s18, s13
	v_cndmask_b32_e64 v1, v1, s16, vcc_lo
	v_dual_mov_b32 v5, s3 :: v_dual_cndmask_b32 v2, v2, v7
	ds_store_b32 v5, v4
	s_cbranch_scc1 .LBB302_26
.LBB302_19:                             ; =>This Loop Header: Depth=1
                                        ;     Child Loop BB302_21 Depth 2
	v_dual_mov_b32 v5, s18 :: v_dual_mov_b32 v6, 0xff800000
	s_and_saveexec_b32 s16, s2
	s_cbranch_execz .LBB302_23
; %bb.20:                               ;   in Loop: Header=BB302_19 Depth=1
	s_load_b32 s3, s[4:5], 0xc
	v_dual_mov_b32 v5, s18 :: v_dual_mov_b32 v6, 0xff800000
	v_dual_mov_b32 v7, v12 :: v_dual_mov_b32 v8, v11
	v_mov_b32_e32 v9, v0
	s_mov_b32 s21, 0
	s_waitcnt lgkmcnt(0)
	s_and_b32 s17, s3, 0xffff
	s_delay_alu instid0(SALU_CYCLE_1)
	s_lshl_b32 s20, s17, 2
	s_lshl_b32 s22, s17, 4
	.p2align	6
.LBB302_21:                             ;   Parent Loop BB302_19 Depth=1
                                        ; =>  This Inner Loop Header: Depth=2
	ds_load_b128 v[13:16], v7
	v_add_nc_u32_e32 v7, s22, v7
	s_waitcnt lgkmcnt(0)
	v_cmp_gt_f32_e32 vcc_lo, v13, v6
	v_dual_cndmask_b32 v6, v6, v13 :: v_dual_cndmask_b32 v5, v5, v8
	v_add_nc_u32_e32 v13, 2, v8
	v_add_nc_u32_e32 v10, 1, v8
	s_delay_alu instid0(VALU_DEP_3) | instskip(SKIP_1) | instid1(VALU_DEP_3)
	v_cmp_gt_f32_e32 vcc_lo, v14, v6
	v_cndmask_b32_e32 v6, v6, v14, vcc_lo
	v_dual_cndmask_b32 v5, v5, v10 :: v_dual_add_nc_u32 v10, 3, v8
	s_delay_alu instid0(VALU_DEP_2) | instskip(NEXT) | instid1(VALU_DEP_2)
	v_cmp_gt_f32_e32 vcc_lo, v15, v6
	v_dual_cndmask_b32 v6, v6, v15 :: v_dual_cndmask_b32 v5, v5, v13
	s_delay_alu instid0(VALU_DEP_1) | instskip(SKIP_1) | instid1(VALU_DEP_3)
	v_cmp_gt_f32_e32 vcc_lo, v16, v6
	v_add_nc_u32_e32 v9, s17, v9
	v_dual_cndmask_b32 v5, v5, v10 :: v_dual_add_nc_u32 v8, s20, v8
	v_cndmask_b32_e32 v6, v6, v16, vcc_lo
	s_delay_alu instid0(VALU_DEP_3) | instskip(NEXT) | instid1(VALU_DEP_1)
	v_cmp_le_i32_e64 s3, s14, v9
	s_or_b32 s21, s3, s21
	s_delay_alu instid0(SALU_CYCLE_1)
	s_and_not1_b32 exec_lo, exec_lo, s21
	s_cbranch_execnz .LBB302_21
; %bb.22:                               ;   in Loop: Header=BB302_19 Depth=1
	s_or_b32 exec_lo, exec_lo, s21
.LBB302_23:                             ;   in Loop: Header=BB302_19 Depth=1
	s_delay_alu instid0(SALU_CYCLE_1)
	s_or_b32 exec_lo, exec_lo, s16
	;;#ASMSTART
	v_max_f32 v7, v6, v6 quad_perm:[1,0,3,2] row_mask:0xf bank_mask:0xf bound_ctrl:1
	;;#ASMEND
	;;#ASMSTART
	v_max_f32 v8, v7, v7 quad_perm:[2,3,0,1] row_mask:0xf bank_mask:0xf bound_ctrl:1
	;;#ASMEND
	;;#ASMSTART
	v_max_f32 v7, v8, v8 row_half_mirror row_mask:0xf bank_mask:0xf bound_ctrl:1
	;;#ASMEND
	;;#ASMSTART
	v_max_f32 v8, v7, v7 row_mirror row_mask:0xf bank_mask:0xf bound_ctrl:1
	;;#ASMEND
	v_permlanex16_b32 v7, v8, s19, 0xfedcba98 op_sel:[1,1]
	s_delay_alu instid0(VALU_DEP_1) | instskip(NEXT) | instid1(VALU_DEP_1)
	v_dual_max_f32 v8, v8, v8 :: v_dual_max_f32 v7, v7, v7
	v_max_f32_e32 v7, v8, v7
	s_delay_alu instid0(VALU_DEP_1)
	v_cmp_eq_f32_e32 vcc_lo, v6, v7
	s_ctz_i32_b32 s3, vcc_lo
	s_cmp_lg_u32 vcc_lo, 0
	s_cselect_b32 s3, s3, 0
	s_and_b32 vcc_lo, exec_lo, s12
	v_readlane_b32 s16, v5, s3
	s_cbranch_vccz .LBB302_18
; %bb.24:                               ;   in Loop: Header=BB302_19 Depth=1
	s_delay_alu instid0(VALU_DEP_1) | instskip(NEXT) | instid1(SALU_CYCLE_1)
	s_ashr_i32 s17, s16, 31
	s_lshl_b64 s[20:21], s[16:17], 1
	s_delay_alu instid0(SALU_CYCLE_1) | instskip(SKIP_4) | instid1(VALU_DEP_1)
	s_add_u32 s20, s6, s20
	s_addc_u32 s21, s7, s21
	global_load_u16 v5, v3, s[20:21]
	s_waitcnt vmcnt(0)
	v_lshlrev_b32_e32 v5, 16, v5
	v_sub_f32_e32 v7, v7, v5
	s_branch .LBB302_18
.LBB302_25:
	v_dual_mov_b32 v2, 0 :: v_dual_mov_b32 v1, 0
.LBB302_26:
	s_mov_b32 s2, exec_lo
	v_cmpx_gt_i32_e64 s13, v0
	s_cbranch_execz .LBB302_29
; %bb.27:
	s_clause 0x2
	s_load_b32 s4, s[0:1], 0x34
	s_load_b64 s[2:3], s[0:1], 0x20
	s_load_b32 s0, s[0:1], 0x44
	s_ashr_i32 s1, s15, 31
	s_waitcnt lgkmcnt(0)
	v_mul_f32_e32 v2, s4, v2
	s_mul_i32 s3, s15, s3
	s_mul_hi_u32 s4, s15, s2
	s_mul_i32 s5, s1, s2
	s_add_i32 s3, s4, s3
	s_mul_i32 s1, s15, s2
	s_and_b32 s2, s0, 0xffff
	s_add_i32 s3, s3, s5
	s_mov_b32 s4, 0
	.p2align	6
.LBB302_28:                             ; =>This Inner Loop Header: Depth=1
	v_ashrrev_i32_e32 v4, 31, v0
	v_add_co_u32 v3, vcc_lo, s1, v0
	v_add_nc_u32_e32 v0, s2, v0
	s_delay_alu instid0(VALU_DEP_3) | instskip(NEXT) | instid1(VALU_DEP_2)
	v_add_co_ci_u32_e32 v4, vcc_lo, s3, v4, vcc_lo
	v_cmp_le_i32_e32 vcc_lo, s13, v0
	s_delay_alu instid0(VALU_DEP_2) | instskip(SKIP_1) | instid1(VALU_DEP_1)
	v_lshlrev_b64 v[3:4], 2, v[3:4]
	s_or_b32 s4, vcc_lo, s4
	v_add_co_u32 v5, s0, s8, v3
	s_delay_alu instid0(VALU_DEP_1) | instskip(SKIP_1) | instid1(VALU_DEP_1)
	v_add_co_ci_u32_e64 v6, s0, s9, v4, s0
	v_add_co_u32 v3, s0, s10, v3
	v_add_co_ci_u32_e64 v4, s0, s11, v4, s0
	global_store_b32 v[5:6], v2, off
	global_store_b32 v[3:4], v1, off
	s_and_not1_b32 exec_lo, exec_lo, s4
	s_cbranch_execnz .LBB302_28
.LBB302_29:
	s_nop 0
	s_sendmsg sendmsg(MSG_DEALLOC_VGPRS)
	s_endpgm
	.section	.rodata,"a",@progbits
	.p2align	6, 0x0
	.amdhsa_kernel _ZN5aiter20topk_softplus_kernelI12hip_bfloat16S1_Dv4_fLb0ELi0EEEvPKT_PKT0_PfPimiiif
		.amdhsa_group_segment_fixed_size 0
		.amdhsa_private_segment_fixed_size 0
		.amdhsa_kernarg_size 312
		.amdhsa_user_sgpr_count 15
		.amdhsa_user_sgpr_dispatch_ptr 0
		.amdhsa_user_sgpr_queue_ptr 0
		.amdhsa_user_sgpr_kernarg_segment_ptr 1
		.amdhsa_user_sgpr_dispatch_id 0
		.amdhsa_user_sgpr_private_segment_size 0
		.amdhsa_wavefront_size32 1
		.amdhsa_uses_dynamic_stack 0
		.amdhsa_enable_private_segment 0
		.amdhsa_system_sgpr_workgroup_id_x 1
		.amdhsa_system_sgpr_workgroup_id_y 0
		.amdhsa_system_sgpr_workgroup_id_z 0
		.amdhsa_system_sgpr_workgroup_info 0
		.amdhsa_system_vgpr_workitem_id 0
		.amdhsa_next_free_vgpr 20
		.amdhsa_next_free_sgpr 31
		.amdhsa_reserve_vcc 1
		.amdhsa_float_round_mode_32 0
		.amdhsa_float_round_mode_16_64 0
		.amdhsa_float_denorm_mode_32 3
		.amdhsa_float_denorm_mode_16_64 3
		.amdhsa_dx10_clamp 1
		.amdhsa_ieee_mode 1
		.amdhsa_fp16_overflow 0
		.amdhsa_workgroup_processor_mode 1
		.amdhsa_memory_ordered 1
		.amdhsa_forward_progress 0
		.amdhsa_shared_vgpr_count 0
		.amdhsa_exception_fp_ieee_invalid_op 0
		.amdhsa_exception_fp_denorm_src 0
		.amdhsa_exception_fp_ieee_div_zero 0
		.amdhsa_exception_fp_ieee_overflow 0
		.amdhsa_exception_fp_ieee_underflow 0
		.amdhsa_exception_fp_ieee_inexact 0
		.amdhsa_exception_int_div_zero 0
	.end_amdhsa_kernel
	.section	.text._ZN5aiter20topk_softplus_kernelI12hip_bfloat16S1_Dv4_fLb0ELi0EEEvPKT_PKT0_PfPimiiif,"axG",@progbits,_ZN5aiter20topk_softplus_kernelI12hip_bfloat16S1_Dv4_fLb0ELi0EEEvPKT_PKT0_PfPimiiif,comdat
.Lfunc_end302:
	.size	_ZN5aiter20topk_softplus_kernelI12hip_bfloat16S1_Dv4_fLb0ELi0EEEvPKT_PKT0_PfPimiiif, .Lfunc_end302-_ZN5aiter20topk_softplus_kernelI12hip_bfloat16S1_Dv4_fLb0ELi0EEEvPKT_PKT0_PfPimiiif
                                        ; -- End function
	.section	.AMDGPU.csdata,"",@progbits
; Kernel info:
; codeLenInByte = 2932
; NumSgprs: 33
; NumVgprs: 20
; ScratchSize: 0
; MemoryBound: 0
; FloatMode: 240
; IeeeMode: 1
; LDSByteSize: 0 bytes/workgroup (compile time only)
; SGPRBlocks: 4
; VGPRBlocks: 2
; NumSGPRsForWavesPerEU: 33
; NumVGPRsForWavesPerEU: 20
; Occupancy: 16
; WaveLimiterHint : 0
; COMPUTE_PGM_RSRC2:SCRATCH_EN: 0
; COMPUTE_PGM_RSRC2:USER_SGPR: 15
; COMPUTE_PGM_RSRC2:TRAP_HANDLER: 0
; COMPUTE_PGM_RSRC2:TGID_X_EN: 1
; COMPUTE_PGM_RSRC2:TGID_Y_EN: 0
; COMPUTE_PGM_RSRC2:TGID_Z_EN: 0
; COMPUTE_PGM_RSRC2:TIDIG_COMP_CNT: 0
	.section	.text._ZN5aiter20topk_softplus_kernelI12hip_bfloat16S1_Dv2_fLb1ELi0EEEvPKT_PKT0_PfPimiiif,"axG",@progbits,_ZN5aiter20topk_softplus_kernelI12hip_bfloat16S1_Dv2_fLb1ELi0EEEvPKT_PKT0_PfPimiiif,comdat
	.protected	_ZN5aiter20topk_softplus_kernelI12hip_bfloat16S1_Dv2_fLb1ELi0EEEvPKT_PKT0_PfPimiiif ; -- Begin function _ZN5aiter20topk_softplus_kernelI12hip_bfloat16S1_Dv2_fLb1ELi0EEEvPKT_PKT0_PfPimiiif
	.globl	_ZN5aiter20topk_softplus_kernelI12hip_bfloat16S1_Dv2_fLb1ELi0EEEvPKT_PKT0_PfPimiiif
	.p2align	8
	.type	_ZN5aiter20topk_softplus_kernelI12hip_bfloat16S1_Dv2_fLb1ELi0EEEvPKT_PKT0_PfPimiiif,@function
_ZN5aiter20topk_softplus_kernelI12hip_bfloat16S1_Dv2_fLb1ELi0EEEvPKT_PKT0_PfPimiiif: ; @_ZN5aiter20topk_softplus_kernelI12hip_bfloat16S1_Dv2_fLb1ELi0EEEvPKT_PKT0_PfPimiiif
; %bb.0:
	s_clause 0x1
	s_load_b64 s[12:13], s[0:1], 0x28
	s_load_b256 s[4:11], s[0:1], 0x0
	v_lshl_add_u32 v4, v0, 3, 0
	s_waitcnt lgkmcnt(0)
	s_lshr_b32 s3, s12, 31
	s_mul_i32 s2, s15, s12
	s_add_i32 s14, s12, s3
	s_ashr_i32 s3, s2, 31
	s_ashr_i32 s14, s14, 1
	s_lshl_b64 s[16:17], s[2:3], 1
	v_cmp_gt_i32_e64 s2, s14, v0
	s_add_u32 s4, s4, s16
	s_addc_u32 s5, s5, s17
	s_delay_alu instid0(VALU_DEP_1)
	s_and_saveexec_b32 s16, s2
	s_cbranch_execz .LBB303_7
; %bb.1:
	s_load_b32 s3, s[0:1], 0x44
	s_cmp_lg_u64 s[6:7], 0
	v_lshlrev_b32_e32 v3, 2, v0
	v_mov_b32_e32 v5, 0
	v_lshl_add_u32 v6, v0, 3, 0
	v_mov_b32_e32 v7, v0
	s_cselect_b32 s17, -1, 0
	s_mov_b32 s19, 0
	s_waitcnt lgkmcnt(0)
	s_and_b32 s18, s3, 0xffff
	s_delay_alu instid0(SALU_CYCLE_1)
	s_lshl_b32 s20, s18, 2
	s_lshl_b32 s21, s18, 3
	s_branch .LBB303_3
.LBB303_2:                              ;   in Loop: Header=BB303_3 Depth=1
	v_add_nc_u32_e32 v7, s18, v7
	v_add_co_u32 v3, s3, v3, s20
	ds_store_b64 v6, v[1:2]
	v_add_co_ci_u32_e64 v5, s3, 0, v5, s3
	v_cmp_le_i32_e32 vcc_lo, s14, v7
	v_add_nc_u32_e32 v6, s21, v6
	s_or_b32 s19, vcc_lo, s19
	s_delay_alu instid0(SALU_CYCLE_1)
	s_and_not1_b32 exec_lo, exec_lo, s19
	s_cbranch_execz .LBB303_7
.LBB303_3:                              ; =>This Inner Loop Header: Depth=1
	v_add_co_u32 v1, vcc_lo, s4, v3
	v_add_co_ci_u32_e32 v2, vcc_lo, s5, v5, vcc_lo
	global_load_b32 v2, v[1:2], off
	s_waitcnt vmcnt(0)
	v_and_b32_e32 v1, 0xffff, v2
	s_delay_alu instid0(VALU_DEP_1) | instskip(NEXT) | instid1(VALU_DEP_1)
	v_cvt_f32_u32_e32 v1, v1
	v_mul_f32_e32 v8, 0x3fb8aa3b, v1
	s_delay_alu instid0(VALU_DEP_1) | instskip(SKIP_2) | instid1(VALU_DEP_2)
	v_cmp_gt_f32_e32 vcc_lo, 0xc2fc0000, v8
	v_cndmask_b32_e64 v8, 0, 0x42800000, vcc_lo
	v_cndmask_b32_e64 v9, 1.0, 0x1f800000, vcc_lo
	v_fmac_f32_e32 v8, 0x3fb8aa3b, v1
	s_delay_alu instid0(VALU_DEP_1) | instskip(SKIP_2) | instid1(VALU_DEP_1)
	v_exp_f32_e32 v8, v8
	s_waitcnt_depctr 0xfff
	v_fma_f32 v8, v8, v9, 1.0
	v_cmp_gt_f32_e32 vcc_lo, 0x800000, v8
	v_cndmask_b32_e64 v9, 1.0, 0x4f800000, vcc_lo
	s_delay_alu instid0(VALU_DEP_1) | instskip(SKIP_2) | instid1(VALU_DEP_3)
	v_mul_f32_e32 v8, v8, v9
	v_cndmask_b32_e64 v9, 0, 0x42000000, vcc_lo
	v_cmp_lt_u16_e32 vcc_lo, 20, v2
	v_log_f32_e32 v8, v8
	s_waitcnt_depctr 0xfff
	v_sub_f32_e32 v8, v8, v9
	s_delay_alu instid0(VALU_DEP_1) | instskip(NEXT) | instid1(VALU_DEP_1)
	v_mul_f32_e32 v8, 0x3f317218, v8
	v_cndmask_b32_e32 v1, v8, v1, vcc_lo
	s_delay_alu instid0(VALU_DEP_1) | instskip(SKIP_1) | instid1(VALU_DEP_2)
	v_mul_f32_e32 v8, 0x4f800000, v1
	v_cmp_gt_f32_e32 vcc_lo, 0xf800000, v1
	v_cndmask_b32_e32 v1, v1, v8, vcc_lo
	s_delay_alu instid0(VALU_DEP_1) | instskip(SKIP_3) | instid1(VALU_DEP_2)
	v_sqrt_f32_e32 v8, v1
	s_waitcnt_depctr 0xfff
	v_add_nc_u32_e32 v9, -1, v8
	v_add_nc_u32_e32 v10, 1, v8
	v_fma_f32 v11, -v9, v8, v1
	s_delay_alu instid0(VALU_DEP_2) | instskip(NEXT) | instid1(VALU_DEP_2)
	v_fma_f32 v12, -v10, v8, v1
	v_cmp_ge_f32_e64 s3, 0, v11
	s_delay_alu instid0(VALU_DEP_1) | instskip(NEXT) | instid1(VALU_DEP_3)
	v_cndmask_b32_e64 v8, v8, v9, s3
	v_cmp_lt_f32_e64 s3, 0, v12
	s_delay_alu instid0(VALU_DEP_1) | instskip(NEXT) | instid1(VALU_DEP_1)
	v_cndmask_b32_e64 v8, v8, v10, s3
	v_mul_f32_e32 v9, 0x37800000, v8
	s_delay_alu instid0(VALU_DEP_1) | instskip(SKIP_1) | instid1(VALU_DEP_2)
	v_cndmask_b32_e32 v8, v8, v9, vcc_lo
	v_cmp_class_f32_e64 vcc_lo, v1, 0x260
	v_cndmask_b32_e32 v1, v8, v1, vcc_lo
	s_and_not1_b32 vcc_lo, exec_lo, s17
	s_cbranch_vccnz .LBB303_5
; %bb.4:                                ;   in Loop: Header=BB303_3 Depth=1
	v_add_co_u32 v8, vcc_lo, s6, v3
	v_add_co_ci_u32_e32 v9, vcc_lo, s7, v5, vcc_lo
	global_load_u16 v8, v[8:9], off
	s_waitcnt vmcnt(0)
	v_lshlrev_b32_e32 v8, 16, v8
	s_delay_alu instid0(VALU_DEP_1)
	v_add_f32_e32 v1, v1, v8
.LBB303_5:                              ;   in Loop: Header=BB303_3 Depth=1
	v_lshrrev_b32_e32 v2, 16, v2
	s_delay_alu instid0(VALU_DEP_1) | instskip(NEXT) | instid1(VALU_DEP_1)
	v_cvt_f32_u32_e32 v8, v2
	v_mul_f32_e32 v9, 0x3fb8aa3b, v8
	s_delay_alu instid0(VALU_DEP_1) | instskip(SKIP_2) | instid1(VALU_DEP_2)
	v_cmp_gt_f32_e32 vcc_lo, 0xc2fc0000, v9
	v_cndmask_b32_e64 v9, 0, 0x42800000, vcc_lo
	v_cndmask_b32_e64 v10, 1.0, 0x1f800000, vcc_lo
	v_fmac_f32_e32 v9, 0x3fb8aa3b, v8
	s_delay_alu instid0(VALU_DEP_1) | instskip(SKIP_2) | instid1(VALU_DEP_1)
	v_exp_f32_e32 v9, v9
	s_waitcnt_depctr 0xfff
	v_fma_f32 v9, v9, v10, 1.0
	v_cmp_gt_f32_e32 vcc_lo, 0x800000, v9
	v_cndmask_b32_e64 v10, 1.0, 0x4f800000, vcc_lo
	s_delay_alu instid0(VALU_DEP_1) | instskip(SKIP_2) | instid1(VALU_DEP_3)
	v_mul_f32_e32 v9, v9, v10
	v_cndmask_b32_e64 v10, 0, 0x42000000, vcc_lo
	v_cmp_lt_u16_e32 vcc_lo, 20, v2
	v_log_f32_e32 v9, v9
	s_waitcnt_depctr 0xfff
	v_sub_f32_e32 v9, v9, v10
	s_delay_alu instid0(VALU_DEP_1) | instskip(NEXT) | instid1(VALU_DEP_1)
	v_mul_f32_e32 v9, 0x3f317218, v9
	v_cndmask_b32_e32 v2, v9, v8, vcc_lo
	s_delay_alu instid0(VALU_DEP_1) | instskip(SKIP_1) | instid1(VALU_DEP_2)
	v_mul_f32_e32 v8, 0x4f800000, v2
	v_cmp_gt_f32_e32 vcc_lo, 0xf800000, v2
	v_cndmask_b32_e32 v2, v2, v8, vcc_lo
	s_delay_alu instid0(VALU_DEP_1) | instskip(SKIP_3) | instid1(VALU_DEP_2)
	v_sqrt_f32_e32 v8, v2
	s_waitcnt_depctr 0xfff
	v_add_nc_u32_e32 v10, 1, v8
	v_add_nc_u32_e32 v9, -1, v8
	v_fma_f32 v12, -v10, v8, v2
	s_delay_alu instid0(VALU_DEP_2) | instskip(NEXT) | instid1(VALU_DEP_1)
	v_fma_f32 v11, -v9, v8, v2
	v_cmp_ge_f32_e64 s3, 0, v11
	s_delay_alu instid0(VALU_DEP_1) | instskip(NEXT) | instid1(VALU_DEP_4)
	v_cndmask_b32_e64 v8, v8, v9, s3
	v_cmp_lt_f32_e64 s3, 0, v12
	s_delay_alu instid0(VALU_DEP_1) | instskip(NEXT) | instid1(VALU_DEP_1)
	v_cndmask_b32_e64 v8, v8, v10, s3
	v_mul_f32_e32 v9, 0x37800000, v8
	s_delay_alu instid0(VALU_DEP_1) | instskip(SKIP_1) | instid1(VALU_DEP_2)
	v_cndmask_b32_e32 v8, v8, v9, vcc_lo
	v_cmp_class_f32_e64 vcc_lo, v2, 0x260
	v_cndmask_b32_e32 v2, v8, v2, vcc_lo
	s_and_not1_b32 vcc_lo, exec_lo, s17
	s_cbranch_vccnz .LBB303_2
; %bb.6:                                ;   in Loop: Header=BB303_3 Depth=1
	v_add_co_u32 v8, vcc_lo, s6, v3
	v_add_co_ci_u32_e32 v9, vcc_lo, s7, v5, vcc_lo
	global_load_u16 v8, v[8:9], off offset:2
	s_waitcnt vmcnt(0)
	v_lshlrev_b32_e32 v8, 16, v8
	s_delay_alu instid0(VALU_DEP_1)
	v_add_f32_e32 v2, v2, v8
	s_branch .LBB303_2
.LBB303_7:
	s_or_b32 exec_lo, exec_lo, s16
	v_lshl_add_u32 v1, s14, 1, v0
	s_mov_b32 s16, exec_lo
	s_delay_alu instid0(VALU_DEP_1)
	v_cmpx_gt_i32_e64 s12, v1
	s_cbranch_execz .LBB303_12
; %bb.8:
	s_load_b32 s3, s[0:1], 0x44
	v_lshlrev_b32_e32 v2, 2, v0
	s_cmp_lg_u64 s[6:7], 0
	s_mov_b32 s19, 0
	s_cselect_b32 s17, -1, 0
	s_lshl_b32 s18, s14, 3
	s_delay_alu instid0(SALU_CYCLE_1) | instskip(SKIP_2) | instid1(SALU_CYCLE_1)
	v_add3_u32 v5, 0, s18, v2
	s_waitcnt lgkmcnt(0)
	s_and_b32 s18, s3, 0xffff
	s_lshl_b32 s20, s18, 2
	s_branch .LBB303_10
.LBB303_9:                              ;   in Loop: Header=BB303_10 Depth=1
	v_add_nc_u32_e32 v1, s18, v1
	v_add_nc_u32_e32 v5, s20, v5
	s_delay_alu instid0(VALU_DEP_2) | instskip(SKIP_1) | instid1(SALU_CYCLE_1)
	v_cmp_le_i32_e32 vcc_lo, s12, v1
	s_or_b32 s19, vcc_lo, s19
	s_and_not1_b32 exec_lo, exec_lo, s19
	s_cbranch_execz .LBB303_12
.LBB303_10:                             ; =>This Inner Loop Header: Depth=1
	v_ashrrev_i32_e32 v2, 31, v1
	s_delay_alu instid0(VALU_DEP_1) | instskip(NEXT) | instid1(VALU_DEP_1)
	v_lshlrev_b64 v[2:3], 1, v[1:2]
	v_add_co_u32 v6, vcc_lo, s4, v2
	s_delay_alu instid0(VALU_DEP_2) | instskip(SKIP_3) | instid1(VALU_DEP_1)
	v_add_co_ci_u32_e32 v7, vcc_lo, s5, v3, vcc_lo
	global_load_u16 v6, v[6:7], off
	s_waitcnt vmcnt(0)
	v_lshlrev_b32_e32 v6, 16, v6
	v_mul_f32_e32 v7, 0x3fb8aa3b, v6
	s_delay_alu instid0(VALU_DEP_1) | instskip(SKIP_2) | instid1(VALU_DEP_2)
	v_cmp_gt_f32_e32 vcc_lo, 0xc2fc0000, v7
	v_cndmask_b32_e64 v7, 0, 0x42800000, vcc_lo
	v_cndmask_b32_e64 v8, 1.0, 0x1f800000, vcc_lo
	v_fmac_f32_e32 v7, 0x3fb8aa3b, v6
	s_delay_alu instid0(VALU_DEP_1) | instskip(SKIP_2) | instid1(VALU_DEP_1)
	v_exp_f32_e32 v7, v7
	s_waitcnt_depctr 0xfff
	v_fma_f32 v7, v7, v8, 1.0
	v_cmp_gt_f32_e32 vcc_lo, 0x800000, v7
	v_cndmask_b32_e64 v8, 1.0, 0x4f800000, vcc_lo
	s_delay_alu instid0(VALU_DEP_1) | instskip(SKIP_2) | instid1(VALU_DEP_3)
	v_mul_f32_e32 v7, v7, v8
	v_cndmask_b32_e64 v8, 0, 0x42000000, vcc_lo
	v_cmp_lt_f32_e32 vcc_lo, 0x41a00000, v6
	v_log_f32_e32 v7, v7
	s_waitcnt_depctr 0xfff
	v_sub_f32_e32 v7, v7, v8
	s_delay_alu instid0(VALU_DEP_1) | instskip(NEXT) | instid1(VALU_DEP_1)
	v_mul_f32_e32 v7, 0x3f317218, v7
	v_cndmask_b32_e32 v6, v7, v6, vcc_lo
	s_delay_alu instid0(VALU_DEP_1) | instskip(SKIP_1) | instid1(VALU_DEP_2)
	v_mul_f32_e32 v7, 0x4f800000, v6
	v_cmp_gt_f32_e32 vcc_lo, 0xf800000, v6
	v_cndmask_b32_e32 v6, v6, v7, vcc_lo
	s_delay_alu instid0(VALU_DEP_1) | instskip(SKIP_3) | instid1(VALU_DEP_2)
	v_sqrt_f32_e32 v7, v6
	s_waitcnt_depctr 0xfff
	v_add_nc_u32_e32 v8, -1, v7
	v_add_nc_u32_e32 v9, 1, v7
	v_fma_f32 v10, -v8, v7, v6
	s_delay_alu instid0(VALU_DEP_2) | instskip(NEXT) | instid1(VALU_DEP_2)
	v_fma_f32 v11, -v9, v7, v6
	v_cmp_ge_f32_e64 s3, 0, v10
	s_delay_alu instid0(VALU_DEP_1) | instskip(NEXT) | instid1(VALU_DEP_3)
	v_cndmask_b32_e64 v7, v7, v8, s3
	v_cmp_lt_f32_e64 s3, 0, v11
	s_delay_alu instid0(VALU_DEP_1) | instskip(NEXT) | instid1(VALU_DEP_1)
	v_cndmask_b32_e64 v7, v7, v9, s3
	v_mul_f32_e32 v8, 0x37800000, v7
	s_delay_alu instid0(VALU_DEP_1) | instskip(SKIP_1) | instid1(VALU_DEP_2)
	v_cndmask_b32_e32 v7, v7, v8, vcc_lo
	v_cmp_class_f32_e64 vcc_lo, v6, 0x260
	v_cndmask_b32_e32 v6, v7, v6, vcc_lo
	s_and_not1_b32 vcc_lo, exec_lo, s17
	ds_store_b32 v5, v6
	s_cbranch_vccnz .LBB303_9
; %bb.11:                               ;   in Loop: Header=BB303_10 Depth=1
	v_add_co_u32 v2, vcc_lo, s6, v2
	v_add_co_ci_u32_e32 v3, vcc_lo, s7, v3, vcc_lo
	global_load_u16 v2, v[2:3], off
	s_waitcnt vmcnt(0)
	v_lshlrev_b32_e32 v2, 16, v2
	s_delay_alu instid0(VALU_DEP_1)
	v_add_f32_e32 v2, v6, v2
	ds_store_b32 v5, v2
	s_branch .LBB303_9
.LBB303_12:
	s_or_b32 exec_lo, exec_lo, s16
	v_mov_b32_e32 v2, 0
	s_cmp_lt_i32 s13, 1
	s_waitcnt lgkmcnt(0)
	s_barrier
	buffer_gl0_inv
	s_cbranch_scc1 .LBB303_21
; %bb.13:
	s_add_u32 s4, s0, 56
	s_addc_u32 s5, s1, 0
	v_dual_mov_b32 v2, 0 :: v_dual_lshlrev_b32 v5, 1, v0
	v_dual_mov_b32 v6, 0 :: v_dual_mov_b32 v7, 0xff800000
	v_mov_b32_e32 v1, 0
	v_mov_b32_e32 v3, 0
	s_cmp_lg_u64 s[6:7], 0
	s_mov_b32 s18, 0
	s_cselect_b32 s12, -1, 0
	s_mov_b32 s19, 0x76543210
	s_branch .LBB303_15
.LBB303_14:                             ;   in Loop: Header=BB303_15 Depth=1
	v_cmp_eq_u32_e32 vcc_lo, s18, v0
	s_delay_alu instid0(VALU_DEP_2)
	s_lshl_b32 s3, s16, 2
	s_add_i32 s18, s18, 1
	s_add_i32 s3, s3, 0
	v_add_f32_e32 v3, v3, v10
	v_cndmask_b32_e64 v1, v1, s16, vcc_lo
	v_mov_b32_e32 v8, s3
	v_cndmask_b32_e32 v2, v2, v10, vcc_lo
	s_cmp_eq_u32 s18, s13
	ds_store_b32 v8, v7
	s_cbranch_scc1 .LBB303_22
.LBB303_15:                             ; =>This Loop Header: Depth=1
                                        ;     Child Loop BB303_17 Depth 2
	v_dual_mov_b32 v8, s18 :: v_dual_mov_b32 v9, 0xff800000
	s_and_saveexec_b32 s16, s2
	s_cbranch_execz .LBB303_19
; %bb.16:                               ;   in Loop: Header=BB303_15 Depth=1
	s_load_b32 s3, s[4:5], 0xc
	v_dual_mov_b32 v8, s18 :: v_dual_mov_b32 v9, 0xff800000
	v_dual_mov_b32 v10, v4 :: v_dual_mov_b32 v11, v5
	v_mov_b32_e32 v12, v0
	s_mov_b32 s21, 0
	s_waitcnt lgkmcnt(0)
	s_and_b32 s17, s3, 0xffff
	s_delay_alu instid0(SALU_CYCLE_1)
	s_lshl_b32 s20, s17, 1
	s_lshl_b32 s22, s17, 3
	.p2align	6
.LBB303_17:                             ;   Parent Loop BB303_15 Depth=1
                                        ; =>  This Inner Loop Header: Depth=2
	ds_load_b64 v[13:14], v10
	v_add_nc_u32_e32 v10, s22, v10
	v_add_nc_u32_e32 v12, s17, v12
	s_delay_alu instid0(VALU_DEP_1) | instskip(NEXT) | instid1(VALU_DEP_1)
	v_cmp_le_i32_e64 s3, s14, v12
	s_or_b32 s21, s3, s21
	s_waitcnt lgkmcnt(0)
	v_cmp_gt_f32_e32 vcc_lo, v13, v9
	v_cndmask_b32_e32 v9, v9, v13, vcc_lo
	v_add_nc_u32_e32 v13, 1, v11
	v_cndmask_b32_e32 v8, v8, v11, vcc_lo
	s_delay_alu instid0(VALU_DEP_3) | instskip(SKIP_1) | instid1(VALU_DEP_3)
	v_cmp_gt_f32_e32 vcc_lo, v14, v9
	v_cndmask_b32_e32 v9, v9, v14, vcc_lo
	v_dual_cndmask_b32 v8, v8, v13 :: v_dual_add_nc_u32 v11, s20, v11
	s_and_not1_b32 exec_lo, exec_lo, s21
	s_cbranch_execnz .LBB303_17
; %bb.18:                               ;   in Loop: Header=BB303_15 Depth=1
	s_or_b32 exec_lo, exec_lo, s21
.LBB303_19:                             ;   in Loop: Header=BB303_15 Depth=1
	s_delay_alu instid0(SALU_CYCLE_1)
	s_or_b32 exec_lo, exec_lo, s16
	;;#ASMSTART
	v_max_f32 v10, v9, v9 quad_perm:[1,0,3,2] row_mask:0xf bank_mask:0xf bound_ctrl:1
	;;#ASMEND
	;;#ASMSTART
	v_max_f32 v11, v10, v10 quad_perm:[2,3,0,1] row_mask:0xf bank_mask:0xf bound_ctrl:1
	;;#ASMEND
	;;#ASMSTART
	v_max_f32 v10, v11, v11 row_half_mirror row_mask:0xf bank_mask:0xf bound_ctrl:1
	;;#ASMEND
	;;#ASMSTART
	v_max_f32 v11, v10, v10 row_mirror row_mask:0xf bank_mask:0xf bound_ctrl:1
	;;#ASMEND
	v_permlanex16_b32 v10, v11, s19, 0xfedcba98 op_sel:[1,1]
	s_delay_alu instid0(VALU_DEP_1) | instskip(NEXT) | instid1(VALU_DEP_1)
	v_dual_max_f32 v11, v11, v11 :: v_dual_max_f32 v10, v10, v10
	v_max_f32_e32 v10, v11, v10
	s_delay_alu instid0(VALU_DEP_1)
	v_cmp_eq_f32_e32 vcc_lo, v9, v10
	s_ctz_i32_b32 s3, vcc_lo
	s_cmp_lg_u32 vcc_lo, 0
	s_cselect_b32 s3, s3, 0
	s_and_b32 vcc_lo, exec_lo, s12
	v_readlane_b32 s16, v8, s3
	s_cbranch_vccz .LBB303_14
; %bb.20:                               ;   in Loop: Header=BB303_15 Depth=1
	s_delay_alu instid0(VALU_DEP_1) | instskip(NEXT) | instid1(SALU_CYCLE_1)
	s_ashr_i32 s17, s16, 31
	s_lshl_b64 s[20:21], s[16:17], 1
	s_delay_alu instid0(SALU_CYCLE_1) | instskip(SKIP_4) | instid1(VALU_DEP_1)
	s_add_u32 s20, s6, s20
	s_addc_u32 s21, s7, s21
	global_load_u16 v8, v6, s[20:21]
	s_waitcnt vmcnt(0)
	v_lshlrev_b32_e32 v8, 16, v8
	v_sub_f32_e32 v10, v10, v8
	s_branch .LBB303_14
.LBB303_21:
	v_mov_b32_e32 v1, 0
	v_mov_b32_e32 v3, 0
.LBB303_22:
	s_mov_b32 s2, exec_lo
	v_cmpx_gt_i32_e64 s13, v0
	s_cbranch_execz .LBB303_25
; %bb.23:
	s_clause 0x1
	s_load_b32 s2, s[0:1], 0x34
	s_load_b32 s3, s[0:1], 0x44
	v_max_f32_e32 v3, v3, v3
	s_load_b64 s[0:1], s[0:1], 0x20
	s_ashr_i32 s4, s15, 31
	s_delay_alu instid0(VALU_DEP_1) | instskip(SKIP_1) | instid1(VALU_DEP_1)
	v_max_f32_e32 v3, 0x1e3ce508, v3
	s_waitcnt lgkmcnt(0)
	v_div_scale_f32 v4, null, v3, v3, s2
	v_div_scale_f32 v7, vcc_lo, s2, v3, s2
	s_mul_i32 s1, s15, s1
	s_delay_alu instid0(VALU_DEP_2) | instskip(SKIP_4) | instid1(VALU_DEP_1)
	v_rcp_f32_e32 v5, v4
	s_mul_i32 s4, s4, s0
	s_and_b32 s3, s3, 0xffff
	s_waitcnt_depctr 0xfff
	v_fma_f32 v6, -v4, v5, 1.0
	v_fmac_f32_e32 v5, v6, v5
	s_delay_alu instid0(VALU_DEP_1) | instskip(NEXT) | instid1(VALU_DEP_1)
	v_mul_f32_e32 v6, v7, v5
	v_fma_f32 v8, -v4, v6, v7
	s_delay_alu instid0(VALU_DEP_1) | instskip(NEXT) | instid1(VALU_DEP_1)
	v_fmac_f32_e32 v6, v8, v5
	v_fma_f32 v4, -v4, v6, v7
	s_delay_alu instid0(VALU_DEP_1) | instskip(NEXT) | instid1(VALU_DEP_1)
	v_div_fmas_f32 v4, v4, v5, v6
	v_div_fixup_f32 v3, v4, v3, s2
	s_mul_hi_u32 s2, s15, s0
	s_delay_alu instid0(SALU_CYCLE_1) | instskip(SKIP_1) | instid1(VALU_DEP_1)
	s_add_i32 s1, s2, s1
	s_mul_i32 s2, s15, s0
	v_mul_f32_e32 v2, v2, v3
	s_add_i32 s1, s1, s4
	s_mov_b32 s4, 0
	.p2align	6
.LBB303_24:                             ; =>This Inner Loop Header: Depth=1
	v_ashrrev_i32_e32 v4, 31, v0
	v_add_co_u32 v3, vcc_lo, s2, v0
	v_add_nc_u32_e32 v0, s3, v0
	s_delay_alu instid0(VALU_DEP_3) | instskip(NEXT) | instid1(VALU_DEP_2)
	v_add_co_ci_u32_e32 v4, vcc_lo, s1, v4, vcc_lo
	v_cmp_le_i32_e32 vcc_lo, s13, v0
	s_delay_alu instid0(VALU_DEP_2) | instskip(SKIP_1) | instid1(VALU_DEP_1)
	v_lshlrev_b64 v[3:4], 2, v[3:4]
	s_or_b32 s4, vcc_lo, s4
	v_add_co_u32 v5, s0, s8, v3
	s_delay_alu instid0(VALU_DEP_1) | instskip(SKIP_1) | instid1(VALU_DEP_1)
	v_add_co_ci_u32_e64 v6, s0, s9, v4, s0
	v_add_co_u32 v3, s0, s10, v3
	v_add_co_ci_u32_e64 v4, s0, s11, v4, s0
	global_store_b32 v[5:6], v2, off
	global_store_b32 v[3:4], v1, off
	s_and_not1_b32 exec_lo, exec_lo, s4
	s_cbranch_execnz .LBB303_24
.LBB303_25:
	s_nop 0
	s_sendmsg sendmsg(MSG_DEALLOC_VGPRS)
	s_endpgm
	.section	.rodata,"a",@progbits
	.p2align	6, 0x0
	.amdhsa_kernel _ZN5aiter20topk_softplus_kernelI12hip_bfloat16S1_Dv2_fLb1ELi0EEEvPKT_PKT0_PfPimiiif
		.amdhsa_group_segment_fixed_size 0
		.amdhsa_private_segment_fixed_size 0
		.amdhsa_kernarg_size 312
		.amdhsa_user_sgpr_count 15
		.amdhsa_user_sgpr_dispatch_ptr 0
		.amdhsa_user_sgpr_queue_ptr 0
		.amdhsa_user_sgpr_kernarg_segment_ptr 1
		.amdhsa_user_sgpr_dispatch_id 0
		.amdhsa_user_sgpr_private_segment_size 0
		.amdhsa_wavefront_size32 1
		.amdhsa_uses_dynamic_stack 0
		.amdhsa_enable_private_segment 0
		.amdhsa_system_sgpr_workgroup_id_x 1
		.amdhsa_system_sgpr_workgroup_id_y 0
		.amdhsa_system_sgpr_workgroup_id_z 0
		.amdhsa_system_sgpr_workgroup_info 0
		.amdhsa_system_vgpr_workitem_id 0
		.amdhsa_next_free_vgpr 15
		.amdhsa_next_free_sgpr 23
		.amdhsa_reserve_vcc 1
		.amdhsa_float_round_mode_32 0
		.amdhsa_float_round_mode_16_64 0
		.amdhsa_float_denorm_mode_32 3
		.amdhsa_float_denorm_mode_16_64 3
		.amdhsa_dx10_clamp 1
		.amdhsa_ieee_mode 1
		.amdhsa_fp16_overflow 0
		.amdhsa_workgroup_processor_mode 1
		.amdhsa_memory_ordered 1
		.amdhsa_forward_progress 0
		.amdhsa_shared_vgpr_count 0
		.amdhsa_exception_fp_ieee_invalid_op 0
		.amdhsa_exception_fp_denorm_src 0
		.amdhsa_exception_fp_ieee_div_zero 0
		.amdhsa_exception_fp_ieee_overflow 0
		.amdhsa_exception_fp_ieee_underflow 0
		.amdhsa_exception_fp_ieee_inexact 0
		.amdhsa_exception_int_div_zero 0
	.end_amdhsa_kernel
	.section	.text._ZN5aiter20topk_softplus_kernelI12hip_bfloat16S1_Dv2_fLb1ELi0EEEvPKT_PKT0_PfPimiiif,"axG",@progbits,_ZN5aiter20topk_softplus_kernelI12hip_bfloat16S1_Dv2_fLb1ELi0EEEvPKT_PKT0_PfPimiiif,comdat
.Lfunc_end303:
	.size	_ZN5aiter20topk_softplus_kernelI12hip_bfloat16S1_Dv2_fLb1ELi0EEEvPKT_PKT0_PfPimiiif, .Lfunc_end303-_ZN5aiter20topk_softplus_kernelI12hip_bfloat16S1_Dv2_fLb1ELi0EEEvPKT_PKT0_PfPimiiif
                                        ; -- End function
	.section	.AMDGPU.csdata,"",@progbits
; Kernel info:
; codeLenInByte = 2264
; NumSgprs: 25
; NumVgprs: 15
; ScratchSize: 0
; MemoryBound: 0
; FloatMode: 240
; IeeeMode: 1
; LDSByteSize: 0 bytes/workgroup (compile time only)
; SGPRBlocks: 3
; VGPRBlocks: 1
; NumSGPRsForWavesPerEU: 25
; NumVGPRsForWavesPerEU: 15
; Occupancy: 16
; WaveLimiterHint : 0
; COMPUTE_PGM_RSRC2:SCRATCH_EN: 0
; COMPUTE_PGM_RSRC2:USER_SGPR: 15
; COMPUTE_PGM_RSRC2:TRAP_HANDLER: 0
; COMPUTE_PGM_RSRC2:TGID_X_EN: 1
; COMPUTE_PGM_RSRC2:TGID_Y_EN: 0
; COMPUTE_PGM_RSRC2:TGID_Z_EN: 0
; COMPUTE_PGM_RSRC2:TIDIG_COMP_CNT: 0
	.section	.text._ZN5aiter20topk_softplus_kernelI12hip_bfloat16S1_Dv2_fLb0ELi0EEEvPKT_PKT0_PfPimiiif,"axG",@progbits,_ZN5aiter20topk_softplus_kernelI12hip_bfloat16S1_Dv2_fLb0ELi0EEEvPKT_PKT0_PfPimiiif,comdat
	.protected	_ZN5aiter20topk_softplus_kernelI12hip_bfloat16S1_Dv2_fLb0ELi0EEEvPKT_PKT0_PfPimiiif ; -- Begin function _ZN5aiter20topk_softplus_kernelI12hip_bfloat16S1_Dv2_fLb0ELi0EEEvPKT_PKT0_PfPimiiif
	.globl	_ZN5aiter20topk_softplus_kernelI12hip_bfloat16S1_Dv2_fLb0ELi0EEEvPKT_PKT0_PfPimiiif
	.p2align	8
	.type	_ZN5aiter20topk_softplus_kernelI12hip_bfloat16S1_Dv2_fLb0ELi0EEEvPKT_PKT0_PfPimiiif,@function
_ZN5aiter20topk_softplus_kernelI12hip_bfloat16S1_Dv2_fLb0ELi0EEEvPKT_PKT0_PfPimiiif: ; @_ZN5aiter20topk_softplus_kernelI12hip_bfloat16S1_Dv2_fLb0ELi0EEEvPKT_PKT0_PfPimiiif
; %bb.0:
	s_clause 0x1
	s_load_b64 s[12:13], s[0:1], 0x28
	s_load_b256 s[4:11], s[0:1], 0x0
	v_lshl_add_u32 v4, v0, 3, 0
	s_waitcnt lgkmcnt(0)
	s_lshr_b32 s3, s12, 31
	s_mul_i32 s2, s15, s12
	s_add_i32 s14, s12, s3
	s_ashr_i32 s3, s2, 31
	s_ashr_i32 s14, s14, 1
	s_lshl_b64 s[16:17], s[2:3], 1
	v_cmp_gt_i32_e64 s2, s14, v0
	s_add_u32 s4, s4, s16
	s_addc_u32 s5, s5, s17
	s_delay_alu instid0(VALU_DEP_1)
	s_and_saveexec_b32 s16, s2
	s_cbranch_execz .LBB304_7
; %bb.1:
	s_load_b32 s3, s[0:1], 0x44
	s_cmp_lg_u64 s[6:7], 0
	v_lshlrev_b32_e32 v3, 2, v0
	v_mov_b32_e32 v5, 0
	v_lshl_add_u32 v6, v0, 3, 0
	v_mov_b32_e32 v7, v0
	s_cselect_b32 s17, -1, 0
	s_mov_b32 s19, 0
	s_waitcnt lgkmcnt(0)
	s_and_b32 s18, s3, 0xffff
	s_delay_alu instid0(SALU_CYCLE_1)
	s_lshl_b32 s20, s18, 2
	s_lshl_b32 s21, s18, 3
	s_branch .LBB304_3
.LBB304_2:                              ;   in Loop: Header=BB304_3 Depth=1
	v_add_nc_u32_e32 v7, s18, v7
	v_add_co_u32 v3, s3, v3, s20
	ds_store_b64 v6, v[1:2]
	v_add_co_ci_u32_e64 v5, s3, 0, v5, s3
	v_cmp_le_i32_e32 vcc_lo, s14, v7
	v_add_nc_u32_e32 v6, s21, v6
	s_or_b32 s19, vcc_lo, s19
	s_delay_alu instid0(SALU_CYCLE_1)
	s_and_not1_b32 exec_lo, exec_lo, s19
	s_cbranch_execz .LBB304_7
.LBB304_3:                              ; =>This Inner Loop Header: Depth=1
	v_add_co_u32 v1, vcc_lo, s4, v3
	v_add_co_ci_u32_e32 v2, vcc_lo, s5, v5, vcc_lo
	global_load_b32 v2, v[1:2], off
	s_waitcnt vmcnt(0)
	v_and_b32_e32 v1, 0xffff, v2
	s_delay_alu instid0(VALU_DEP_1) | instskip(NEXT) | instid1(VALU_DEP_1)
	v_cvt_f32_u32_e32 v1, v1
	v_mul_f32_e32 v8, 0x3fb8aa3b, v1
	s_delay_alu instid0(VALU_DEP_1) | instskip(SKIP_2) | instid1(VALU_DEP_2)
	v_cmp_gt_f32_e32 vcc_lo, 0xc2fc0000, v8
	v_cndmask_b32_e64 v8, 0, 0x42800000, vcc_lo
	v_cndmask_b32_e64 v9, 1.0, 0x1f800000, vcc_lo
	v_fmac_f32_e32 v8, 0x3fb8aa3b, v1
	s_delay_alu instid0(VALU_DEP_1) | instskip(SKIP_2) | instid1(VALU_DEP_1)
	v_exp_f32_e32 v8, v8
	s_waitcnt_depctr 0xfff
	v_fma_f32 v8, v8, v9, 1.0
	v_cmp_gt_f32_e32 vcc_lo, 0x800000, v8
	v_cndmask_b32_e64 v9, 1.0, 0x4f800000, vcc_lo
	s_delay_alu instid0(VALU_DEP_1) | instskip(SKIP_2) | instid1(VALU_DEP_3)
	v_mul_f32_e32 v8, v8, v9
	v_cndmask_b32_e64 v9, 0, 0x42000000, vcc_lo
	v_cmp_lt_u16_e32 vcc_lo, 20, v2
	v_log_f32_e32 v8, v8
	s_waitcnt_depctr 0xfff
	v_sub_f32_e32 v8, v8, v9
	s_delay_alu instid0(VALU_DEP_1) | instskip(NEXT) | instid1(VALU_DEP_1)
	v_mul_f32_e32 v8, 0x3f317218, v8
	v_cndmask_b32_e32 v1, v8, v1, vcc_lo
	s_delay_alu instid0(VALU_DEP_1) | instskip(SKIP_1) | instid1(VALU_DEP_2)
	v_mul_f32_e32 v8, 0x4f800000, v1
	v_cmp_gt_f32_e32 vcc_lo, 0xf800000, v1
	v_cndmask_b32_e32 v1, v1, v8, vcc_lo
	s_delay_alu instid0(VALU_DEP_1) | instskip(SKIP_3) | instid1(VALU_DEP_2)
	v_sqrt_f32_e32 v8, v1
	s_waitcnt_depctr 0xfff
	v_add_nc_u32_e32 v9, -1, v8
	v_add_nc_u32_e32 v10, 1, v8
	v_fma_f32 v11, -v9, v8, v1
	s_delay_alu instid0(VALU_DEP_2) | instskip(NEXT) | instid1(VALU_DEP_2)
	v_fma_f32 v12, -v10, v8, v1
	v_cmp_ge_f32_e64 s3, 0, v11
	s_delay_alu instid0(VALU_DEP_1) | instskip(NEXT) | instid1(VALU_DEP_3)
	v_cndmask_b32_e64 v8, v8, v9, s3
	v_cmp_lt_f32_e64 s3, 0, v12
	s_delay_alu instid0(VALU_DEP_1) | instskip(NEXT) | instid1(VALU_DEP_1)
	v_cndmask_b32_e64 v8, v8, v10, s3
	v_mul_f32_e32 v9, 0x37800000, v8
	s_delay_alu instid0(VALU_DEP_1) | instskip(SKIP_1) | instid1(VALU_DEP_2)
	v_cndmask_b32_e32 v8, v8, v9, vcc_lo
	v_cmp_class_f32_e64 vcc_lo, v1, 0x260
	v_cndmask_b32_e32 v1, v8, v1, vcc_lo
	s_and_not1_b32 vcc_lo, exec_lo, s17
	s_cbranch_vccnz .LBB304_5
; %bb.4:                                ;   in Loop: Header=BB304_3 Depth=1
	v_add_co_u32 v8, vcc_lo, s6, v3
	v_add_co_ci_u32_e32 v9, vcc_lo, s7, v5, vcc_lo
	global_load_u16 v8, v[8:9], off
	s_waitcnt vmcnt(0)
	v_lshlrev_b32_e32 v8, 16, v8
	s_delay_alu instid0(VALU_DEP_1)
	v_add_f32_e32 v1, v1, v8
.LBB304_5:                              ;   in Loop: Header=BB304_3 Depth=1
	v_lshrrev_b32_e32 v2, 16, v2
	s_delay_alu instid0(VALU_DEP_1) | instskip(NEXT) | instid1(VALU_DEP_1)
	v_cvt_f32_u32_e32 v8, v2
	v_mul_f32_e32 v9, 0x3fb8aa3b, v8
	s_delay_alu instid0(VALU_DEP_1) | instskip(SKIP_2) | instid1(VALU_DEP_2)
	v_cmp_gt_f32_e32 vcc_lo, 0xc2fc0000, v9
	v_cndmask_b32_e64 v9, 0, 0x42800000, vcc_lo
	v_cndmask_b32_e64 v10, 1.0, 0x1f800000, vcc_lo
	v_fmac_f32_e32 v9, 0x3fb8aa3b, v8
	s_delay_alu instid0(VALU_DEP_1) | instskip(SKIP_2) | instid1(VALU_DEP_1)
	v_exp_f32_e32 v9, v9
	s_waitcnt_depctr 0xfff
	v_fma_f32 v9, v9, v10, 1.0
	v_cmp_gt_f32_e32 vcc_lo, 0x800000, v9
	v_cndmask_b32_e64 v10, 1.0, 0x4f800000, vcc_lo
	s_delay_alu instid0(VALU_DEP_1) | instskip(SKIP_2) | instid1(VALU_DEP_3)
	v_mul_f32_e32 v9, v9, v10
	v_cndmask_b32_e64 v10, 0, 0x42000000, vcc_lo
	v_cmp_lt_u16_e32 vcc_lo, 20, v2
	v_log_f32_e32 v9, v9
	s_waitcnt_depctr 0xfff
	v_sub_f32_e32 v9, v9, v10
	s_delay_alu instid0(VALU_DEP_1) | instskip(NEXT) | instid1(VALU_DEP_1)
	v_mul_f32_e32 v9, 0x3f317218, v9
	v_cndmask_b32_e32 v2, v9, v8, vcc_lo
	s_delay_alu instid0(VALU_DEP_1) | instskip(SKIP_1) | instid1(VALU_DEP_2)
	v_mul_f32_e32 v8, 0x4f800000, v2
	v_cmp_gt_f32_e32 vcc_lo, 0xf800000, v2
	v_cndmask_b32_e32 v2, v2, v8, vcc_lo
	s_delay_alu instid0(VALU_DEP_1) | instskip(SKIP_3) | instid1(VALU_DEP_2)
	v_sqrt_f32_e32 v8, v2
	s_waitcnt_depctr 0xfff
	v_add_nc_u32_e32 v10, 1, v8
	v_add_nc_u32_e32 v9, -1, v8
	v_fma_f32 v12, -v10, v8, v2
	s_delay_alu instid0(VALU_DEP_2) | instskip(NEXT) | instid1(VALU_DEP_1)
	v_fma_f32 v11, -v9, v8, v2
	v_cmp_ge_f32_e64 s3, 0, v11
	s_delay_alu instid0(VALU_DEP_1) | instskip(NEXT) | instid1(VALU_DEP_4)
	v_cndmask_b32_e64 v8, v8, v9, s3
	v_cmp_lt_f32_e64 s3, 0, v12
	s_delay_alu instid0(VALU_DEP_1) | instskip(NEXT) | instid1(VALU_DEP_1)
	v_cndmask_b32_e64 v8, v8, v10, s3
	v_mul_f32_e32 v9, 0x37800000, v8
	s_delay_alu instid0(VALU_DEP_1) | instskip(SKIP_1) | instid1(VALU_DEP_2)
	v_cndmask_b32_e32 v8, v8, v9, vcc_lo
	v_cmp_class_f32_e64 vcc_lo, v2, 0x260
	v_cndmask_b32_e32 v2, v8, v2, vcc_lo
	s_and_not1_b32 vcc_lo, exec_lo, s17
	s_cbranch_vccnz .LBB304_2
; %bb.6:                                ;   in Loop: Header=BB304_3 Depth=1
	v_add_co_u32 v8, vcc_lo, s6, v3
	v_add_co_ci_u32_e32 v9, vcc_lo, s7, v5, vcc_lo
	global_load_u16 v8, v[8:9], off offset:2
	s_waitcnt vmcnt(0)
	v_lshlrev_b32_e32 v8, 16, v8
	s_delay_alu instid0(VALU_DEP_1)
	v_add_f32_e32 v2, v2, v8
	s_branch .LBB304_2
.LBB304_7:
	s_or_b32 exec_lo, exec_lo, s16
	v_lshl_add_u32 v1, s14, 1, v0
	s_mov_b32 s16, exec_lo
	s_delay_alu instid0(VALU_DEP_1)
	v_cmpx_gt_i32_e64 s12, v1
	s_cbranch_execz .LBB304_12
; %bb.8:
	s_load_b32 s3, s[0:1], 0x44
	v_lshlrev_b32_e32 v2, 2, v0
	s_cmp_lg_u64 s[6:7], 0
	s_mov_b32 s19, 0
	s_cselect_b32 s17, -1, 0
	s_lshl_b32 s18, s14, 3
	s_delay_alu instid0(SALU_CYCLE_1) | instskip(SKIP_2) | instid1(SALU_CYCLE_1)
	v_add3_u32 v5, 0, s18, v2
	s_waitcnt lgkmcnt(0)
	s_and_b32 s18, s3, 0xffff
	s_lshl_b32 s20, s18, 2
	s_branch .LBB304_10
.LBB304_9:                              ;   in Loop: Header=BB304_10 Depth=1
	v_add_nc_u32_e32 v1, s18, v1
	v_add_nc_u32_e32 v5, s20, v5
	s_delay_alu instid0(VALU_DEP_2) | instskip(SKIP_1) | instid1(SALU_CYCLE_1)
	v_cmp_le_i32_e32 vcc_lo, s12, v1
	s_or_b32 s19, vcc_lo, s19
	s_and_not1_b32 exec_lo, exec_lo, s19
	s_cbranch_execz .LBB304_12
.LBB304_10:                             ; =>This Inner Loop Header: Depth=1
	v_ashrrev_i32_e32 v2, 31, v1
	s_delay_alu instid0(VALU_DEP_1) | instskip(NEXT) | instid1(VALU_DEP_1)
	v_lshlrev_b64 v[2:3], 1, v[1:2]
	v_add_co_u32 v6, vcc_lo, s4, v2
	s_delay_alu instid0(VALU_DEP_2) | instskip(SKIP_3) | instid1(VALU_DEP_1)
	v_add_co_ci_u32_e32 v7, vcc_lo, s5, v3, vcc_lo
	global_load_u16 v6, v[6:7], off
	s_waitcnt vmcnt(0)
	v_lshlrev_b32_e32 v6, 16, v6
	v_mul_f32_e32 v7, 0x3fb8aa3b, v6
	s_delay_alu instid0(VALU_DEP_1) | instskip(SKIP_2) | instid1(VALU_DEP_2)
	v_cmp_gt_f32_e32 vcc_lo, 0xc2fc0000, v7
	v_cndmask_b32_e64 v7, 0, 0x42800000, vcc_lo
	v_cndmask_b32_e64 v8, 1.0, 0x1f800000, vcc_lo
	v_fmac_f32_e32 v7, 0x3fb8aa3b, v6
	s_delay_alu instid0(VALU_DEP_1) | instskip(SKIP_2) | instid1(VALU_DEP_1)
	v_exp_f32_e32 v7, v7
	s_waitcnt_depctr 0xfff
	v_fma_f32 v7, v7, v8, 1.0
	v_cmp_gt_f32_e32 vcc_lo, 0x800000, v7
	v_cndmask_b32_e64 v8, 1.0, 0x4f800000, vcc_lo
	s_delay_alu instid0(VALU_DEP_1) | instskip(SKIP_2) | instid1(VALU_DEP_3)
	v_mul_f32_e32 v7, v7, v8
	v_cndmask_b32_e64 v8, 0, 0x42000000, vcc_lo
	v_cmp_lt_f32_e32 vcc_lo, 0x41a00000, v6
	v_log_f32_e32 v7, v7
	s_waitcnt_depctr 0xfff
	v_sub_f32_e32 v7, v7, v8
	s_delay_alu instid0(VALU_DEP_1) | instskip(NEXT) | instid1(VALU_DEP_1)
	v_mul_f32_e32 v7, 0x3f317218, v7
	v_cndmask_b32_e32 v6, v7, v6, vcc_lo
	s_delay_alu instid0(VALU_DEP_1) | instskip(SKIP_1) | instid1(VALU_DEP_2)
	v_mul_f32_e32 v7, 0x4f800000, v6
	v_cmp_gt_f32_e32 vcc_lo, 0xf800000, v6
	v_cndmask_b32_e32 v6, v6, v7, vcc_lo
	s_delay_alu instid0(VALU_DEP_1) | instskip(SKIP_3) | instid1(VALU_DEP_2)
	v_sqrt_f32_e32 v7, v6
	s_waitcnt_depctr 0xfff
	v_add_nc_u32_e32 v8, -1, v7
	v_add_nc_u32_e32 v9, 1, v7
	v_fma_f32 v10, -v8, v7, v6
	s_delay_alu instid0(VALU_DEP_2) | instskip(NEXT) | instid1(VALU_DEP_2)
	v_fma_f32 v11, -v9, v7, v6
	v_cmp_ge_f32_e64 s3, 0, v10
	s_delay_alu instid0(VALU_DEP_1) | instskip(NEXT) | instid1(VALU_DEP_3)
	v_cndmask_b32_e64 v7, v7, v8, s3
	v_cmp_lt_f32_e64 s3, 0, v11
	s_delay_alu instid0(VALU_DEP_1) | instskip(NEXT) | instid1(VALU_DEP_1)
	v_cndmask_b32_e64 v7, v7, v9, s3
	v_mul_f32_e32 v8, 0x37800000, v7
	s_delay_alu instid0(VALU_DEP_1) | instskip(SKIP_1) | instid1(VALU_DEP_2)
	v_cndmask_b32_e32 v7, v7, v8, vcc_lo
	v_cmp_class_f32_e64 vcc_lo, v6, 0x260
	v_cndmask_b32_e32 v6, v7, v6, vcc_lo
	s_and_not1_b32 vcc_lo, exec_lo, s17
	ds_store_b32 v5, v6
	s_cbranch_vccnz .LBB304_9
; %bb.11:                               ;   in Loop: Header=BB304_10 Depth=1
	v_add_co_u32 v2, vcc_lo, s6, v2
	v_add_co_ci_u32_e32 v3, vcc_lo, s7, v3, vcc_lo
	global_load_u16 v2, v[2:3], off
	s_waitcnt vmcnt(0)
	v_lshlrev_b32_e32 v2, 16, v2
	s_delay_alu instid0(VALU_DEP_1)
	v_add_f32_e32 v2, v6, v2
	ds_store_b32 v5, v2
	s_branch .LBB304_9
.LBB304_12:
	s_or_b32 exec_lo, exec_lo, s16
	s_cmp_lt_i32 s13, 1
	s_waitcnt lgkmcnt(0)
	s_barrier
	buffer_gl0_inv
	s_cbranch_scc1 .LBB304_21
; %bb.13:
	s_add_u32 s4, s0, 56
	s_addc_u32 s5, s1, 0
	v_dual_mov_b32 v6, 0xff800000 :: v_dual_lshlrev_b32 v3, 1, v0
	v_dual_mov_b32 v5, 0 :: v_dual_mov_b32 v2, 0
	v_mov_b32_e32 v1, 0
	s_cmp_lg_u64 s[6:7], 0
	s_mov_b32 s18, 0
	s_cselect_b32 s12, -1, 0
	s_mov_b32 s19, 0x76543210
	s_branch .LBB304_15
.LBB304_14:                             ;   in Loop: Header=BB304_15 Depth=1
	v_cmp_eq_u32_e32 vcc_lo, s18, v0
	s_delay_alu instid0(VALU_DEP_2)
	s_lshl_b32 s3, s16, 2
	s_add_i32 s18, s18, 1
	s_add_i32 s3, s3, 0
	s_cmp_eq_u32 s18, s13
	v_cndmask_b32_e64 v1, v1, s16, vcc_lo
	v_dual_mov_b32 v7, s3 :: v_dual_cndmask_b32 v2, v2, v9
	ds_store_b32 v7, v6
	s_cbranch_scc1 .LBB304_22
.LBB304_15:                             ; =>This Loop Header: Depth=1
                                        ;     Child Loop BB304_17 Depth 2
	v_dual_mov_b32 v7, s18 :: v_dual_mov_b32 v8, 0xff800000
	s_and_saveexec_b32 s16, s2
	s_cbranch_execz .LBB304_19
; %bb.16:                               ;   in Loop: Header=BB304_15 Depth=1
	s_load_b32 s3, s[4:5], 0xc
	v_dual_mov_b32 v7, s18 :: v_dual_mov_b32 v8, 0xff800000
	v_dual_mov_b32 v9, v4 :: v_dual_mov_b32 v10, v3
	v_mov_b32_e32 v11, v0
	s_mov_b32 s21, 0
	s_waitcnt lgkmcnt(0)
	s_and_b32 s17, s3, 0xffff
	s_delay_alu instid0(SALU_CYCLE_1)
	s_lshl_b32 s20, s17, 1
	s_lshl_b32 s22, s17, 3
	.p2align	6
.LBB304_17:                             ;   Parent Loop BB304_15 Depth=1
                                        ; =>  This Inner Loop Header: Depth=2
	ds_load_b64 v[12:13], v9
	v_add_nc_u32_e32 v9, s22, v9
	v_add_nc_u32_e32 v11, s17, v11
	s_delay_alu instid0(VALU_DEP_1) | instskip(NEXT) | instid1(VALU_DEP_1)
	v_cmp_le_i32_e64 s3, s14, v11
	s_or_b32 s21, s3, s21
	s_waitcnt lgkmcnt(0)
	v_cmp_gt_f32_e32 vcc_lo, v12, v8
	v_cndmask_b32_e32 v8, v8, v12, vcc_lo
	v_add_nc_u32_e32 v12, 1, v10
	v_cndmask_b32_e32 v7, v7, v10, vcc_lo
	s_delay_alu instid0(VALU_DEP_3) | instskip(SKIP_1) | instid1(VALU_DEP_3)
	v_cmp_gt_f32_e32 vcc_lo, v13, v8
	v_cndmask_b32_e32 v8, v8, v13, vcc_lo
	v_dual_cndmask_b32 v7, v7, v12 :: v_dual_add_nc_u32 v10, s20, v10
	s_and_not1_b32 exec_lo, exec_lo, s21
	s_cbranch_execnz .LBB304_17
; %bb.18:                               ;   in Loop: Header=BB304_15 Depth=1
	s_or_b32 exec_lo, exec_lo, s21
.LBB304_19:                             ;   in Loop: Header=BB304_15 Depth=1
	s_delay_alu instid0(SALU_CYCLE_1)
	s_or_b32 exec_lo, exec_lo, s16
	;;#ASMSTART
	v_max_f32 v9, v8, v8 quad_perm:[1,0,3,2] row_mask:0xf bank_mask:0xf bound_ctrl:1
	;;#ASMEND
	;;#ASMSTART
	v_max_f32 v10, v9, v9 quad_perm:[2,3,0,1] row_mask:0xf bank_mask:0xf bound_ctrl:1
	;;#ASMEND
	;;#ASMSTART
	v_max_f32 v9, v10, v10 row_half_mirror row_mask:0xf bank_mask:0xf bound_ctrl:1
	;;#ASMEND
	;;#ASMSTART
	v_max_f32 v10, v9, v9 row_mirror row_mask:0xf bank_mask:0xf bound_ctrl:1
	;;#ASMEND
	v_permlanex16_b32 v9, v10, s19, 0xfedcba98 op_sel:[1,1]
	s_delay_alu instid0(VALU_DEP_1) | instskip(NEXT) | instid1(VALU_DEP_1)
	v_dual_max_f32 v10, v10, v10 :: v_dual_max_f32 v9, v9, v9
	v_max_f32_e32 v9, v10, v9
	s_delay_alu instid0(VALU_DEP_1)
	v_cmp_eq_f32_e32 vcc_lo, v8, v9
	s_ctz_i32_b32 s3, vcc_lo
	s_cmp_lg_u32 vcc_lo, 0
	s_cselect_b32 s3, s3, 0
	s_and_b32 vcc_lo, exec_lo, s12
	v_readlane_b32 s16, v7, s3
	s_cbranch_vccz .LBB304_14
; %bb.20:                               ;   in Loop: Header=BB304_15 Depth=1
	s_delay_alu instid0(VALU_DEP_1) | instskip(NEXT) | instid1(SALU_CYCLE_1)
	s_ashr_i32 s17, s16, 31
	s_lshl_b64 s[20:21], s[16:17], 1
	s_delay_alu instid0(SALU_CYCLE_1) | instskip(SKIP_4) | instid1(VALU_DEP_1)
	s_add_u32 s20, s6, s20
	s_addc_u32 s21, s7, s21
	global_load_u16 v7, v5, s[20:21]
	s_waitcnt vmcnt(0)
	v_lshlrev_b32_e32 v7, 16, v7
	v_sub_f32_e32 v9, v9, v7
	s_branch .LBB304_14
.LBB304_21:
	v_dual_mov_b32 v2, 0 :: v_dual_mov_b32 v1, 0
.LBB304_22:
	s_mov_b32 s2, exec_lo
	v_cmpx_gt_i32_e64 s13, v0
	s_cbranch_execz .LBB304_25
; %bb.23:
	s_clause 0x2
	s_load_b32 s4, s[0:1], 0x34
	s_load_b64 s[2:3], s[0:1], 0x20
	s_load_b32 s0, s[0:1], 0x44
	s_ashr_i32 s1, s15, 31
	s_waitcnt lgkmcnt(0)
	v_mul_f32_e32 v2, s4, v2
	s_mul_i32 s3, s15, s3
	s_mul_hi_u32 s4, s15, s2
	s_mul_i32 s5, s1, s2
	s_add_i32 s3, s4, s3
	s_mul_i32 s1, s15, s2
	s_and_b32 s2, s0, 0xffff
	s_add_i32 s3, s3, s5
	s_mov_b32 s4, 0
	.p2align	6
.LBB304_24:                             ; =>This Inner Loop Header: Depth=1
	v_ashrrev_i32_e32 v4, 31, v0
	v_add_co_u32 v3, vcc_lo, s1, v0
	v_add_nc_u32_e32 v0, s2, v0
	s_delay_alu instid0(VALU_DEP_3) | instskip(NEXT) | instid1(VALU_DEP_2)
	v_add_co_ci_u32_e32 v4, vcc_lo, s3, v4, vcc_lo
	v_cmp_le_i32_e32 vcc_lo, s13, v0
	s_delay_alu instid0(VALU_DEP_2) | instskip(SKIP_1) | instid1(VALU_DEP_1)
	v_lshlrev_b64 v[3:4], 2, v[3:4]
	s_or_b32 s4, vcc_lo, s4
	v_add_co_u32 v5, s0, s8, v3
	s_delay_alu instid0(VALU_DEP_1) | instskip(SKIP_1) | instid1(VALU_DEP_1)
	v_add_co_ci_u32_e64 v6, s0, s9, v4, s0
	v_add_co_u32 v3, s0, s10, v3
	v_add_co_ci_u32_e64 v4, s0, s11, v4, s0
	global_store_b32 v[5:6], v2, off
	global_store_b32 v[3:4], v1, off
	s_and_not1_b32 exec_lo, exec_lo, s4
	s_cbranch_execnz .LBB304_24
.LBB304_25:
	s_nop 0
	s_sendmsg sendmsg(MSG_DEALLOC_VGPRS)
	s_endpgm
	.section	.rodata,"a",@progbits
	.p2align	6, 0x0
	.amdhsa_kernel _ZN5aiter20topk_softplus_kernelI12hip_bfloat16S1_Dv2_fLb0ELi0EEEvPKT_PKT0_PfPimiiif
		.amdhsa_group_segment_fixed_size 0
		.amdhsa_private_segment_fixed_size 0
		.amdhsa_kernarg_size 312
		.amdhsa_user_sgpr_count 15
		.amdhsa_user_sgpr_dispatch_ptr 0
		.amdhsa_user_sgpr_queue_ptr 0
		.amdhsa_user_sgpr_kernarg_segment_ptr 1
		.amdhsa_user_sgpr_dispatch_id 0
		.amdhsa_user_sgpr_private_segment_size 0
		.amdhsa_wavefront_size32 1
		.amdhsa_uses_dynamic_stack 0
		.amdhsa_enable_private_segment 0
		.amdhsa_system_sgpr_workgroup_id_x 1
		.amdhsa_system_sgpr_workgroup_id_y 0
		.amdhsa_system_sgpr_workgroup_id_z 0
		.amdhsa_system_sgpr_workgroup_info 0
		.amdhsa_system_vgpr_workitem_id 0
		.amdhsa_next_free_vgpr 14
		.amdhsa_next_free_sgpr 23
		.amdhsa_reserve_vcc 1
		.amdhsa_float_round_mode_32 0
		.amdhsa_float_round_mode_16_64 0
		.amdhsa_float_denorm_mode_32 3
		.amdhsa_float_denorm_mode_16_64 3
		.amdhsa_dx10_clamp 1
		.amdhsa_ieee_mode 1
		.amdhsa_fp16_overflow 0
		.amdhsa_workgroup_processor_mode 1
		.amdhsa_memory_ordered 1
		.amdhsa_forward_progress 0
		.amdhsa_shared_vgpr_count 0
		.amdhsa_exception_fp_ieee_invalid_op 0
		.amdhsa_exception_fp_denorm_src 0
		.amdhsa_exception_fp_ieee_div_zero 0
		.amdhsa_exception_fp_ieee_overflow 0
		.amdhsa_exception_fp_ieee_underflow 0
		.amdhsa_exception_fp_ieee_inexact 0
		.amdhsa_exception_int_div_zero 0
	.end_amdhsa_kernel
	.section	.text._ZN5aiter20topk_softplus_kernelI12hip_bfloat16S1_Dv2_fLb0ELi0EEEvPKT_PKT0_PfPimiiif,"axG",@progbits,_ZN5aiter20topk_softplus_kernelI12hip_bfloat16S1_Dv2_fLb0ELi0EEEvPKT_PKT0_PfPimiiif,comdat
.Lfunc_end304:
	.size	_ZN5aiter20topk_softplus_kernelI12hip_bfloat16S1_Dv2_fLb0ELi0EEEvPKT_PKT0_PfPimiiif, .Lfunc_end304-_ZN5aiter20topk_softplus_kernelI12hip_bfloat16S1_Dv2_fLb0ELi0EEEvPKT_PKT0_PfPimiiif
                                        ; -- End function
	.section	.AMDGPU.csdata,"",@progbits
; Kernel info:
; codeLenInByte = 2140
; NumSgprs: 25
; NumVgprs: 14
; ScratchSize: 0
; MemoryBound: 0
; FloatMode: 240
; IeeeMode: 1
; LDSByteSize: 0 bytes/workgroup (compile time only)
; SGPRBlocks: 3
; VGPRBlocks: 1
; NumSGPRsForWavesPerEU: 25
; NumVGPRsForWavesPerEU: 14
; Occupancy: 16
; WaveLimiterHint : 0
; COMPUTE_PGM_RSRC2:SCRATCH_EN: 0
; COMPUTE_PGM_RSRC2:USER_SGPR: 15
; COMPUTE_PGM_RSRC2:TRAP_HANDLER: 0
; COMPUTE_PGM_RSRC2:TGID_X_EN: 1
; COMPUTE_PGM_RSRC2:TGID_Y_EN: 0
; COMPUTE_PGM_RSRC2:TGID_Z_EN: 0
; COMPUTE_PGM_RSRC2:TIDIG_COMP_CNT: 0
	.section	.text._ZN5aiter20topk_softplus_kernelI12hip_bfloat16S1_Dv1_fLb1ELi0EEEvPKT_PKT0_PfPimiiif,"axG",@progbits,_ZN5aiter20topk_softplus_kernelI12hip_bfloat16S1_Dv1_fLb1ELi0EEEvPKT_PKT0_PfPimiiif,comdat
	.protected	_ZN5aiter20topk_softplus_kernelI12hip_bfloat16S1_Dv1_fLb1ELi0EEEvPKT_PKT0_PfPimiiif ; -- Begin function _ZN5aiter20topk_softplus_kernelI12hip_bfloat16S1_Dv1_fLb1ELi0EEEvPKT_PKT0_PfPimiiif
	.globl	_ZN5aiter20topk_softplus_kernelI12hip_bfloat16S1_Dv1_fLb1ELi0EEEvPKT_PKT0_PfPimiiif
	.p2align	8
	.type	_ZN5aiter20topk_softplus_kernelI12hip_bfloat16S1_Dv1_fLb1ELi0EEEvPKT_PKT0_PfPimiiif,@function
_ZN5aiter20topk_softplus_kernelI12hip_bfloat16S1_Dv1_fLb1ELi0EEEvPKT_PKT0_PfPimiiif: ; @_ZN5aiter20topk_softplus_kernelI12hip_bfloat16S1_Dv1_fLb1ELi0EEEvPKT_PKT0_PfPimiiif
; %bb.0:
	s_clause 0x1
	s_load_b64 s[12:13], s[0:1], 0x28
	s_load_b256 s[4:11], s[0:1], 0x0
	v_lshl_add_u32 v4, v0, 2, 0
	s_waitcnt lgkmcnt(0)
	s_mul_i32 s16, s15, s12
	v_cmp_gt_i32_e64 s2, s12, v0
	s_ashr_i32 s17, s16, 31
	s_delay_alu instid0(SALU_CYCLE_1) | instskip(NEXT) | instid1(SALU_CYCLE_1)
	s_lshl_b64 s[16:17], s[16:17], 1
	s_add_u32 s4, s4, s16
	s_addc_u32 s5, s5, s17
	s_and_saveexec_b32 s14, s2
	s_cbranch_execz .LBB305_5
; %bb.1:
	s_load_b32 s3, s[0:1], 0x44
	s_cmp_lg_u64 s[6:7], 0
	v_lshl_add_u32 v5, v0, 2, 0
	v_mov_b32_e32 v1, v0
	s_cselect_b32 s16, -1, 0
	s_mov_b32 s18, 0
	s_waitcnt lgkmcnt(0)
	s_and_b32 s17, s3, 0xffff
	s_delay_alu instid0(SALU_CYCLE_1)
	s_lshl_b32 s19, s17, 2
	s_branch .LBB305_3
.LBB305_2:                              ;   in Loop: Header=BB305_3 Depth=1
	v_add_nc_u32_e32 v1, s17, v1
	ds_store_b32 v5, v6
	v_add_nc_u32_e32 v5, s19, v5
	v_cmp_le_i32_e32 vcc_lo, s12, v1
	s_or_b32 s18, vcc_lo, s18
	s_delay_alu instid0(SALU_CYCLE_1)
	s_and_not1_b32 exec_lo, exec_lo, s18
	s_cbranch_execz .LBB305_5
.LBB305_3:                              ; =>This Inner Loop Header: Depth=1
	v_ashrrev_i32_e32 v2, 31, v1
	s_delay_alu instid0(VALU_DEP_1) | instskip(NEXT) | instid1(VALU_DEP_1)
	v_lshlrev_b64 v[2:3], 1, v[1:2]
	v_add_co_u32 v6, vcc_lo, s4, v2
	s_delay_alu instid0(VALU_DEP_2) | instskip(SKIP_3) | instid1(VALU_DEP_1)
	v_add_co_ci_u32_e32 v7, vcc_lo, s5, v3, vcc_lo
	global_load_u16 v6, v[6:7], off
	s_waitcnt vmcnt(0)
	v_cvt_f32_u32_e32 v7, v6
	v_mul_f32_e32 v8, 0x3fb8aa3b, v7
	s_delay_alu instid0(VALU_DEP_1) | instskip(SKIP_2) | instid1(VALU_DEP_2)
	v_cmp_gt_f32_e32 vcc_lo, 0xc2fc0000, v8
	v_cndmask_b32_e64 v8, 0, 0x42800000, vcc_lo
	v_cndmask_b32_e64 v9, 1.0, 0x1f800000, vcc_lo
	v_fmac_f32_e32 v8, 0x3fb8aa3b, v7
	s_delay_alu instid0(VALU_DEP_1) | instskip(SKIP_2) | instid1(VALU_DEP_1)
	v_exp_f32_e32 v8, v8
	s_waitcnt_depctr 0xfff
	v_fma_f32 v8, v8, v9, 1.0
	v_cmp_gt_f32_e32 vcc_lo, 0x800000, v8
	v_cndmask_b32_e64 v9, 1.0, 0x4f800000, vcc_lo
	s_delay_alu instid0(VALU_DEP_1) | instskip(SKIP_2) | instid1(VALU_DEP_3)
	v_mul_f32_e32 v8, v8, v9
	v_cndmask_b32_e64 v9, 0, 0x42000000, vcc_lo
	v_cmp_lt_u32_e32 vcc_lo, 20, v6
	v_log_f32_e32 v8, v8
	s_waitcnt_depctr 0xfff
	v_sub_f32_e32 v8, v8, v9
	s_delay_alu instid0(VALU_DEP_1) | instskip(NEXT) | instid1(VALU_DEP_1)
	v_mul_f32_e32 v8, 0x3f317218, v8
	v_cndmask_b32_e32 v6, v8, v7, vcc_lo
	s_delay_alu instid0(VALU_DEP_1) | instskip(SKIP_1) | instid1(VALU_DEP_2)
	v_mul_f32_e32 v7, 0x4f800000, v6
	v_cmp_gt_f32_e32 vcc_lo, 0xf800000, v6
	v_cndmask_b32_e32 v6, v6, v7, vcc_lo
	s_delay_alu instid0(VALU_DEP_1) | instskip(SKIP_3) | instid1(VALU_DEP_2)
	v_sqrt_f32_e32 v7, v6
	s_waitcnt_depctr 0xfff
	v_add_nc_u32_e32 v8, -1, v7
	v_add_nc_u32_e32 v9, 1, v7
	v_fma_f32 v10, -v8, v7, v6
	s_delay_alu instid0(VALU_DEP_2) | instskip(NEXT) | instid1(VALU_DEP_2)
	v_fma_f32 v11, -v9, v7, v6
	v_cmp_ge_f32_e64 s3, 0, v10
	s_delay_alu instid0(VALU_DEP_1) | instskip(NEXT) | instid1(VALU_DEP_3)
	v_cndmask_b32_e64 v7, v7, v8, s3
	v_cmp_lt_f32_e64 s3, 0, v11
	s_delay_alu instid0(VALU_DEP_1) | instskip(NEXT) | instid1(VALU_DEP_1)
	v_cndmask_b32_e64 v7, v7, v9, s3
	v_mul_f32_e32 v8, 0x37800000, v7
	s_delay_alu instid0(VALU_DEP_1) | instskip(SKIP_1) | instid1(VALU_DEP_2)
	v_cndmask_b32_e32 v7, v7, v8, vcc_lo
	v_cmp_class_f32_e64 vcc_lo, v6, 0x260
	v_cndmask_b32_e32 v6, v7, v6, vcc_lo
	s_and_not1_b32 vcc_lo, exec_lo, s16
	s_cbranch_vccnz .LBB305_2
; %bb.4:                                ;   in Loop: Header=BB305_3 Depth=1
	v_add_co_u32 v2, vcc_lo, s6, v2
	v_add_co_ci_u32_e32 v3, vcc_lo, s7, v3, vcc_lo
	global_load_u16 v2, v[2:3], off
	s_waitcnt vmcnt(0)
	v_lshlrev_b32_e32 v2, 16, v2
	s_delay_alu instid0(VALU_DEP_1)
	v_add_f32_e32 v6, v6, v2
	s_branch .LBB305_2
.LBB305_5:
	s_or_b32 exec_lo, exec_lo, s14
	v_add_nc_u32_e32 v1, s12, v0
	s_mov_b32 s14, exec_lo
	s_delay_alu instid0(VALU_DEP_1)
	v_cmpx_gt_i32_e64 s12, v1
	s_cbranch_execz .LBB305_10
; %bb.6:
	s_load_b32 s3, s[0:1], 0x44
	s_cmp_lg_u64 s[6:7], 0
	v_lshl_add_u32 v5, v1, 2, 0
	s_cselect_b32 s16, -1, 0
	s_mov_b32 s18, 0
	s_waitcnt lgkmcnt(0)
	s_and_b32 s17, s3, 0xffff
	s_delay_alu instid0(SALU_CYCLE_1)
	s_lshl_b32 s19, s17, 2
	s_branch .LBB305_8
.LBB305_7:                              ;   in Loop: Header=BB305_8 Depth=1
	v_add_nc_u32_e32 v1, s17, v1
	v_add_nc_u32_e32 v5, s19, v5
	s_delay_alu instid0(VALU_DEP_2) | instskip(SKIP_1) | instid1(SALU_CYCLE_1)
	v_cmp_le_i32_e32 vcc_lo, s12, v1
	s_or_b32 s18, vcc_lo, s18
	s_and_not1_b32 exec_lo, exec_lo, s18
	s_cbranch_execz .LBB305_10
.LBB305_8:                              ; =>This Inner Loop Header: Depth=1
	v_ashrrev_i32_e32 v2, 31, v1
	s_delay_alu instid0(VALU_DEP_1) | instskip(NEXT) | instid1(VALU_DEP_1)
	v_lshlrev_b64 v[2:3], 1, v[1:2]
	v_add_co_u32 v6, vcc_lo, s4, v2
	s_delay_alu instid0(VALU_DEP_2) | instskip(SKIP_3) | instid1(VALU_DEP_1)
	v_add_co_ci_u32_e32 v7, vcc_lo, s5, v3, vcc_lo
	global_load_u16 v6, v[6:7], off
	s_waitcnt vmcnt(0)
	v_lshlrev_b32_e32 v6, 16, v6
	v_mul_f32_e32 v7, 0x3fb8aa3b, v6
	s_delay_alu instid0(VALU_DEP_1) | instskip(SKIP_2) | instid1(VALU_DEP_2)
	v_cmp_gt_f32_e32 vcc_lo, 0xc2fc0000, v7
	v_cndmask_b32_e64 v7, 0, 0x42800000, vcc_lo
	v_cndmask_b32_e64 v8, 1.0, 0x1f800000, vcc_lo
	v_fmac_f32_e32 v7, 0x3fb8aa3b, v6
	s_delay_alu instid0(VALU_DEP_1) | instskip(SKIP_2) | instid1(VALU_DEP_1)
	v_exp_f32_e32 v7, v7
	s_waitcnt_depctr 0xfff
	v_fma_f32 v7, v7, v8, 1.0
	v_cmp_gt_f32_e32 vcc_lo, 0x800000, v7
	v_cndmask_b32_e64 v8, 1.0, 0x4f800000, vcc_lo
	s_delay_alu instid0(VALU_DEP_1) | instskip(SKIP_2) | instid1(VALU_DEP_3)
	v_mul_f32_e32 v7, v7, v8
	v_cndmask_b32_e64 v8, 0, 0x42000000, vcc_lo
	v_cmp_lt_f32_e32 vcc_lo, 0x41a00000, v6
	v_log_f32_e32 v7, v7
	s_waitcnt_depctr 0xfff
	v_sub_f32_e32 v7, v7, v8
	s_delay_alu instid0(VALU_DEP_1) | instskip(NEXT) | instid1(VALU_DEP_1)
	v_mul_f32_e32 v7, 0x3f317218, v7
	v_cndmask_b32_e32 v6, v7, v6, vcc_lo
	s_delay_alu instid0(VALU_DEP_1) | instskip(SKIP_1) | instid1(VALU_DEP_2)
	v_mul_f32_e32 v7, 0x4f800000, v6
	v_cmp_gt_f32_e32 vcc_lo, 0xf800000, v6
	v_cndmask_b32_e32 v6, v6, v7, vcc_lo
	s_delay_alu instid0(VALU_DEP_1) | instskip(SKIP_3) | instid1(VALU_DEP_2)
	v_sqrt_f32_e32 v7, v6
	s_waitcnt_depctr 0xfff
	v_add_nc_u32_e32 v8, -1, v7
	v_add_nc_u32_e32 v9, 1, v7
	v_fma_f32 v10, -v8, v7, v6
	s_delay_alu instid0(VALU_DEP_2) | instskip(NEXT) | instid1(VALU_DEP_2)
	v_fma_f32 v11, -v9, v7, v6
	v_cmp_ge_f32_e64 s3, 0, v10
	s_delay_alu instid0(VALU_DEP_1) | instskip(NEXT) | instid1(VALU_DEP_3)
	v_cndmask_b32_e64 v7, v7, v8, s3
	v_cmp_lt_f32_e64 s3, 0, v11
	s_delay_alu instid0(VALU_DEP_1) | instskip(NEXT) | instid1(VALU_DEP_1)
	v_cndmask_b32_e64 v7, v7, v9, s3
	v_mul_f32_e32 v8, 0x37800000, v7
	s_delay_alu instid0(VALU_DEP_1) | instskip(SKIP_1) | instid1(VALU_DEP_2)
	v_cndmask_b32_e32 v7, v7, v8, vcc_lo
	v_cmp_class_f32_e64 vcc_lo, v6, 0x260
	v_cndmask_b32_e32 v6, v7, v6, vcc_lo
	s_and_not1_b32 vcc_lo, exec_lo, s16
	ds_store_b32 v5, v6
	s_cbranch_vccnz .LBB305_7
; %bb.9:                                ;   in Loop: Header=BB305_8 Depth=1
	v_add_co_u32 v2, vcc_lo, s6, v2
	v_add_co_ci_u32_e32 v3, vcc_lo, s7, v3, vcc_lo
	global_load_u16 v2, v[2:3], off
	s_waitcnt vmcnt(0)
	v_lshlrev_b32_e32 v2, 16, v2
	s_delay_alu instid0(VALU_DEP_1)
	v_add_f32_e32 v2, v6, v2
	ds_store_b32 v5, v2
	s_branch .LBB305_7
.LBB305_10:
	s_or_b32 exec_lo, exec_lo, s14
	v_mov_b32_e32 v2, 0
	s_cmp_lt_i32 s13, 1
	s_waitcnt lgkmcnt(0)
	s_barrier
	buffer_gl0_inv
	s_cbranch_scc1 .LBB305_19
; %bb.11:
	s_add_u32 s4, s0, 56
	s_addc_u32 s5, s1, 0
	v_dual_mov_b32 v2, 0 :: v_dual_mov_b32 v5, 0
	v_dual_mov_b32 v6, 0xff800000 :: v_dual_mov_b32 v1, 0
	v_mov_b32_e32 v3, 0
	s_cmp_lg_u64 s[6:7], 0
	s_mov_b32 s14, 0
	s_cselect_b32 s3, -1, 0
	s_mov_b32 s18, 0x76543210
	s_branch .LBB305_13
.LBB305_12:                             ;   in Loop: Header=BB305_13 Depth=1
	v_cmp_eq_u32_e32 vcc_lo, s14, v0
	s_delay_alu instid0(VALU_DEP_2) | instskip(NEXT) | instid1(VALU_DEP_2)
	s_lshl_b32 s17, s16, 2
	v_add_f32_e32 v3, v3, v9
	s_add_i32 s17, s17, 0
	s_add_i32 s14, s14, 1
	v_cndmask_b32_e64 v1, v1, s16, vcc_lo
	v_dual_mov_b32 v7, s17 :: v_dual_cndmask_b32 v2, v2, v9
	s_cmp_eq_u32 s14, s13
	ds_store_b32 v7, v6
	s_cbranch_scc1 .LBB305_20
.LBB305_13:                             ; =>This Loop Header: Depth=1
                                        ;     Child Loop BB305_15 Depth 2
	v_dual_mov_b32 v7, s14 :: v_dual_mov_b32 v8, 0xff800000
	s_and_saveexec_b32 s16, s2
	s_cbranch_execz .LBB305_17
; %bb.14:                               ;   in Loop: Header=BB305_13 Depth=1
	s_load_b32 s17, s[4:5], 0xc
	v_dual_mov_b32 v7, s14 :: v_dual_mov_b32 v8, 0xff800000
	v_mov_b32_e32 v9, v4
	v_mov_b32_e32 v10, v0
	s_mov_b32 s19, 0
	s_waitcnt lgkmcnt(0)
	s_and_b32 s17, s17, 0xffff
	s_delay_alu instid0(SALU_CYCLE_1)
	s_lshl_b32 s20, s17, 2
.LBB305_15:                             ;   Parent Loop BB305_13 Depth=1
                                        ; =>  This Inner Loop Header: Depth=2
	ds_load_b32 v11, v9
	v_add_nc_u32_e32 v9, s20, v9
	s_waitcnt lgkmcnt(0)
	v_cmp_gt_f32_e32 vcc_lo, v11, v8
	v_dual_cndmask_b32 v8, v8, v11 :: v_dual_cndmask_b32 v7, v7, v10
	v_add_nc_u32_e32 v10, s17, v10
	s_delay_alu instid0(VALU_DEP_1) | instskip(SKIP_1) | instid1(SALU_CYCLE_1)
	v_cmp_le_i32_e32 vcc_lo, s12, v10
	s_or_b32 s19, vcc_lo, s19
	s_and_not1_b32 exec_lo, exec_lo, s19
	s_cbranch_execnz .LBB305_15
; %bb.16:                               ;   in Loop: Header=BB305_13 Depth=1
	s_or_b32 exec_lo, exec_lo, s19
.LBB305_17:                             ;   in Loop: Header=BB305_13 Depth=1
	s_delay_alu instid0(SALU_CYCLE_1)
	s_or_b32 exec_lo, exec_lo, s16
	;;#ASMSTART
	v_max_f32 v9, v8, v8 quad_perm:[1,0,3,2] row_mask:0xf bank_mask:0xf bound_ctrl:1
	;;#ASMEND
	;;#ASMSTART
	v_max_f32 v10, v9, v9 quad_perm:[2,3,0,1] row_mask:0xf bank_mask:0xf bound_ctrl:1
	;;#ASMEND
	;;#ASMSTART
	v_max_f32 v9, v10, v10 row_half_mirror row_mask:0xf bank_mask:0xf bound_ctrl:1
	;;#ASMEND
	;;#ASMSTART
	v_max_f32 v10, v9, v9 row_mirror row_mask:0xf bank_mask:0xf bound_ctrl:1
	;;#ASMEND
	v_permlanex16_b32 v9, v10, s18, 0xfedcba98 op_sel:[1,1]
	s_delay_alu instid0(VALU_DEP_1) | instskip(NEXT) | instid1(VALU_DEP_1)
	v_dual_max_f32 v10, v10, v10 :: v_dual_max_f32 v9, v9, v9
	v_max_f32_e32 v9, v10, v9
	s_delay_alu instid0(VALU_DEP_1)
	v_cmp_eq_f32_e32 vcc_lo, v8, v9
	s_ctz_i32_b32 s16, vcc_lo
	s_cmp_lg_u32 vcc_lo, 0
	s_cselect_b32 s16, s16, 0
	s_and_b32 vcc_lo, exec_lo, s3
	v_readlane_b32 s16, v7, s16
	s_cbranch_vccz .LBB305_12
; %bb.18:                               ;   in Loop: Header=BB305_13 Depth=1
	s_delay_alu instid0(VALU_DEP_1) | instskip(NEXT) | instid1(SALU_CYCLE_1)
	s_ashr_i32 s17, s16, 31
	s_lshl_b64 s[20:21], s[16:17], 1
	s_delay_alu instid0(SALU_CYCLE_1) | instskip(SKIP_4) | instid1(VALU_DEP_1)
	s_add_u32 s20, s6, s20
	s_addc_u32 s21, s7, s21
	global_load_u16 v7, v5, s[20:21]
	s_waitcnt vmcnt(0)
	v_lshlrev_b32_e32 v7, 16, v7
	v_sub_f32_e32 v9, v9, v7
	s_branch .LBB305_12
.LBB305_19:
	v_mov_b32_e32 v1, 0
	v_mov_b32_e32 v3, 0
.LBB305_20:
	s_mov_b32 s2, exec_lo
	v_cmpx_gt_i32_e64 s13, v0
	s_cbranch_execz .LBB305_23
; %bb.21:
	s_clause 0x1
	s_load_b32 s2, s[0:1], 0x34
	s_load_b32 s3, s[0:1], 0x44
	v_max_f32_e32 v3, v3, v3
	s_load_b64 s[0:1], s[0:1], 0x20
	s_ashr_i32 s4, s15, 31
	s_delay_alu instid0(VALU_DEP_1) | instskip(SKIP_1) | instid1(VALU_DEP_1)
	v_max_f32_e32 v3, 0x1e3ce508, v3
	s_waitcnt lgkmcnt(0)
	v_div_scale_f32 v4, null, v3, v3, s2
	v_div_scale_f32 v7, vcc_lo, s2, v3, s2
	s_mul_i32 s1, s15, s1
	s_delay_alu instid0(VALU_DEP_2) | instskip(SKIP_4) | instid1(VALU_DEP_1)
	v_rcp_f32_e32 v5, v4
	s_mul_i32 s4, s4, s0
	s_and_b32 s3, s3, 0xffff
	s_waitcnt_depctr 0xfff
	v_fma_f32 v6, -v4, v5, 1.0
	v_fmac_f32_e32 v5, v6, v5
	s_delay_alu instid0(VALU_DEP_1) | instskip(NEXT) | instid1(VALU_DEP_1)
	v_mul_f32_e32 v6, v7, v5
	v_fma_f32 v8, -v4, v6, v7
	s_delay_alu instid0(VALU_DEP_1) | instskip(NEXT) | instid1(VALU_DEP_1)
	v_fmac_f32_e32 v6, v8, v5
	v_fma_f32 v4, -v4, v6, v7
	s_delay_alu instid0(VALU_DEP_1) | instskip(NEXT) | instid1(VALU_DEP_1)
	v_div_fmas_f32 v4, v4, v5, v6
	v_div_fixup_f32 v3, v4, v3, s2
	s_mul_hi_u32 s2, s15, s0
	s_delay_alu instid0(SALU_CYCLE_1) | instskip(SKIP_1) | instid1(VALU_DEP_1)
	s_add_i32 s1, s2, s1
	s_mul_i32 s2, s15, s0
	v_mul_f32_e32 v2, v2, v3
	s_add_i32 s1, s1, s4
	s_mov_b32 s4, 0
	.p2align	6
.LBB305_22:                             ; =>This Inner Loop Header: Depth=1
	v_ashrrev_i32_e32 v4, 31, v0
	v_add_co_u32 v3, vcc_lo, s2, v0
	v_add_nc_u32_e32 v0, s3, v0
	s_delay_alu instid0(VALU_DEP_3) | instskip(NEXT) | instid1(VALU_DEP_2)
	v_add_co_ci_u32_e32 v4, vcc_lo, s1, v4, vcc_lo
	v_cmp_le_i32_e32 vcc_lo, s13, v0
	s_delay_alu instid0(VALU_DEP_2) | instskip(SKIP_1) | instid1(VALU_DEP_1)
	v_lshlrev_b64 v[3:4], 2, v[3:4]
	s_or_b32 s4, vcc_lo, s4
	v_add_co_u32 v5, s0, s8, v3
	s_delay_alu instid0(VALU_DEP_1) | instskip(SKIP_1) | instid1(VALU_DEP_1)
	v_add_co_ci_u32_e64 v6, s0, s9, v4, s0
	v_add_co_u32 v3, s0, s10, v3
	v_add_co_ci_u32_e64 v4, s0, s11, v4, s0
	global_store_b32 v[5:6], v2, off
	global_store_b32 v[3:4], v1, off
	s_and_not1_b32 exec_lo, exec_lo, s4
	s_cbranch_execnz .LBB305_22
.LBB305_23:
	s_nop 0
	s_sendmsg sendmsg(MSG_DEALLOC_VGPRS)
	s_endpgm
	.section	.rodata,"a",@progbits
	.p2align	6, 0x0
	.amdhsa_kernel _ZN5aiter20topk_softplus_kernelI12hip_bfloat16S1_Dv1_fLb1ELi0EEEvPKT_PKT0_PfPimiiif
		.amdhsa_group_segment_fixed_size 0
		.amdhsa_private_segment_fixed_size 0
		.amdhsa_kernarg_size 312
		.amdhsa_user_sgpr_count 15
		.amdhsa_user_sgpr_dispatch_ptr 0
		.amdhsa_user_sgpr_queue_ptr 0
		.amdhsa_user_sgpr_kernarg_segment_ptr 1
		.amdhsa_user_sgpr_dispatch_id 0
		.amdhsa_user_sgpr_private_segment_size 0
		.amdhsa_wavefront_size32 1
		.amdhsa_uses_dynamic_stack 0
		.amdhsa_enable_private_segment 0
		.amdhsa_system_sgpr_workgroup_id_x 1
		.amdhsa_system_sgpr_workgroup_id_y 0
		.amdhsa_system_sgpr_workgroup_id_z 0
		.amdhsa_system_sgpr_workgroup_info 0
		.amdhsa_system_vgpr_workitem_id 0
		.amdhsa_next_free_vgpr 12
		.amdhsa_next_free_sgpr 22
		.amdhsa_reserve_vcc 1
		.amdhsa_float_round_mode_32 0
		.amdhsa_float_round_mode_16_64 0
		.amdhsa_float_denorm_mode_32 3
		.amdhsa_float_denorm_mode_16_64 3
		.amdhsa_dx10_clamp 1
		.amdhsa_ieee_mode 1
		.amdhsa_fp16_overflow 0
		.amdhsa_workgroup_processor_mode 1
		.amdhsa_memory_ordered 1
		.amdhsa_forward_progress 0
		.amdhsa_shared_vgpr_count 0
		.amdhsa_exception_fp_ieee_invalid_op 0
		.amdhsa_exception_fp_denorm_src 0
		.amdhsa_exception_fp_ieee_div_zero 0
		.amdhsa_exception_fp_ieee_overflow 0
		.amdhsa_exception_fp_ieee_underflow 0
		.amdhsa_exception_fp_ieee_inexact 0
		.amdhsa_exception_int_div_zero 0
	.end_amdhsa_kernel
	.section	.text._ZN5aiter20topk_softplus_kernelI12hip_bfloat16S1_Dv1_fLb1ELi0EEEvPKT_PKT0_PfPimiiif,"axG",@progbits,_ZN5aiter20topk_softplus_kernelI12hip_bfloat16S1_Dv1_fLb1ELi0EEEvPKT_PKT0_PfPimiiif,comdat
.Lfunc_end305:
	.size	_ZN5aiter20topk_softplus_kernelI12hip_bfloat16S1_Dv1_fLb1ELi0EEEvPKT_PKT0_PfPimiiif, .Lfunc_end305-_ZN5aiter20topk_softplus_kernelI12hip_bfloat16S1_Dv1_fLb1ELi0EEEvPKT_PKT0_PfPimiiif
                                        ; -- End function
	.section	.AMDGPU.csdata,"",@progbits
; Kernel info:
; codeLenInByte = 1844
; NumSgprs: 24
; NumVgprs: 12
; ScratchSize: 0
; MemoryBound: 0
; FloatMode: 240
; IeeeMode: 1
; LDSByteSize: 0 bytes/workgroup (compile time only)
; SGPRBlocks: 2
; VGPRBlocks: 1
; NumSGPRsForWavesPerEU: 24
; NumVGPRsForWavesPerEU: 12
; Occupancy: 16
; WaveLimiterHint : 0
; COMPUTE_PGM_RSRC2:SCRATCH_EN: 0
; COMPUTE_PGM_RSRC2:USER_SGPR: 15
; COMPUTE_PGM_RSRC2:TRAP_HANDLER: 0
; COMPUTE_PGM_RSRC2:TGID_X_EN: 1
; COMPUTE_PGM_RSRC2:TGID_Y_EN: 0
; COMPUTE_PGM_RSRC2:TGID_Z_EN: 0
; COMPUTE_PGM_RSRC2:TIDIG_COMP_CNT: 0
	.section	.text._ZN5aiter20topk_softplus_kernelI12hip_bfloat16S1_Dv1_fLb0ELi0EEEvPKT_PKT0_PfPimiiif,"axG",@progbits,_ZN5aiter20topk_softplus_kernelI12hip_bfloat16S1_Dv1_fLb0ELi0EEEvPKT_PKT0_PfPimiiif,comdat
	.protected	_ZN5aiter20topk_softplus_kernelI12hip_bfloat16S1_Dv1_fLb0ELi0EEEvPKT_PKT0_PfPimiiif ; -- Begin function _ZN5aiter20topk_softplus_kernelI12hip_bfloat16S1_Dv1_fLb0ELi0EEEvPKT_PKT0_PfPimiiif
	.globl	_ZN5aiter20topk_softplus_kernelI12hip_bfloat16S1_Dv1_fLb0ELi0EEEvPKT_PKT0_PfPimiiif
	.p2align	8
	.type	_ZN5aiter20topk_softplus_kernelI12hip_bfloat16S1_Dv1_fLb0ELi0EEEvPKT_PKT0_PfPimiiif,@function
_ZN5aiter20topk_softplus_kernelI12hip_bfloat16S1_Dv1_fLb0ELi0EEEvPKT_PKT0_PfPimiiif: ; @_ZN5aiter20topk_softplus_kernelI12hip_bfloat16S1_Dv1_fLb0ELi0EEEvPKT_PKT0_PfPimiiif
; %bb.0:
	s_clause 0x1
	s_load_b64 s[12:13], s[0:1], 0x28
	s_load_b256 s[4:11], s[0:1], 0x0
	v_lshl_add_u32 v4, v0, 2, 0
	s_waitcnt lgkmcnt(0)
	s_mul_i32 s16, s15, s12
	v_cmp_gt_i32_e64 s2, s12, v0
	s_ashr_i32 s17, s16, 31
	s_delay_alu instid0(SALU_CYCLE_1) | instskip(NEXT) | instid1(SALU_CYCLE_1)
	s_lshl_b64 s[16:17], s[16:17], 1
	s_add_u32 s4, s4, s16
	s_addc_u32 s5, s5, s17
	s_and_saveexec_b32 s14, s2
	s_cbranch_execz .LBB306_5
; %bb.1:
	s_load_b32 s3, s[0:1], 0x44
	s_cmp_lg_u64 s[6:7], 0
	v_lshl_add_u32 v5, v0, 2, 0
	v_mov_b32_e32 v1, v0
	s_cselect_b32 s16, -1, 0
	s_mov_b32 s18, 0
	s_waitcnt lgkmcnt(0)
	s_and_b32 s17, s3, 0xffff
	s_delay_alu instid0(SALU_CYCLE_1)
	s_lshl_b32 s19, s17, 2
	s_branch .LBB306_3
.LBB306_2:                              ;   in Loop: Header=BB306_3 Depth=1
	v_add_nc_u32_e32 v1, s17, v1
	ds_store_b32 v5, v6
	v_add_nc_u32_e32 v5, s19, v5
	v_cmp_le_i32_e32 vcc_lo, s12, v1
	s_or_b32 s18, vcc_lo, s18
	s_delay_alu instid0(SALU_CYCLE_1)
	s_and_not1_b32 exec_lo, exec_lo, s18
	s_cbranch_execz .LBB306_5
.LBB306_3:                              ; =>This Inner Loop Header: Depth=1
	v_ashrrev_i32_e32 v2, 31, v1
	s_delay_alu instid0(VALU_DEP_1) | instskip(NEXT) | instid1(VALU_DEP_1)
	v_lshlrev_b64 v[2:3], 1, v[1:2]
	v_add_co_u32 v6, vcc_lo, s4, v2
	s_delay_alu instid0(VALU_DEP_2) | instskip(SKIP_3) | instid1(VALU_DEP_1)
	v_add_co_ci_u32_e32 v7, vcc_lo, s5, v3, vcc_lo
	global_load_u16 v6, v[6:7], off
	s_waitcnt vmcnt(0)
	v_cvt_f32_u32_e32 v7, v6
	v_mul_f32_e32 v8, 0x3fb8aa3b, v7
	s_delay_alu instid0(VALU_DEP_1) | instskip(SKIP_2) | instid1(VALU_DEP_2)
	v_cmp_gt_f32_e32 vcc_lo, 0xc2fc0000, v8
	v_cndmask_b32_e64 v8, 0, 0x42800000, vcc_lo
	v_cndmask_b32_e64 v9, 1.0, 0x1f800000, vcc_lo
	v_fmac_f32_e32 v8, 0x3fb8aa3b, v7
	s_delay_alu instid0(VALU_DEP_1) | instskip(SKIP_2) | instid1(VALU_DEP_1)
	v_exp_f32_e32 v8, v8
	s_waitcnt_depctr 0xfff
	v_fma_f32 v8, v8, v9, 1.0
	v_cmp_gt_f32_e32 vcc_lo, 0x800000, v8
	v_cndmask_b32_e64 v9, 1.0, 0x4f800000, vcc_lo
	s_delay_alu instid0(VALU_DEP_1) | instskip(SKIP_2) | instid1(VALU_DEP_3)
	v_mul_f32_e32 v8, v8, v9
	v_cndmask_b32_e64 v9, 0, 0x42000000, vcc_lo
	v_cmp_lt_u32_e32 vcc_lo, 20, v6
	v_log_f32_e32 v8, v8
	s_waitcnt_depctr 0xfff
	v_sub_f32_e32 v8, v8, v9
	s_delay_alu instid0(VALU_DEP_1) | instskip(NEXT) | instid1(VALU_DEP_1)
	v_mul_f32_e32 v8, 0x3f317218, v8
	v_cndmask_b32_e32 v6, v8, v7, vcc_lo
	s_delay_alu instid0(VALU_DEP_1) | instskip(SKIP_1) | instid1(VALU_DEP_2)
	v_mul_f32_e32 v7, 0x4f800000, v6
	v_cmp_gt_f32_e32 vcc_lo, 0xf800000, v6
	v_cndmask_b32_e32 v6, v6, v7, vcc_lo
	s_delay_alu instid0(VALU_DEP_1) | instskip(SKIP_3) | instid1(VALU_DEP_2)
	v_sqrt_f32_e32 v7, v6
	s_waitcnt_depctr 0xfff
	v_add_nc_u32_e32 v8, -1, v7
	v_add_nc_u32_e32 v9, 1, v7
	v_fma_f32 v10, -v8, v7, v6
	s_delay_alu instid0(VALU_DEP_2) | instskip(NEXT) | instid1(VALU_DEP_2)
	v_fma_f32 v11, -v9, v7, v6
	v_cmp_ge_f32_e64 s3, 0, v10
	s_delay_alu instid0(VALU_DEP_1) | instskip(NEXT) | instid1(VALU_DEP_3)
	v_cndmask_b32_e64 v7, v7, v8, s3
	v_cmp_lt_f32_e64 s3, 0, v11
	s_delay_alu instid0(VALU_DEP_1) | instskip(NEXT) | instid1(VALU_DEP_1)
	v_cndmask_b32_e64 v7, v7, v9, s3
	v_mul_f32_e32 v8, 0x37800000, v7
	s_delay_alu instid0(VALU_DEP_1) | instskip(SKIP_1) | instid1(VALU_DEP_2)
	v_cndmask_b32_e32 v7, v7, v8, vcc_lo
	v_cmp_class_f32_e64 vcc_lo, v6, 0x260
	v_cndmask_b32_e32 v6, v7, v6, vcc_lo
	s_and_not1_b32 vcc_lo, exec_lo, s16
	s_cbranch_vccnz .LBB306_2
; %bb.4:                                ;   in Loop: Header=BB306_3 Depth=1
	v_add_co_u32 v2, vcc_lo, s6, v2
	v_add_co_ci_u32_e32 v3, vcc_lo, s7, v3, vcc_lo
	global_load_u16 v2, v[2:3], off
	s_waitcnt vmcnt(0)
	v_lshlrev_b32_e32 v2, 16, v2
	s_delay_alu instid0(VALU_DEP_1)
	v_add_f32_e32 v6, v6, v2
	s_branch .LBB306_2
.LBB306_5:
	s_or_b32 exec_lo, exec_lo, s14
	v_add_nc_u32_e32 v1, s12, v0
	s_mov_b32 s14, exec_lo
	s_delay_alu instid0(VALU_DEP_1)
	v_cmpx_gt_i32_e64 s12, v1
	s_cbranch_execz .LBB306_10
; %bb.6:
	s_load_b32 s3, s[0:1], 0x44
	s_cmp_lg_u64 s[6:7], 0
	v_lshl_add_u32 v5, v1, 2, 0
	s_cselect_b32 s16, -1, 0
	s_mov_b32 s18, 0
	s_waitcnt lgkmcnt(0)
	s_and_b32 s17, s3, 0xffff
	s_delay_alu instid0(SALU_CYCLE_1)
	s_lshl_b32 s19, s17, 2
	s_branch .LBB306_8
.LBB306_7:                              ;   in Loop: Header=BB306_8 Depth=1
	v_add_nc_u32_e32 v1, s17, v1
	v_add_nc_u32_e32 v5, s19, v5
	s_delay_alu instid0(VALU_DEP_2) | instskip(SKIP_1) | instid1(SALU_CYCLE_1)
	v_cmp_le_i32_e32 vcc_lo, s12, v1
	s_or_b32 s18, vcc_lo, s18
	s_and_not1_b32 exec_lo, exec_lo, s18
	s_cbranch_execz .LBB306_10
.LBB306_8:                              ; =>This Inner Loop Header: Depth=1
	v_ashrrev_i32_e32 v2, 31, v1
	s_delay_alu instid0(VALU_DEP_1) | instskip(NEXT) | instid1(VALU_DEP_1)
	v_lshlrev_b64 v[2:3], 1, v[1:2]
	v_add_co_u32 v6, vcc_lo, s4, v2
	s_delay_alu instid0(VALU_DEP_2) | instskip(SKIP_3) | instid1(VALU_DEP_1)
	v_add_co_ci_u32_e32 v7, vcc_lo, s5, v3, vcc_lo
	global_load_u16 v6, v[6:7], off
	s_waitcnt vmcnt(0)
	v_lshlrev_b32_e32 v6, 16, v6
	v_mul_f32_e32 v7, 0x3fb8aa3b, v6
	s_delay_alu instid0(VALU_DEP_1) | instskip(SKIP_2) | instid1(VALU_DEP_2)
	v_cmp_gt_f32_e32 vcc_lo, 0xc2fc0000, v7
	v_cndmask_b32_e64 v7, 0, 0x42800000, vcc_lo
	v_cndmask_b32_e64 v8, 1.0, 0x1f800000, vcc_lo
	v_fmac_f32_e32 v7, 0x3fb8aa3b, v6
	s_delay_alu instid0(VALU_DEP_1) | instskip(SKIP_2) | instid1(VALU_DEP_1)
	v_exp_f32_e32 v7, v7
	s_waitcnt_depctr 0xfff
	v_fma_f32 v7, v7, v8, 1.0
	v_cmp_gt_f32_e32 vcc_lo, 0x800000, v7
	v_cndmask_b32_e64 v8, 1.0, 0x4f800000, vcc_lo
	s_delay_alu instid0(VALU_DEP_1) | instskip(SKIP_2) | instid1(VALU_DEP_3)
	v_mul_f32_e32 v7, v7, v8
	v_cndmask_b32_e64 v8, 0, 0x42000000, vcc_lo
	v_cmp_lt_f32_e32 vcc_lo, 0x41a00000, v6
	v_log_f32_e32 v7, v7
	s_waitcnt_depctr 0xfff
	v_sub_f32_e32 v7, v7, v8
	s_delay_alu instid0(VALU_DEP_1) | instskip(NEXT) | instid1(VALU_DEP_1)
	v_mul_f32_e32 v7, 0x3f317218, v7
	v_cndmask_b32_e32 v6, v7, v6, vcc_lo
	s_delay_alu instid0(VALU_DEP_1) | instskip(SKIP_1) | instid1(VALU_DEP_2)
	v_mul_f32_e32 v7, 0x4f800000, v6
	v_cmp_gt_f32_e32 vcc_lo, 0xf800000, v6
	v_cndmask_b32_e32 v6, v6, v7, vcc_lo
	s_delay_alu instid0(VALU_DEP_1) | instskip(SKIP_3) | instid1(VALU_DEP_2)
	v_sqrt_f32_e32 v7, v6
	s_waitcnt_depctr 0xfff
	v_add_nc_u32_e32 v8, -1, v7
	v_add_nc_u32_e32 v9, 1, v7
	v_fma_f32 v10, -v8, v7, v6
	s_delay_alu instid0(VALU_DEP_2) | instskip(NEXT) | instid1(VALU_DEP_2)
	v_fma_f32 v11, -v9, v7, v6
	v_cmp_ge_f32_e64 s3, 0, v10
	s_delay_alu instid0(VALU_DEP_1) | instskip(NEXT) | instid1(VALU_DEP_3)
	v_cndmask_b32_e64 v7, v7, v8, s3
	v_cmp_lt_f32_e64 s3, 0, v11
	s_delay_alu instid0(VALU_DEP_1) | instskip(NEXT) | instid1(VALU_DEP_1)
	v_cndmask_b32_e64 v7, v7, v9, s3
	v_mul_f32_e32 v8, 0x37800000, v7
	s_delay_alu instid0(VALU_DEP_1) | instskip(SKIP_1) | instid1(VALU_DEP_2)
	v_cndmask_b32_e32 v7, v7, v8, vcc_lo
	v_cmp_class_f32_e64 vcc_lo, v6, 0x260
	v_cndmask_b32_e32 v6, v7, v6, vcc_lo
	s_and_not1_b32 vcc_lo, exec_lo, s16
	ds_store_b32 v5, v6
	s_cbranch_vccnz .LBB306_7
; %bb.9:                                ;   in Loop: Header=BB306_8 Depth=1
	v_add_co_u32 v2, vcc_lo, s6, v2
	v_add_co_ci_u32_e32 v3, vcc_lo, s7, v3, vcc_lo
	global_load_u16 v2, v[2:3], off
	s_waitcnt vmcnt(0)
	v_lshlrev_b32_e32 v2, 16, v2
	s_delay_alu instid0(VALU_DEP_1)
	v_add_f32_e32 v2, v6, v2
	ds_store_b32 v5, v2
	s_branch .LBB306_7
.LBB306_10:
	s_or_b32 exec_lo, exec_lo, s14
	s_cmp_lt_i32 s13, 1
	s_waitcnt lgkmcnt(0)
	s_barrier
	buffer_gl0_inv
	s_cbranch_scc1 .LBB306_19
; %bb.11:
	s_add_u32 s4, s0, 56
	s_addc_u32 s5, s1, 0
	v_dual_mov_b32 v3, 0 :: v_dual_mov_b32 v2, 0
	v_mov_b32_e32 v1, 0
	v_mov_b32_e32 v5, 0xff800000
	s_cmp_lg_u64 s[6:7], 0
	s_mov_b32 s14, 0
	s_cselect_b32 s3, -1, 0
	s_mov_b32 s18, 0x76543210
	s_branch .LBB306_13
.LBB306_12:                             ;   in Loop: Header=BB306_13 Depth=1
	v_cmp_eq_u32_e32 vcc_lo, s14, v0
	s_delay_alu instid0(VALU_DEP_2)
	s_lshl_b32 s17, s16, 2
	s_add_i32 s14, s14, 1
	s_add_i32 s17, s17, 0
	s_cmp_eq_u32 s14, s13
	v_cndmask_b32_e64 v1, v1, s16, vcc_lo
	v_mov_b32_e32 v6, s17
	v_cndmask_b32_e32 v2, v2, v8, vcc_lo
	ds_store_b32 v6, v5
	s_cbranch_scc1 .LBB306_20
.LBB306_13:                             ; =>This Loop Header: Depth=1
                                        ;     Child Loop BB306_15 Depth 2
	v_dual_mov_b32 v6, s14 :: v_dual_mov_b32 v7, 0xff800000
	s_and_saveexec_b32 s16, s2
	s_cbranch_execz .LBB306_17
; %bb.14:                               ;   in Loop: Header=BB306_13 Depth=1
	s_load_b32 s17, s[4:5], 0xc
	v_dual_mov_b32 v6, s14 :: v_dual_mov_b32 v7, 0xff800000
	v_mov_b32_e32 v8, v4
	v_mov_b32_e32 v9, v0
	s_mov_b32 s19, 0
	s_waitcnt lgkmcnt(0)
	s_and_b32 s17, s17, 0xffff
	s_delay_alu instid0(SALU_CYCLE_1)
	s_lshl_b32 s20, s17, 2
.LBB306_15:                             ;   Parent Loop BB306_13 Depth=1
                                        ; =>  This Inner Loop Header: Depth=2
	ds_load_b32 v10, v8
	v_add_nc_u32_e32 v8, s20, v8
	s_waitcnt lgkmcnt(0)
	v_cmp_gt_f32_e32 vcc_lo, v10, v7
	v_dual_cndmask_b32 v7, v7, v10 :: v_dual_cndmask_b32 v6, v6, v9
	v_add_nc_u32_e32 v9, s17, v9
	s_delay_alu instid0(VALU_DEP_1) | instskip(SKIP_1) | instid1(SALU_CYCLE_1)
	v_cmp_le_i32_e32 vcc_lo, s12, v9
	s_or_b32 s19, vcc_lo, s19
	s_and_not1_b32 exec_lo, exec_lo, s19
	s_cbranch_execnz .LBB306_15
; %bb.16:                               ;   in Loop: Header=BB306_13 Depth=1
	s_or_b32 exec_lo, exec_lo, s19
.LBB306_17:                             ;   in Loop: Header=BB306_13 Depth=1
	s_delay_alu instid0(SALU_CYCLE_1)
	s_or_b32 exec_lo, exec_lo, s16
	;;#ASMSTART
	v_max_f32 v8, v7, v7 quad_perm:[1,0,3,2] row_mask:0xf bank_mask:0xf bound_ctrl:1
	;;#ASMEND
	;;#ASMSTART
	v_max_f32 v9, v8, v8 quad_perm:[2,3,0,1] row_mask:0xf bank_mask:0xf bound_ctrl:1
	;;#ASMEND
	;;#ASMSTART
	v_max_f32 v8, v9, v9 row_half_mirror row_mask:0xf bank_mask:0xf bound_ctrl:1
	;;#ASMEND
	;;#ASMSTART
	v_max_f32 v9, v8, v8 row_mirror row_mask:0xf bank_mask:0xf bound_ctrl:1
	;;#ASMEND
	v_permlanex16_b32 v8, v9, s18, 0xfedcba98 op_sel:[1,1]
	s_delay_alu instid0(VALU_DEP_1) | instskip(NEXT) | instid1(VALU_DEP_1)
	v_dual_max_f32 v9, v9, v9 :: v_dual_max_f32 v8, v8, v8
	v_max_f32_e32 v8, v9, v8
	s_delay_alu instid0(VALU_DEP_1)
	v_cmp_eq_f32_e32 vcc_lo, v7, v8
	s_ctz_i32_b32 s16, vcc_lo
	s_cmp_lg_u32 vcc_lo, 0
	s_cselect_b32 s16, s16, 0
	s_and_b32 vcc_lo, exec_lo, s3
	v_readlane_b32 s16, v6, s16
	s_cbranch_vccz .LBB306_12
; %bb.18:                               ;   in Loop: Header=BB306_13 Depth=1
	s_delay_alu instid0(VALU_DEP_1) | instskip(NEXT) | instid1(SALU_CYCLE_1)
	s_ashr_i32 s17, s16, 31
	s_lshl_b64 s[20:21], s[16:17], 1
	s_delay_alu instid0(SALU_CYCLE_1) | instskip(SKIP_4) | instid1(VALU_DEP_1)
	s_add_u32 s20, s6, s20
	s_addc_u32 s21, s7, s21
	global_load_u16 v6, v3, s[20:21]
	s_waitcnt vmcnt(0)
	v_lshlrev_b32_e32 v6, 16, v6
	v_sub_f32_e32 v8, v8, v6
	s_branch .LBB306_12
.LBB306_19:
	v_dual_mov_b32 v2, 0 :: v_dual_mov_b32 v1, 0
.LBB306_20:
	s_mov_b32 s2, exec_lo
	v_cmpx_gt_i32_e64 s13, v0
	s_cbranch_execz .LBB306_23
; %bb.21:
	s_clause 0x2
	s_load_b32 s4, s[0:1], 0x34
	s_load_b64 s[2:3], s[0:1], 0x20
	s_load_b32 s0, s[0:1], 0x44
	s_ashr_i32 s1, s15, 31
	s_waitcnt lgkmcnt(0)
	v_mul_f32_e32 v2, s4, v2
	s_mul_i32 s3, s15, s3
	s_mul_hi_u32 s4, s15, s2
	s_mul_i32 s5, s1, s2
	s_add_i32 s3, s4, s3
	s_mul_i32 s1, s15, s2
	s_and_b32 s2, s0, 0xffff
	s_add_i32 s3, s3, s5
	s_mov_b32 s4, 0
	.p2align	6
.LBB306_22:                             ; =>This Inner Loop Header: Depth=1
	v_ashrrev_i32_e32 v4, 31, v0
	v_add_co_u32 v3, vcc_lo, s1, v0
	v_add_nc_u32_e32 v0, s2, v0
	s_delay_alu instid0(VALU_DEP_3) | instskip(NEXT) | instid1(VALU_DEP_2)
	v_add_co_ci_u32_e32 v4, vcc_lo, s3, v4, vcc_lo
	v_cmp_le_i32_e32 vcc_lo, s13, v0
	s_delay_alu instid0(VALU_DEP_2) | instskip(SKIP_1) | instid1(VALU_DEP_1)
	v_lshlrev_b64 v[3:4], 2, v[3:4]
	s_or_b32 s4, vcc_lo, s4
	v_add_co_u32 v5, s0, s8, v3
	s_delay_alu instid0(VALU_DEP_1) | instskip(SKIP_1) | instid1(VALU_DEP_1)
	v_add_co_ci_u32_e64 v6, s0, s9, v4, s0
	v_add_co_u32 v3, s0, s10, v3
	v_add_co_ci_u32_e64 v4, s0, s11, v4, s0
	global_store_b32 v[5:6], v2, off
	global_store_b32 v[3:4], v1, off
	s_and_not1_b32 exec_lo, exec_lo, s4
	s_cbranch_execnz .LBB306_22
.LBB306_23:
	s_nop 0
	s_sendmsg sendmsg(MSG_DEALLOC_VGPRS)
	s_endpgm
	.section	.rodata,"a",@progbits
	.p2align	6, 0x0
	.amdhsa_kernel _ZN5aiter20topk_softplus_kernelI12hip_bfloat16S1_Dv1_fLb0ELi0EEEvPKT_PKT0_PfPimiiif
		.amdhsa_group_segment_fixed_size 0
		.amdhsa_private_segment_fixed_size 0
		.amdhsa_kernarg_size 312
		.amdhsa_user_sgpr_count 15
		.amdhsa_user_sgpr_dispatch_ptr 0
		.amdhsa_user_sgpr_queue_ptr 0
		.amdhsa_user_sgpr_kernarg_segment_ptr 1
		.amdhsa_user_sgpr_dispatch_id 0
		.amdhsa_user_sgpr_private_segment_size 0
		.amdhsa_wavefront_size32 1
		.amdhsa_uses_dynamic_stack 0
		.amdhsa_enable_private_segment 0
		.amdhsa_system_sgpr_workgroup_id_x 1
		.amdhsa_system_sgpr_workgroup_id_y 0
		.amdhsa_system_sgpr_workgroup_id_z 0
		.amdhsa_system_sgpr_workgroup_info 0
		.amdhsa_system_vgpr_workitem_id 0
		.amdhsa_next_free_vgpr 12
		.amdhsa_next_free_sgpr 22
		.amdhsa_reserve_vcc 1
		.amdhsa_float_round_mode_32 0
		.amdhsa_float_round_mode_16_64 0
		.amdhsa_float_denorm_mode_32 3
		.amdhsa_float_denorm_mode_16_64 3
		.amdhsa_dx10_clamp 1
		.amdhsa_ieee_mode 1
		.amdhsa_fp16_overflow 0
		.amdhsa_workgroup_processor_mode 1
		.amdhsa_memory_ordered 1
		.amdhsa_forward_progress 0
		.amdhsa_shared_vgpr_count 0
		.amdhsa_exception_fp_ieee_invalid_op 0
		.amdhsa_exception_fp_denorm_src 0
		.amdhsa_exception_fp_ieee_div_zero 0
		.amdhsa_exception_fp_ieee_overflow 0
		.amdhsa_exception_fp_ieee_underflow 0
		.amdhsa_exception_fp_ieee_inexact 0
		.amdhsa_exception_int_div_zero 0
	.end_amdhsa_kernel
	.section	.text._ZN5aiter20topk_softplus_kernelI12hip_bfloat16S1_Dv1_fLb0ELi0EEEvPKT_PKT0_PfPimiiif,"axG",@progbits,_ZN5aiter20topk_softplus_kernelI12hip_bfloat16S1_Dv1_fLb0ELi0EEEvPKT_PKT0_PfPimiiif,comdat
.Lfunc_end306:
	.size	_ZN5aiter20topk_softplus_kernelI12hip_bfloat16S1_Dv1_fLb0ELi0EEEvPKT_PKT0_PfPimiiif, .Lfunc_end306-_ZN5aiter20topk_softplus_kernelI12hip_bfloat16S1_Dv1_fLb0ELi0EEEvPKT_PKT0_PfPimiiif
                                        ; -- End function
	.section	.AMDGPU.csdata,"",@progbits
; Kernel info:
; codeLenInByte = 1720
; NumSgprs: 24
; NumVgprs: 12
; ScratchSize: 0
; MemoryBound: 0
; FloatMode: 240
; IeeeMode: 1
; LDSByteSize: 0 bytes/workgroup (compile time only)
; SGPRBlocks: 2
; VGPRBlocks: 1
; NumSGPRsForWavesPerEU: 24
; NumVGPRsForWavesPerEU: 12
; Occupancy: 16
; WaveLimiterHint : 0
; COMPUTE_PGM_RSRC2:SCRATCH_EN: 0
; COMPUTE_PGM_RSRC2:USER_SGPR: 15
; COMPUTE_PGM_RSRC2:TRAP_HANDLER: 0
; COMPUTE_PGM_RSRC2:TGID_X_EN: 1
; COMPUTE_PGM_RSRC2:TGID_Y_EN: 0
; COMPUTE_PGM_RSRC2:TGID_Z_EN: 0
; COMPUTE_PGM_RSRC2:TIDIG_COMP_CNT: 0
	.text
	.p2alignl 7, 3214868480
	.fill 96, 4, 3214868480
	.type	__hip_cuid_20e5463b67399f93,@object ; @__hip_cuid_20e5463b67399f93
	.section	.bss,"aw",@nobits
	.globl	__hip_cuid_20e5463b67399f93
__hip_cuid_20e5463b67399f93:
	.byte	0                               ; 0x0
	.size	__hip_cuid_20e5463b67399f93, 1

	.ident	"AMD clang version 19.0.0git (https://github.com/RadeonOpenCompute/llvm-project roc-6.4.0 25133 c7fe45cf4b819c5991fe208aaa96edf142730f1d)"
	.section	".note.GNU-stack","",@progbits
	.addrsig
	.addrsig_sym __hip_cuid_20e5463b67399f93
	.amdgpu_metadata
---
amdhsa.kernels:
  - .args:           []
    .group_segment_fixed_size: 0
    .kernarg_segment_align: 4
    .kernarg_segment_size: 0
    .language:       OpenCL C
    .language_version:
      - 2
      - 0
    .max_flat_workgroup_size: 1024
    .name:           _ZN7ck_tileL11flush_cacheEv
    .private_segment_fixed_size: 0
    .sgpr_count:     0
    .sgpr_spill_count: 0
    .symbol:         _ZN7ck_tileL11flush_cacheEv.kd
    .uniform_work_group_size: 1
    .uses_dynamic_stack: false
    .vgpr_count:     0
    .vgpr_spill_count: 0
    .wavefront_size: 32
    .workgroup_processor_mode: 1
  - .args:
      - .actual_access:  read_only
        .address_space:  global
        .offset:         0
        .size:           8
        .value_kind:     global_buffer
      - .actual_access:  read_only
        .address_space:  global
        .offset:         8
        .size:           8
        .value_kind:     global_buffer
      - .actual_access:  write_only
        .address_space:  global
        .offset:         16
        .size:           8
        .value_kind:     global_buffer
      - .actual_access:  write_only
        .address_space:  global
        .offset:         24
        .size:           8
        .value_kind:     global_buffer
      - .offset:         32
        .size:           8
        .value_kind:     by_value
      - .offset:         40
        .size:           4
        .value_kind:     by_value
      - .offset:         44
        .size:           4
        .value_kind:     by_value
      - .offset:         48
        .size:           4
        .value_kind:     by_value
    .group_segment_fixed_size: 0
    .kernarg_segment_align: 8
    .kernarg_segment_size: 52
    .language:       OpenCL C
    .language_version:
      - 2
      - 0
    .max_flat_workgroup_size: 1024
    .name:           _ZN5aiter24topk_softplus_kernel_optIffLi64ELb1ELi1EEEvPKT_PKT0_PfPimiif
    .private_segment_fixed_size: 0
    .sgpr_count:     18
    .sgpr_spill_count: 0
    .symbol:         _ZN5aiter24topk_softplus_kernel_optIffLi64ELb1ELi1EEEvPKT_PKT0_PfPimiif.kd
    .uniform_work_group_size: 1
    .uses_dynamic_stack: false
    .vgpr_count:     18
    .vgpr_spill_count: 0
    .wavefront_size: 32
    .workgroup_processor_mode: 1
  - .args:
      - .actual_access:  read_only
        .address_space:  global
        .offset:         0
        .size:           8
        .value_kind:     global_buffer
      - .actual_access:  read_only
        .address_space:  global
        .offset:         8
        .size:           8
        .value_kind:     global_buffer
      - .actual_access:  write_only
        .address_space:  global
        .offset:         16
        .size:           8
        .value_kind:     global_buffer
      - .actual_access:  write_only
        .address_space:  global
        .offset:         24
        .size:           8
        .value_kind:     global_buffer
      - .offset:         32
        .size:           8
        .value_kind:     by_value
      - .offset:         40
        .size:           4
        .value_kind:     by_value
      - .offset:         44
        .size:           4
        .value_kind:     by_value
      - .offset:         48
        .size:           4
        .value_kind:     by_value
    .group_segment_fixed_size: 0
    .kernarg_segment_align: 8
    .kernarg_segment_size: 52
    .language:       OpenCL C
    .language_version:
      - 2
      - 0
    .max_flat_workgroup_size: 1024
    .name:           _ZN5aiter24topk_softplus_kernel_optIffLi64ELb0ELi1EEEvPKT_PKT0_PfPimiif
    .private_segment_fixed_size: 0
    .sgpr_count:     18
    .sgpr_spill_count: 0
    .symbol:         _ZN5aiter24topk_softplus_kernel_optIffLi64ELb0ELi1EEEvPKT_PKT0_PfPimiif.kd
    .uniform_work_group_size: 1
    .uses_dynamic_stack: false
    .vgpr_count:     15
    .vgpr_spill_count: 0
    .wavefront_size: 32
    .workgroup_processor_mode: 1
  - .args:
      - .actual_access:  read_only
        .address_space:  global
        .offset:         0
        .size:           8
        .value_kind:     global_buffer
      - .actual_access:  read_only
        .address_space:  global
        .offset:         8
        .size:           8
        .value_kind:     global_buffer
      - .actual_access:  write_only
        .address_space:  global
        .offset:         16
        .size:           8
        .value_kind:     global_buffer
      - .actual_access:  write_only
        .address_space:  global
        .offset:         24
        .size:           8
        .value_kind:     global_buffer
      - .offset:         32
        .size:           8
        .value_kind:     by_value
      - .offset:         40
        .size:           4
        .value_kind:     by_value
      - .offset:         44
        .size:           4
        .value_kind:     by_value
      - .offset:         48
        .size:           4
        .value_kind:     by_value
    .group_segment_fixed_size: 0
    .kernarg_segment_align: 8
    .kernarg_segment_size: 52
    .language:       OpenCL C
    .language_version:
      - 2
      - 0
    .max_flat_workgroup_size: 1024
    .name:           _ZN5aiter24topk_softplus_kernel_optIffLi128ELb1ELi1EEEvPKT_PKT0_PfPimiif
    .private_segment_fixed_size: 0
    .sgpr_count:     18
    .sgpr_spill_count: 0
    .symbol:         _ZN5aiter24topk_softplus_kernel_optIffLi128ELb1ELi1EEEvPKT_PKT0_PfPimiif.kd
    .uniform_work_group_size: 1
    .uses_dynamic_stack: false
    .vgpr_count:     25
    .vgpr_spill_count: 0
    .wavefront_size: 32
    .workgroup_processor_mode: 1
  - .args:
      - .actual_access:  read_only
        .address_space:  global
        .offset:         0
        .size:           8
        .value_kind:     global_buffer
      - .actual_access:  read_only
        .address_space:  global
        .offset:         8
        .size:           8
        .value_kind:     global_buffer
      - .actual_access:  write_only
        .address_space:  global
        .offset:         16
        .size:           8
        .value_kind:     global_buffer
      - .actual_access:  write_only
        .address_space:  global
        .offset:         24
        .size:           8
        .value_kind:     global_buffer
      - .offset:         32
        .size:           8
        .value_kind:     by_value
      - .offset:         40
        .size:           4
        .value_kind:     by_value
      - .offset:         44
        .size:           4
        .value_kind:     by_value
      - .offset:         48
        .size:           4
        .value_kind:     by_value
    .group_segment_fixed_size: 0
    .kernarg_segment_align: 8
    .kernarg_segment_size: 52
    .language:       OpenCL C
    .language_version:
      - 2
      - 0
    .max_flat_workgroup_size: 1024
    .name:           _ZN5aiter24topk_softplus_kernel_optIffLi128ELb0ELi1EEEvPKT_PKT0_PfPimiif
    .private_segment_fixed_size: 0
    .sgpr_count:     18
    .sgpr_spill_count: 0
    .symbol:         _ZN5aiter24topk_softplus_kernel_optIffLi128ELb0ELi1EEEvPKT_PKT0_PfPimiif.kd
    .uniform_work_group_size: 1
    .uses_dynamic_stack: false
    .vgpr_count:     23
    .vgpr_spill_count: 0
    .wavefront_size: 32
    .workgroup_processor_mode: 1
  - .args:
      - .actual_access:  read_only
        .address_space:  global
        .offset:         0
        .size:           8
        .value_kind:     global_buffer
      - .actual_access:  read_only
        .address_space:  global
        .offset:         8
        .size:           8
        .value_kind:     global_buffer
      - .actual_access:  write_only
        .address_space:  global
        .offset:         16
        .size:           8
        .value_kind:     global_buffer
      - .actual_access:  write_only
        .address_space:  global
        .offset:         24
        .size:           8
        .value_kind:     global_buffer
      - .offset:         32
        .size:           8
        .value_kind:     by_value
      - .offset:         40
        .size:           4
        .value_kind:     by_value
      - .offset:         44
        .size:           4
        .value_kind:     by_value
      - .offset:         48
        .size:           4
        .value_kind:     by_value
    .group_segment_fixed_size: 0
    .kernarg_segment_align: 8
    .kernarg_segment_size: 52
    .language:       OpenCL C
    .language_version:
      - 2
      - 0
    .max_flat_workgroup_size: 1024
    .name:           _ZN5aiter24topk_softplus_kernel_optIffLi256ELb1ELi1EEEvPKT_PKT0_PfPimiif
    .private_segment_fixed_size: 0
    .sgpr_count:     18
    .sgpr_spill_count: 0
    .symbol:         _ZN5aiter24topk_softplus_kernel_optIffLi256ELb1ELi1EEEvPKT_PKT0_PfPimiif.kd
    .uniform_work_group_size: 1
    .uses_dynamic_stack: false
    .vgpr_count:     104
    .vgpr_spill_count: 0
    .wavefront_size: 32
    .workgroup_processor_mode: 1
  - .args:
      - .actual_access:  read_only
        .address_space:  global
        .offset:         0
        .size:           8
        .value_kind:     global_buffer
      - .actual_access:  read_only
        .address_space:  global
        .offset:         8
        .size:           8
        .value_kind:     global_buffer
      - .actual_access:  write_only
        .address_space:  global
        .offset:         16
        .size:           8
        .value_kind:     global_buffer
      - .actual_access:  write_only
        .address_space:  global
        .offset:         24
        .size:           8
        .value_kind:     global_buffer
      - .offset:         32
        .size:           8
        .value_kind:     by_value
      - .offset:         40
        .size:           4
        .value_kind:     by_value
      - .offset:         44
        .size:           4
        .value_kind:     by_value
      - .offset:         48
        .size:           4
        .value_kind:     by_value
    .group_segment_fixed_size: 0
    .kernarg_segment_align: 8
    .kernarg_segment_size: 52
    .language:       OpenCL C
    .language_version:
      - 2
      - 0
    .max_flat_workgroup_size: 1024
    .name:           _ZN5aiter24topk_softplus_kernel_optIffLi256ELb0ELi1EEEvPKT_PKT0_PfPimiif
    .private_segment_fixed_size: 0
    .sgpr_count:     18
    .sgpr_spill_count: 0
    .symbol:         _ZN5aiter24topk_softplus_kernel_optIffLi256ELb0ELi1EEEvPKT_PKT0_PfPimiif.kd
    .uniform_work_group_size: 1
    .uses_dynamic_stack: false
    .vgpr_count:     104
    .vgpr_spill_count: 0
    .wavefront_size: 32
    .workgroup_processor_mode: 1
  - .args:
      - .actual_access:  read_only
        .address_space:  global
        .offset:         0
        .size:           8
        .value_kind:     global_buffer
      - .actual_access:  read_only
        .address_space:  global
        .offset:         8
        .size:           8
        .value_kind:     global_buffer
      - .actual_access:  write_only
        .address_space:  global
        .offset:         16
        .size:           8
        .value_kind:     global_buffer
      - .actual_access:  write_only
        .address_space:  global
        .offset:         24
        .size:           8
        .value_kind:     global_buffer
      - .offset:         32
        .size:           8
        .value_kind:     by_value
      - .offset:         40
        .size:           4
        .value_kind:     by_value
      - .offset:         44
        .size:           4
        .value_kind:     by_value
      - .offset:         48
        .size:           4
        .value_kind:     by_value
    .group_segment_fixed_size: 0
    .kernarg_segment_align: 8
    .kernarg_segment_size: 52
    .language:       OpenCL C
    .language_version:
      - 2
      - 0
    .max_flat_workgroup_size: 1024
    .name:           _ZN5aiter24topk_softplus_kernel_optIffLi384ELb1ELi1EEEvPKT_PKT0_PfPimiif
    .private_segment_fixed_size: 196
    .sgpr_count:     18
    .sgpr_spill_count: 0
    .symbol:         _ZN5aiter24topk_softplus_kernel_optIffLi384ELb1ELi1EEEvPKT_PKT0_PfPimiif.kd
    .uniform_work_group_size: 1
    .uses_dynamic_stack: false
    .vgpr_count:     184
    .vgpr_spill_count: 300
    .wavefront_size: 32
    .workgroup_processor_mode: 1
  - .args:
      - .actual_access:  read_only
        .address_space:  global
        .offset:         0
        .size:           8
        .value_kind:     global_buffer
      - .actual_access:  read_only
        .address_space:  global
        .offset:         8
        .size:           8
        .value_kind:     global_buffer
      - .actual_access:  write_only
        .address_space:  global
        .offset:         16
        .size:           8
        .value_kind:     global_buffer
      - .actual_access:  write_only
        .address_space:  global
        .offset:         24
        .size:           8
        .value_kind:     global_buffer
      - .offset:         32
        .size:           8
        .value_kind:     by_value
      - .offset:         40
        .size:           4
        .value_kind:     by_value
      - .offset:         44
        .size:           4
        .value_kind:     by_value
      - .offset:         48
        .size:           4
        .value_kind:     by_value
    .group_segment_fixed_size: 0
    .kernarg_segment_align: 8
    .kernarg_segment_size: 52
    .language:       OpenCL C
    .language_version:
      - 2
      - 0
    .max_flat_workgroup_size: 1024
    .name:           _ZN5aiter24topk_softplus_kernel_optIffLi384ELb0ELi1EEEvPKT_PKT0_PfPimiif
    .private_segment_fixed_size: 196
    .sgpr_count:     18
    .sgpr_spill_count: 0
    .symbol:         _ZN5aiter24topk_softplus_kernel_optIffLi384ELb0ELi1EEEvPKT_PKT0_PfPimiif.kd
    .uniform_work_group_size: 1
    .uses_dynamic_stack: false
    .vgpr_count:     184
    .vgpr_spill_count: 300
    .wavefront_size: 32
    .workgroup_processor_mode: 1
  - .args:
      - .actual_access:  read_only
        .address_space:  global
        .offset:         0
        .size:           8
        .value_kind:     global_buffer
      - .actual_access:  read_only
        .address_space:  global
        .offset:         8
        .size:           8
        .value_kind:     global_buffer
      - .actual_access:  write_only
        .address_space:  global
        .offset:         16
        .size:           8
        .value_kind:     global_buffer
      - .actual_access:  write_only
        .address_space:  global
        .offset:         24
        .size:           8
        .value_kind:     global_buffer
      - .offset:         32
        .size:           8
        .value_kind:     by_value
      - .offset:         40
        .size:           4
        .value_kind:     by_value
      - .offset:         44
        .size:           4
        .value_kind:     by_value
      - .offset:         48
        .size:           4
        .value_kind:     by_value
      - .offset:         52
        .size:           4
        .value_kind:     by_value
      - .offset:         56
        .size:           4
        .value_kind:     hidden_block_count_x
      - .offset:         60
        .size:           4
        .value_kind:     hidden_block_count_y
      - .offset:         64
        .size:           4
        .value_kind:     hidden_block_count_z
      - .offset:         68
        .size:           2
        .value_kind:     hidden_group_size_x
      - .offset:         70
        .size:           2
        .value_kind:     hidden_group_size_y
      - .offset:         72
        .size:           2
        .value_kind:     hidden_group_size_z
      - .offset:         74
        .size:           2
        .value_kind:     hidden_remainder_x
      - .offset:         76
        .size:           2
        .value_kind:     hidden_remainder_y
      - .offset:         78
        .size:           2
        .value_kind:     hidden_remainder_z
      - .offset:         96
        .size:           8
        .value_kind:     hidden_global_offset_x
      - .offset:         104
        .size:           8
        .value_kind:     hidden_global_offset_y
      - .offset:         112
        .size:           8
        .value_kind:     hidden_global_offset_z
      - .offset:         120
        .size:           2
        .value_kind:     hidden_grid_dims
      - .offset:         176
        .size:           4
        .value_kind:     hidden_dynamic_lds_size
    .group_segment_fixed_size: 0
    .kernarg_segment_align: 8
    .kernarg_segment_size: 312
    .language:       OpenCL C
    .language_version:
      - 2
      - 0
    .max_flat_workgroup_size: 1024
    .name:           _ZN5aiter20topk_softplus_kernelIffDv4_fLb1ELi1EEEvPKT_PKT0_PfPimiiif
    .private_segment_fixed_size: 0
    .sgpr_count:     32
    .sgpr_spill_count: 0
    .symbol:         _ZN5aiter20topk_softplus_kernelIffDv4_fLb1ELi1EEEvPKT_PKT0_PfPimiiif.kd
    .uniform_work_group_size: 1
    .uses_dynamic_stack: false
    .vgpr_count:     16
    .vgpr_spill_count: 0
    .wavefront_size: 32
    .workgroup_processor_mode: 1
  - .args:
      - .actual_access:  read_only
        .address_space:  global
        .offset:         0
        .size:           8
        .value_kind:     global_buffer
      - .actual_access:  read_only
        .address_space:  global
        .offset:         8
        .size:           8
        .value_kind:     global_buffer
      - .actual_access:  write_only
        .address_space:  global
        .offset:         16
        .size:           8
        .value_kind:     global_buffer
      - .actual_access:  write_only
        .address_space:  global
        .offset:         24
        .size:           8
        .value_kind:     global_buffer
      - .offset:         32
        .size:           8
        .value_kind:     by_value
      - .offset:         40
        .size:           4
        .value_kind:     by_value
      - .offset:         44
        .size:           4
        .value_kind:     by_value
      - .offset:         48
        .size:           4
        .value_kind:     by_value
      - .offset:         52
        .size:           4
        .value_kind:     by_value
      - .offset:         56
        .size:           4
        .value_kind:     hidden_block_count_x
      - .offset:         60
        .size:           4
        .value_kind:     hidden_block_count_y
      - .offset:         64
        .size:           4
        .value_kind:     hidden_block_count_z
      - .offset:         68
        .size:           2
        .value_kind:     hidden_group_size_x
      - .offset:         70
        .size:           2
        .value_kind:     hidden_group_size_y
      - .offset:         72
        .size:           2
        .value_kind:     hidden_group_size_z
      - .offset:         74
        .size:           2
        .value_kind:     hidden_remainder_x
      - .offset:         76
        .size:           2
        .value_kind:     hidden_remainder_y
      - .offset:         78
        .size:           2
        .value_kind:     hidden_remainder_z
      - .offset:         96
        .size:           8
        .value_kind:     hidden_global_offset_x
      - .offset:         104
        .size:           8
        .value_kind:     hidden_global_offset_y
      - .offset:         112
        .size:           8
        .value_kind:     hidden_global_offset_z
      - .offset:         120
        .size:           2
        .value_kind:     hidden_grid_dims
      - .offset:         176
        .size:           4
        .value_kind:     hidden_dynamic_lds_size
    .group_segment_fixed_size: 0
    .kernarg_segment_align: 8
    .kernarg_segment_size: 312
    .language:       OpenCL C
    .language_version:
      - 2
      - 0
    .max_flat_workgroup_size: 1024
    .name:           _ZN5aiter20topk_softplus_kernelIffDv4_fLb0ELi1EEEvPKT_PKT0_PfPimiiif
    .private_segment_fixed_size: 0
    .sgpr_count:     32
    .sgpr_spill_count: 0
    .symbol:         _ZN5aiter20topk_softplus_kernelIffDv4_fLb0ELi1EEEvPKT_PKT0_PfPimiiif.kd
    .uniform_work_group_size: 1
    .uses_dynamic_stack: false
    .vgpr_count:     16
    .vgpr_spill_count: 0
    .wavefront_size: 32
    .workgroup_processor_mode: 1
  - .args:
      - .actual_access:  read_only
        .address_space:  global
        .offset:         0
        .size:           8
        .value_kind:     global_buffer
      - .actual_access:  read_only
        .address_space:  global
        .offset:         8
        .size:           8
        .value_kind:     global_buffer
      - .actual_access:  write_only
        .address_space:  global
        .offset:         16
        .size:           8
        .value_kind:     global_buffer
      - .actual_access:  write_only
        .address_space:  global
        .offset:         24
        .size:           8
        .value_kind:     global_buffer
      - .offset:         32
        .size:           8
        .value_kind:     by_value
      - .offset:         40
        .size:           4
        .value_kind:     by_value
      - .offset:         44
        .size:           4
        .value_kind:     by_value
      - .offset:         48
        .size:           4
        .value_kind:     by_value
      - .offset:         52
        .size:           4
        .value_kind:     by_value
      - .offset:         56
        .size:           4
        .value_kind:     hidden_block_count_x
      - .offset:         60
        .size:           4
        .value_kind:     hidden_block_count_y
      - .offset:         64
        .size:           4
        .value_kind:     hidden_block_count_z
      - .offset:         68
        .size:           2
        .value_kind:     hidden_group_size_x
      - .offset:         70
        .size:           2
        .value_kind:     hidden_group_size_y
      - .offset:         72
        .size:           2
        .value_kind:     hidden_group_size_z
      - .offset:         74
        .size:           2
        .value_kind:     hidden_remainder_x
      - .offset:         76
        .size:           2
        .value_kind:     hidden_remainder_y
      - .offset:         78
        .size:           2
        .value_kind:     hidden_remainder_z
      - .offset:         96
        .size:           8
        .value_kind:     hidden_global_offset_x
      - .offset:         104
        .size:           8
        .value_kind:     hidden_global_offset_y
      - .offset:         112
        .size:           8
        .value_kind:     hidden_global_offset_z
      - .offset:         120
        .size:           2
        .value_kind:     hidden_grid_dims
      - .offset:         176
        .size:           4
        .value_kind:     hidden_dynamic_lds_size
    .group_segment_fixed_size: 0
    .kernarg_segment_align: 8
    .kernarg_segment_size: 312
    .language:       OpenCL C
    .language_version:
      - 2
      - 0
    .max_flat_workgroup_size: 1024
    .name:           _ZN5aiter20topk_softplus_kernelIffDv2_fLb1ELi1EEEvPKT_PKT0_PfPimiiif
    .private_segment_fixed_size: 0
    .sgpr_count:     25
    .sgpr_spill_count: 0
    .symbol:         _ZN5aiter20topk_softplus_kernelIffDv2_fLb1ELi1EEEvPKT_PKT0_PfPimiiif.kd
    .uniform_work_group_size: 1
    .uses_dynamic_stack: false
    .vgpr_count:     14
    .vgpr_spill_count: 0
    .wavefront_size: 32
    .workgroup_processor_mode: 1
  - .args:
      - .actual_access:  read_only
        .address_space:  global
        .offset:         0
        .size:           8
        .value_kind:     global_buffer
      - .actual_access:  read_only
        .address_space:  global
        .offset:         8
        .size:           8
        .value_kind:     global_buffer
      - .actual_access:  write_only
        .address_space:  global
        .offset:         16
        .size:           8
        .value_kind:     global_buffer
      - .actual_access:  write_only
        .address_space:  global
        .offset:         24
        .size:           8
        .value_kind:     global_buffer
      - .offset:         32
        .size:           8
        .value_kind:     by_value
      - .offset:         40
        .size:           4
        .value_kind:     by_value
      - .offset:         44
        .size:           4
        .value_kind:     by_value
      - .offset:         48
        .size:           4
        .value_kind:     by_value
      - .offset:         52
        .size:           4
        .value_kind:     by_value
      - .offset:         56
        .size:           4
        .value_kind:     hidden_block_count_x
      - .offset:         60
        .size:           4
        .value_kind:     hidden_block_count_y
      - .offset:         64
        .size:           4
        .value_kind:     hidden_block_count_z
      - .offset:         68
        .size:           2
        .value_kind:     hidden_group_size_x
      - .offset:         70
        .size:           2
        .value_kind:     hidden_group_size_y
      - .offset:         72
        .size:           2
        .value_kind:     hidden_group_size_z
      - .offset:         74
        .size:           2
        .value_kind:     hidden_remainder_x
      - .offset:         76
        .size:           2
        .value_kind:     hidden_remainder_y
      - .offset:         78
        .size:           2
        .value_kind:     hidden_remainder_z
      - .offset:         96
        .size:           8
        .value_kind:     hidden_global_offset_x
      - .offset:         104
        .size:           8
        .value_kind:     hidden_global_offset_y
      - .offset:         112
        .size:           8
        .value_kind:     hidden_global_offset_z
      - .offset:         120
        .size:           2
        .value_kind:     hidden_grid_dims
      - .offset:         176
        .size:           4
        .value_kind:     hidden_dynamic_lds_size
    .group_segment_fixed_size: 0
    .kernarg_segment_align: 8
    .kernarg_segment_size: 312
    .language:       OpenCL C
    .language_version:
      - 2
      - 0
    .max_flat_workgroup_size: 1024
    .name:           _ZN5aiter20topk_softplus_kernelIffDv2_fLb0ELi1EEEvPKT_PKT0_PfPimiiif
    .private_segment_fixed_size: 0
    .sgpr_count:     25
    .sgpr_spill_count: 0
    .symbol:         _ZN5aiter20topk_softplus_kernelIffDv2_fLb0ELi1EEEvPKT_PKT0_PfPimiiif.kd
    .uniform_work_group_size: 1
    .uses_dynamic_stack: false
    .vgpr_count:     13
    .vgpr_spill_count: 0
    .wavefront_size: 32
    .workgroup_processor_mode: 1
  - .args:
      - .actual_access:  read_only
        .address_space:  global
        .offset:         0
        .size:           8
        .value_kind:     global_buffer
      - .actual_access:  read_only
        .address_space:  global
        .offset:         8
        .size:           8
        .value_kind:     global_buffer
      - .actual_access:  write_only
        .address_space:  global
        .offset:         16
        .size:           8
        .value_kind:     global_buffer
      - .actual_access:  write_only
        .address_space:  global
        .offset:         24
        .size:           8
        .value_kind:     global_buffer
      - .offset:         32
        .size:           8
        .value_kind:     by_value
      - .offset:         40
        .size:           4
        .value_kind:     by_value
      - .offset:         44
        .size:           4
        .value_kind:     by_value
      - .offset:         48
        .size:           4
        .value_kind:     by_value
      - .offset:         52
        .size:           4
        .value_kind:     by_value
      - .offset:         56
        .size:           4
        .value_kind:     hidden_block_count_x
      - .offset:         60
        .size:           4
        .value_kind:     hidden_block_count_y
      - .offset:         64
        .size:           4
        .value_kind:     hidden_block_count_z
      - .offset:         68
        .size:           2
        .value_kind:     hidden_group_size_x
      - .offset:         70
        .size:           2
        .value_kind:     hidden_group_size_y
      - .offset:         72
        .size:           2
        .value_kind:     hidden_group_size_z
      - .offset:         74
        .size:           2
        .value_kind:     hidden_remainder_x
      - .offset:         76
        .size:           2
        .value_kind:     hidden_remainder_y
      - .offset:         78
        .size:           2
        .value_kind:     hidden_remainder_z
      - .offset:         96
        .size:           8
        .value_kind:     hidden_global_offset_x
      - .offset:         104
        .size:           8
        .value_kind:     hidden_global_offset_y
      - .offset:         112
        .size:           8
        .value_kind:     hidden_global_offset_z
      - .offset:         120
        .size:           2
        .value_kind:     hidden_grid_dims
      - .offset:         176
        .size:           4
        .value_kind:     hidden_dynamic_lds_size
    .group_segment_fixed_size: 0
    .kernarg_segment_align: 8
    .kernarg_segment_size: 312
    .language:       OpenCL C
    .language_version:
      - 2
      - 0
    .max_flat_workgroup_size: 1024
    .name:           _ZN5aiter20topk_softplus_kernelIffDv1_fLb1ELi1EEEvPKT_PKT0_PfPimiiif
    .private_segment_fixed_size: 0
    .sgpr_count:     24
    .sgpr_spill_count: 0
    .symbol:         _ZN5aiter20topk_softplus_kernelIffDv1_fLb1ELi1EEEvPKT_PKT0_PfPimiiif.kd
    .uniform_work_group_size: 1
    .uses_dynamic_stack: false
    .vgpr_count:     11
    .vgpr_spill_count: 0
    .wavefront_size: 32
    .workgroup_processor_mode: 1
  - .args:
      - .actual_access:  read_only
        .address_space:  global
        .offset:         0
        .size:           8
        .value_kind:     global_buffer
      - .actual_access:  read_only
        .address_space:  global
        .offset:         8
        .size:           8
        .value_kind:     global_buffer
      - .actual_access:  write_only
        .address_space:  global
        .offset:         16
        .size:           8
        .value_kind:     global_buffer
      - .actual_access:  write_only
        .address_space:  global
        .offset:         24
        .size:           8
        .value_kind:     global_buffer
      - .offset:         32
        .size:           8
        .value_kind:     by_value
      - .offset:         40
        .size:           4
        .value_kind:     by_value
      - .offset:         44
        .size:           4
        .value_kind:     by_value
      - .offset:         48
        .size:           4
        .value_kind:     by_value
      - .offset:         52
        .size:           4
        .value_kind:     by_value
      - .offset:         56
        .size:           4
        .value_kind:     hidden_block_count_x
      - .offset:         60
        .size:           4
        .value_kind:     hidden_block_count_y
      - .offset:         64
        .size:           4
        .value_kind:     hidden_block_count_z
      - .offset:         68
        .size:           2
        .value_kind:     hidden_group_size_x
      - .offset:         70
        .size:           2
        .value_kind:     hidden_group_size_y
      - .offset:         72
        .size:           2
        .value_kind:     hidden_group_size_z
      - .offset:         74
        .size:           2
        .value_kind:     hidden_remainder_x
      - .offset:         76
        .size:           2
        .value_kind:     hidden_remainder_y
      - .offset:         78
        .size:           2
        .value_kind:     hidden_remainder_z
      - .offset:         96
        .size:           8
        .value_kind:     hidden_global_offset_x
      - .offset:         104
        .size:           8
        .value_kind:     hidden_global_offset_y
      - .offset:         112
        .size:           8
        .value_kind:     hidden_global_offset_z
      - .offset:         120
        .size:           2
        .value_kind:     hidden_grid_dims
      - .offset:         176
        .size:           4
        .value_kind:     hidden_dynamic_lds_size
    .group_segment_fixed_size: 0
    .kernarg_segment_align: 8
    .kernarg_segment_size: 312
    .language:       OpenCL C
    .language_version:
      - 2
      - 0
    .max_flat_workgroup_size: 1024
    .name:           _ZN5aiter20topk_softplus_kernelIffDv1_fLb0ELi1EEEvPKT_PKT0_PfPimiiif
    .private_segment_fixed_size: 0
    .sgpr_count:     24
    .sgpr_spill_count: 0
    .symbol:         _ZN5aiter20topk_softplus_kernelIffDv1_fLb0ELi1EEEvPKT_PKT0_PfPimiiif.kd
    .uniform_work_group_size: 1
    .uses_dynamic_stack: false
    .vgpr_count:     10
    .vgpr_spill_count: 0
    .wavefront_size: 32
    .workgroup_processor_mode: 1
  - .args:
      - .actual_access:  read_only
        .address_space:  global
        .offset:         0
        .size:           8
        .value_kind:     global_buffer
      - .actual_access:  read_only
        .address_space:  global
        .offset:         8
        .size:           8
        .value_kind:     global_buffer
      - .actual_access:  write_only
        .address_space:  global
        .offset:         16
        .size:           8
        .value_kind:     global_buffer
      - .actual_access:  write_only
        .address_space:  global
        .offset:         24
        .size:           8
        .value_kind:     global_buffer
      - .offset:         32
        .size:           8
        .value_kind:     by_value
      - .offset:         40
        .size:           4
        .value_kind:     by_value
      - .offset:         44
        .size:           4
        .value_kind:     by_value
      - .offset:         48
        .size:           4
        .value_kind:     by_value
      - .offset:         52
        .size:           4
        .value_kind:     by_value
      - .offset:         56
        .size:           4
        .value_kind:     hidden_block_count_x
      - .offset:         60
        .size:           4
        .value_kind:     hidden_block_count_y
      - .offset:         64
        .size:           4
        .value_kind:     hidden_block_count_z
      - .offset:         68
        .size:           2
        .value_kind:     hidden_group_size_x
      - .offset:         70
        .size:           2
        .value_kind:     hidden_group_size_y
      - .offset:         72
        .size:           2
        .value_kind:     hidden_group_size_z
      - .offset:         74
        .size:           2
        .value_kind:     hidden_remainder_x
      - .offset:         76
        .size:           2
        .value_kind:     hidden_remainder_y
      - .offset:         78
        .size:           2
        .value_kind:     hidden_remainder_z
      - .offset:         96
        .size:           8
        .value_kind:     hidden_global_offset_x
      - .offset:         104
        .size:           8
        .value_kind:     hidden_global_offset_y
      - .offset:         112
        .size:           8
        .value_kind:     hidden_global_offset_z
      - .offset:         120
        .size:           2
        .value_kind:     hidden_grid_dims
      - .offset:         176
        .size:           4
        .value_kind:     hidden_dynamic_lds_size
    .group_segment_fixed_size: 0
    .kernarg_segment_align: 8
    .kernarg_segment_size: 312
    .language:       OpenCL C
    .language_version:
      - 2
      - 0
    .max_flat_workgroup_size: 1024
    .name:           _ZN5aiter20topk_softplus_kernelIffDv4_fLb1ELi2EEEvPKT_PKT0_PfPimiiif
    .private_segment_fixed_size: 0
    .sgpr_count:     25
    .sgpr_spill_count: 0
    .symbol:         _ZN5aiter20topk_softplus_kernelIffDv4_fLb1ELi2EEEvPKT_PKT0_PfPimiiif.kd
    .uniform_work_group_size: 1
    .uses_dynamic_stack: false
    .vgpr_count:     16
    .vgpr_spill_count: 0
    .wavefront_size: 32
    .workgroup_processor_mode: 1
  - .args:
      - .actual_access:  read_only
        .address_space:  global
        .offset:         0
        .size:           8
        .value_kind:     global_buffer
      - .actual_access:  read_only
        .address_space:  global
        .offset:         8
        .size:           8
        .value_kind:     global_buffer
      - .actual_access:  write_only
        .address_space:  global
        .offset:         16
        .size:           8
        .value_kind:     global_buffer
      - .actual_access:  write_only
        .address_space:  global
        .offset:         24
        .size:           8
        .value_kind:     global_buffer
      - .offset:         32
        .size:           8
        .value_kind:     by_value
      - .offset:         40
        .size:           4
        .value_kind:     by_value
      - .offset:         44
        .size:           4
        .value_kind:     by_value
      - .offset:         48
        .size:           4
        .value_kind:     by_value
      - .offset:         52
        .size:           4
        .value_kind:     by_value
      - .offset:         56
        .size:           4
        .value_kind:     hidden_block_count_x
      - .offset:         60
        .size:           4
        .value_kind:     hidden_block_count_y
      - .offset:         64
        .size:           4
        .value_kind:     hidden_block_count_z
      - .offset:         68
        .size:           2
        .value_kind:     hidden_group_size_x
      - .offset:         70
        .size:           2
        .value_kind:     hidden_group_size_y
      - .offset:         72
        .size:           2
        .value_kind:     hidden_group_size_z
      - .offset:         74
        .size:           2
        .value_kind:     hidden_remainder_x
      - .offset:         76
        .size:           2
        .value_kind:     hidden_remainder_y
      - .offset:         78
        .size:           2
        .value_kind:     hidden_remainder_z
      - .offset:         96
        .size:           8
        .value_kind:     hidden_global_offset_x
      - .offset:         104
        .size:           8
        .value_kind:     hidden_global_offset_y
      - .offset:         112
        .size:           8
        .value_kind:     hidden_global_offset_z
      - .offset:         120
        .size:           2
        .value_kind:     hidden_grid_dims
      - .offset:         176
        .size:           4
        .value_kind:     hidden_dynamic_lds_size
    .group_segment_fixed_size: 0
    .kernarg_segment_align: 8
    .kernarg_segment_size: 312
    .language:       OpenCL C
    .language_version:
      - 2
      - 0
    .max_flat_workgroup_size: 1024
    .name:           _ZN5aiter20topk_softplus_kernelIffDv4_fLb0ELi2EEEvPKT_PKT0_PfPimiiif
    .private_segment_fixed_size: 0
    .sgpr_count:     25
    .sgpr_spill_count: 0
    .symbol:         _ZN5aiter20topk_softplus_kernelIffDv4_fLb0ELi2EEEvPKT_PKT0_PfPimiiif.kd
    .uniform_work_group_size: 1
    .uses_dynamic_stack: false
    .vgpr_count:     15
    .vgpr_spill_count: 0
    .wavefront_size: 32
    .workgroup_processor_mode: 1
  - .args:
      - .actual_access:  read_only
        .address_space:  global
        .offset:         0
        .size:           8
        .value_kind:     global_buffer
      - .actual_access:  read_only
        .address_space:  global
        .offset:         8
        .size:           8
        .value_kind:     global_buffer
      - .actual_access:  write_only
        .address_space:  global
        .offset:         16
        .size:           8
        .value_kind:     global_buffer
      - .actual_access:  write_only
        .address_space:  global
        .offset:         24
        .size:           8
        .value_kind:     global_buffer
      - .offset:         32
        .size:           8
        .value_kind:     by_value
      - .offset:         40
        .size:           4
        .value_kind:     by_value
      - .offset:         44
        .size:           4
        .value_kind:     by_value
      - .offset:         48
        .size:           4
        .value_kind:     by_value
      - .offset:         52
        .size:           4
        .value_kind:     by_value
      - .offset:         56
        .size:           4
        .value_kind:     hidden_block_count_x
      - .offset:         60
        .size:           4
        .value_kind:     hidden_block_count_y
      - .offset:         64
        .size:           4
        .value_kind:     hidden_block_count_z
      - .offset:         68
        .size:           2
        .value_kind:     hidden_group_size_x
      - .offset:         70
        .size:           2
        .value_kind:     hidden_group_size_y
      - .offset:         72
        .size:           2
        .value_kind:     hidden_group_size_z
      - .offset:         74
        .size:           2
        .value_kind:     hidden_remainder_x
      - .offset:         76
        .size:           2
        .value_kind:     hidden_remainder_y
      - .offset:         78
        .size:           2
        .value_kind:     hidden_remainder_z
      - .offset:         96
        .size:           8
        .value_kind:     hidden_global_offset_x
      - .offset:         104
        .size:           8
        .value_kind:     hidden_global_offset_y
      - .offset:         112
        .size:           8
        .value_kind:     hidden_global_offset_z
      - .offset:         120
        .size:           2
        .value_kind:     hidden_grid_dims
      - .offset:         176
        .size:           4
        .value_kind:     hidden_dynamic_lds_size
    .group_segment_fixed_size: 0
    .kernarg_segment_align: 8
    .kernarg_segment_size: 312
    .language:       OpenCL C
    .language_version:
      - 2
      - 0
    .max_flat_workgroup_size: 1024
    .name:           _ZN5aiter20topk_softplus_kernelIffDv2_fLb1ELi2EEEvPKT_PKT0_PfPimiiif
    .private_segment_fixed_size: 0
    .sgpr_count:     25
    .sgpr_spill_count: 0
    .symbol:         _ZN5aiter20topk_softplus_kernelIffDv2_fLb1ELi2EEEvPKT_PKT0_PfPimiiif.kd
    .uniform_work_group_size: 1
    .uses_dynamic_stack: false
    .vgpr_count:     14
    .vgpr_spill_count: 0
    .wavefront_size: 32
    .workgroup_processor_mode: 1
  - .args:
      - .actual_access:  read_only
        .address_space:  global
        .offset:         0
        .size:           8
        .value_kind:     global_buffer
      - .actual_access:  read_only
        .address_space:  global
        .offset:         8
        .size:           8
        .value_kind:     global_buffer
      - .actual_access:  write_only
        .address_space:  global
        .offset:         16
        .size:           8
        .value_kind:     global_buffer
      - .actual_access:  write_only
        .address_space:  global
        .offset:         24
        .size:           8
        .value_kind:     global_buffer
      - .offset:         32
        .size:           8
        .value_kind:     by_value
      - .offset:         40
        .size:           4
        .value_kind:     by_value
      - .offset:         44
        .size:           4
        .value_kind:     by_value
      - .offset:         48
        .size:           4
        .value_kind:     by_value
      - .offset:         52
        .size:           4
        .value_kind:     by_value
      - .offset:         56
        .size:           4
        .value_kind:     hidden_block_count_x
      - .offset:         60
        .size:           4
        .value_kind:     hidden_block_count_y
      - .offset:         64
        .size:           4
        .value_kind:     hidden_block_count_z
      - .offset:         68
        .size:           2
        .value_kind:     hidden_group_size_x
      - .offset:         70
        .size:           2
        .value_kind:     hidden_group_size_y
      - .offset:         72
        .size:           2
        .value_kind:     hidden_group_size_z
      - .offset:         74
        .size:           2
        .value_kind:     hidden_remainder_x
      - .offset:         76
        .size:           2
        .value_kind:     hidden_remainder_y
      - .offset:         78
        .size:           2
        .value_kind:     hidden_remainder_z
      - .offset:         96
        .size:           8
        .value_kind:     hidden_global_offset_x
      - .offset:         104
        .size:           8
        .value_kind:     hidden_global_offset_y
      - .offset:         112
        .size:           8
        .value_kind:     hidden_global_offset_z
      - .offset:         120
        .size:           2
        .value_kind:     hidden_grid_dims
      - .offset:         176
        .size:           4
        .value_kind:     hidden_dynamic_lds_size
    .group_segment_fixed_size: 0
    .kernarg_segment_align: 8
    .kernarg_segment_size: 312
    .language:       OpenCL C
    .language_version:
      - 2
      - 0
    .max_flat_workgroup_size: 1024
    .name:           _ZN5aiter20topk_softplus_kernelIffDv2_fLb0ELi2EEEvPKT_PKT0_PfPimiiif
    .private_segment_fixed_size: 0
    .sgpr_count:     25
    .sgpr_spill_count: 0
    .symbol:         _ZN5aiter20topk_softplus_kernelIffDv2_fLb0ELi2EEEvPKT_PKT0_PfPimiiif.kd
    .uniform_work_group_size: 1
    .uses_dynamic_stack: false
    .vgpr_count:     13
    .vgpr_spill_count: 0
    .wavefront_size: 32
    .workgroup_processor_mode: 1
  - .args:
      - .actual_access:  read_only
        .address_space:  global
        .offset:         0
        .size:           8
        .value_kind:     global_buffer
      - .actual_access:  read_only
        .address_space:  global
        .offset:         8
        .size:           8
        .value_kind:     global_buffer
      - .actual_access:  write_only
        .address_space:  global
        .offset:         16
        .size:           8
        .value_kind:     global_buffer
      - .actual_access:  write_only
        .address_space:  global
        .offset:         24
        .size:           8
        .value_kind:     global_buffer
      - .offset:         32
        .size:           8
        .value_kind:     by_value
      - .offset:         40
        .size:           4
        .value_kind:     by_value
      - .offset:         44
        .size:           4
        .value_kind:     by_value
      - .offset:         48
        .size:           4
        .value_kind:     by_value
      - .offset:         52
        .size:           4
        .value_kind:     by_value
      - .offset:         56
        .size:           4
        .value_kind:     hidden_block_count_x
      - .offset:         60
        .size:           4
        .value_kind:     hidden_block_count_y
      - .offset:         64
        .size:           4
        .value_kind:     hidden_block_count_z
      - .offset:         68
        .size:           2
        .value_kind:     hidden_group_size_x
      - .offset:         70
        .size:           2
        .value_kind:     hidden_group_size_y
      - .offset:         72
        .size:           2
        .value_kind:     hidden_group_size_z
      - .offset:         74
        .size:           2
        .value_kind:     hidden_remainder_x
      - .offset:         76
        .size:           2
        .value_kind:     hidden_remainder_y
      - .offset:         78
        .size:           2
        .value_kind:     hidden_remainder_z
      - .offset:         96
        .size:           8
        .value_kind:     hidden_global_offset_x
      - .offset:         104
        .size:           8
        .value_kind:     hidden_global_offset_y
      - .offset:         112
        .size:           8
        .value_kind:     hidden_global_offset_z
      - .offset:         120
        .size:           2
        .value_kind:     hidden_grid_dims
      - .offset:         176
        .size:           4
        .value_kind:     hidden_dynamic_lds_size
    .group_segment_fixed_size: 0
    .kernarg_segment_align: 8
    .kernarg_segment_size: 312
    .language:       OpenCL C
    .language_version:
      - 2
      - 0
    .max_flat_workgroup_size: 1024
    .name:           _ZN5aiter20topk_softplus_kernelIffDv1_fLb1ELi2EEEvPKT_PKT0_PfPimiiif
    .private_segment_fixed_size: 0
    .sgpr_count:     24
    .sgpr_spill_count: 0
    .symbol:         _ZN5aiter20topk_softplus_kernelIffDv1_fLb1ELi2EEEvPKT_PKT0_PfPimiiif.kd
    .uniform_work_group_size: 1
    .uses_dynamic_stack: false
    .vgpr_count:     11
    .vgpr_spill_count: 0
    .wavefront_size: 32
    .workgroup_processor_mode: 1
  - .args:
      - .actual_access:  read_only
        .address_space:  global
        .offset:         0
        .size:           8
        .value_kind:     global_buffer
      - .actual_access:  read_only
        .address_space:  global
        .offset:         8
        .size:           8
        .value_kind:     global_buffer
      - .actual_access:  write_only
        .address_space:  global
        .offset:         16
        .size:           8
        .value_kind:     global_buffer
      - .actual_access:  write_only
        .address_space:  global
        .offset:         24
        .size:           8
        .value_kind:     global_buffer
      - .offset:         32
        .size:           8
        .value_kind:     by_value
      - .offset:         40
        .size:           4
        .value_kind:     by_value
      - .offset:         44
        .size:           4
        .value_kind:     by_value
      - .offset:         48
        .size:           4
        .value_kind:     by_value
      - .offset:         52
        .size:           4
        .value_kind:     by_value
      - .offset:         56
        .size:           4
        .value_kind:     hidden_block_count_x
      - .offset:         60
        .size:           4
        .value_kind:     hidden_block_count_y
      - .offset:         64
        .size:           4
        .value_kind:     hidden_block_count_z
      - .offset:         68
        .size:           2
        .value_kind:     hidden_group_size_x
      - .offset:         70
        .size:           2
        .value_kind:     hidden_group_size_y
      - .offset:         72
        .size:           2
        .value_kind:     hidden_group_size_z
      - .offset:         74
        .size:           2
        .value_kind:     hidden_remainder_x
      - .offset:         76
        .size:           2
        .value_kind:     hidden_remainder_y
      - .offset:         78
        .size:           2
        .value_kind:     hidden_remainder_z
      - .offset:         96
        .size:           8
        .value_kind:     hidden_global_offset_x
      - .offset:         104
        .size:           8
        .value_kind:     hidden_global_offset_y
      - .offset:         112
        .size:           8
        .value_kind:     hidden_global_offset_z
      - .offset:         120
        .size:           2
        .value_kind:     hidden_grid_dims
      - .offset:         176
        .size:           4
        .value_kind:     hidden_dynamic_lds_size
    .group_segment_fixed_size: 0
    .kernarg_segment_align: 8
    .kernarg_segment_size: 312
    .language:       OpenCL C
    .language_version:
      - 2
      - 0
    .max_flat_workgroup_size: 1024
    .name:           _ZN5aiter20topk_softplus_kernelIffDv1_fLb0ELi2EEEvPKT_PKT0_PfPimiiif
    .private_segment_fixed_size: 0
    .sgpr_count:     24
    .sgpr_spill_count: 0
    .symbol:         _ZN5aiter20topk_softplus_kernelIffDv1_fLb0ELi2EEEvPKT_PKT0_PfPimiiif.kd
    .uniform_work_group_size: 1
    .uses_dynamic_stack: false
    .vgpr_count:     10
    .vgpr_spill_count: 0
    .wavefront_size: 32
    .workgroup_processor_mode: 1
  - .args:
      - .actual_access:  read_only
        .address_space:  global
        .offset:         0
        .size:           8
        .value_kind:     global_buffer
      - .actual_access:  read_only
        .address_space:  global
        .offset:         8
        .size:           8
        .value_kind:     global_buffer
      - .actual_access:  write_only
        .address_space:  global
        .offset:         16
        .size:           8
        .value_kind:     global_buffer
      - .actual_access:  write_only
        .address_space:  global
        .offset:         24
        .size:           8
        .value_kind:     global_buffer
      - .offset:         32
        .size:           8
        .value_kind:     by_value
      - .offset:         40
        .size:           4
        .value_kind:     by_value
      - .offset:         44
        .size:           4
        .value_kind:     by_value
      - .offset:         48
        .size:           4
        .value_kind:     by_value
    .group_segment_fixed_size: 0
    .kernarg_segment_align: 8
    .kernarg_segment_size: 52
    .language:       OpenCL C
    .language_version:
      - 2
      - 0
    .max_flat_workgroup_size: 1024
    .name:           _ZN5aiter24topk_softplus_kernel_optIffLi64ELb1ELi0EEEvPKT_PKT0_PfPimiif
    .private_segment_fixed_size: 0
    .sgpr_count:     18
    .sgpr_spill_count: 0
    .symbol:         _ZN5aiter24topk_softplus_kernel_optIffLi64ELb1ELi0EEEvPKT_PKT0_PfPimiif.kd
    .uniform_work_group_size: 1
    .uses_dynamic_stack: false
    .vgpr_count:     18
    .vgpr_spill_count: 0
    .wavefront_size: 32
    .workgroup_processor_mode: 1
  - .args:
      - .actual_access:  read_only
        .address_space:  global
        .offset:         0
        .size:           8
        .value_kind:     global_buffer
      - .actual_access:  read_only
        .address_space:  global
        .offset:         8
        .size:           8
        .value_kind:     global_buffer
      - .actual_access:  write_only
        .address_space:  global
        .offset:         16
        .size:           8
        .value_kind:     global_buffer
      - .actual_access:  write_only
        .address_space:  global
        .offset:         24
        .size:           8
        .value_kind:     global_buffer
      - .offset:         32
        .size:           8
        .value_kind:     by_value
      - .offset:         40
        .size:           4
        .value_kind:     by_value
      - .offset:         44
        .size:           4
        .value_kind:     by_value
      - .offset:         48
        .size:           4
        .value_kind:     by_value
    .group_segment_fixed_size: 0
    .kernarg_segment_align: 8
    .kernarg_segment_size: 52
    .language:       OpenCL C
    .language_version:
      - 2
      - 0
    .max_flat_workgroup_size: 1024
    .name:           _ZN5aiter24topk_softplus_kernel_optIffLi64ELb0ELi0EEEvPKT_PKT0_PfPimiif
    .private_segment_fixed_size: 0
    .sgpr_count:     18
    .sgpr_spill_count: 0
    .symbol:         _ZN5aiter24topk_softplus_kernel_optIffLi64ELb0ELi0EEEvPKT_PKT0_PfPimiif.kd
    .uniform_work_group_size: 1
    .uses_dynamic_stack: false
    .vgpr_count:     15
    .vgpr_spill_count: 0
    .wavefront_size: 32
    .workgroup_processor_mode: 1
  - .args:
      - .actual_access:  read_only
        .address_space:  global
        .offset:         0
        .size:           8
        .value_kind:     global_buffer
      - .actual_access:  read_only
        .address_space:  global
        .offset:         8
        .size:           8
        .value_kind:     global_buffer
      - .actual_access:  write_only
        .address_space:  global
        .offset:         16
        .size:           8
        .value_kind:     global_buffer
      - .actual_access:  write_only
        .address_space:  global
        .offset:         24
        .size:           8
        .value_kind:     global_buffer
      - .offset:         32
        .size:           8
        .value_kind:     by_value
      - .offset:         40
        .size:           4
        .value_kind:     by_value
      - .offset:         44
        .size:           4
        .value_kind:     by_value
      - .offset:         48
        .size:           4
        .value_kind:     by_value
    .group_segment_fixed_size: 0
    .kernarg_segment_align: 8
    .kernarg_segment_size: 52
    .language:       OpenCL C
    .language_version:
      - 2
      - 0
    .max_flat_workgroup_size: 1024
    .name:           _ZN5aiter24topk_softplus_kernel_optIffLi128ELb1ELi0EEEvPKT_PKT0_PfPimiif
    .private_segment_fixed_size: 0
    .sgpr_count:     18
    .sgpr_spill_count: 0
    .symbol:         _ZN5aiter24topk_softplus_kernel_optIffLi128ELb1ELi0EEEvPKT_PKT0_PfPimiif.kd
    .uniform_work_group_size: 1
    .uses_dynamic_stack: false
    .vgpr_count:     25
    .vgpr_spill_count: 0
    .wavefront_size: 32
    .workgroup_processor_mode: 1
  - .args:
      - .actual_access:  read_only
        .address_space:  global
        .offset:         0
        .size:           8
        .value_kind:     global_buffer
      - .actual_access:  read_only
        .address_space:  global
        .offset:         8
        .size:           8
        .value_kind:     global_buffer
      - .actual_access:  write_only
        .address_space:  global
        .offset:         16
        .size:           8
        .value_kind:     global_buffer
      - .actual_access:  write_only
        .address_space:  global
        .offset:         24
        .size:           8
        .value_kind:     global_buffer
      - .offset:         32
        .size:           8
        .value_kind:     by_value
      - .offset:         40
        .size:           4
        .value_kind:     by_value
      - .offset:         44
        .size:           4
        .value_kind:     by_value
      - .offset:         48
        .size:           4
        .value_kind:     by_value
    .group_segment_fixed_size: 0
    .kernarg_segment_align: 8
    .kernarg_segment_size: 52
    .language:       OpenCL C
    .language_version:
      - 2
      - 0
    .max_flat_workgroup_size: 1024
    .name:           _ZN5aiter24topk_softplus_kernel_optIffLi128ELb0ELi0EEEvPKT_PKT0_PfPimiif
    .private_segment_fixed_size: 0
    .sgpr_count:     18
    .sgpr_spill_count: 0
    .symbol:         _ZN5aiter24topk_softplus_kernel_optIffLi128ELb0ELi0EEEvPKT_PKT0_PfPimiif.kd
    .uniform_work_group_size: 1
    .uses_dynamic_stack: false
    .vgpr_count:     23
    .vgpr_spill_count: 0
    .wavefront_size: 32
    .workgroup_processor_mode: 1
  - .args:
      - .actual_access:  read_only
        .address_space:  global
        .offset:         0
        .size:           8
        .value_kind:     global_buffer
      - .actual_access:  read_only
        .address_space:  global
        .offset:         8
        .size:           8
        .value_kind:     global_buffer
      - .actual_access:  write_only
        .address_space:  global
        .offset:         16
        .size:           8
        .value_kind:     global_buffer
      - .actual_access:  write_only
        .address_space:  global
        .offset:         24
        .size:           8
        .value_kind:     global_buffer
      - .offset:         32
        .size:           8
        .value_kind:     by_value
      - .offset:         40
        .size:           4
        .value_kind:     by_value
      - .offset:         44
        .size:           4
        .value_kind:     by_value
      - .offset:         48
        .size:           4
        .value_kind:     by_value
    .group_segment_fixed_size: 0
    .kernarg_segment_align: 8
    .kernarg_segment_size: 52
    .language:       OpenCL C
    .language_version:
      - 2
      - 0
    .max_flat_workgroup_size: 1024
    .name:           _ZN5aiter24topk_softplus_kernel_optIffLi256ELb1ELi0EEEvPKT_PKT0_PfPimiif
    .private_segment_fixed_size: 0
    .sgpr_count:     18
    .sgpr_spill_count: 0
    .symbol:         _ZN5aiter24topk_softplus_kernel_optIffLi256ELb1ELi0EEEvPKT_PKT0_PfPimiif.kd
    .uniform_work_group_size: 1
    .uses_dynamic_stack: false
    .vgpr_count:     97
    .vgpr_spill_count: 0
    .wavefront_size: 32
    .workgroup_processor_mode: 1
  - .args:
      - .actual_access:  read_only
        .address_space:  global
        .offset:         0
        .size:           8
        .value_kind:     global_buffer
      - .actual_access:  read_only
        .address_space:  global
        .offset:         8
        .size:           8
        .value_kind:     global_buffer
      - .actual_access:  write_only
        .address_space:  global
        .offset:         16
        .size:           8
        .value_kind:     global_buffer
      - .actual_access:  write_only
        .address_space:  global
        .offset:         24
        .size:           8
        .value_kind:     global_buffer
      - .offset:         32
        .size:           8
        .value_kind:     by_value
      - .offset:         40
        .size:           4
        .value_kind:     by_value
      - .offset:         44
        .size:           4
        .value_kind:     by_value
      - .offset:         48
        .size:           4
        .value_kind:     by_value
    .group_segment_fixed_size: 0
    .kernarg_segment_align: 8
    .kernarg_segment_size: 52
    .language:       OpenCL C
    .language_version:
      - 2
      - 0
    .max_flat_workgroup_size: 1024
    .name:           _ZN5aiter24topk_softplus_kernel_optIffLi256ELb0ELi0EEEvPKT_PKT0_PfPimiif
    .private_segment_fixed_size: 0
    .sgpr_count:     18
    .sgpr_spill_count: 0
    .symbol:         _ZN5aiter24topk_softplus_kernel_optIffLi256ELb0ELi0EEEvPKT_PKT0_PfPimiif.kd
    .uniform_work_group_size: 1
    .uses_dynamic_stack: false
    .vgpr_count:     97
    .vgpr_spill_count: 0
    .wavefront_size: 32
    .workgroup_processor_mode: 1
  - .args:
      - .actual_access:  read_only
        .address_space:  global
        .offset:         0
        .size:           8
        .value_kind:     global_buffer
      - .actual_access:  read_only
        .address_space:  global
        .offset:         8
        .size:           8
        .value_kind:     global_buffer
      - .actual_access:  write_only
        .address_space:  global
        .offset:         16
        .size:           8
        .value_kind:     global_buffer
      - .actual_access:  write_only
        .address_space:  global
        .offset:         24
        .size:           8
        .value_kind:     global_buffer
      - .offset:         32
        .size:           8
        .value_kind:     by_value
      - .offset:         40
        .size:           4
        .value_kind:     by_value
      - .offset:         44
        .size:           4
        .value_kind:     by_value
      - .offset:         48
        .size:           4
        .value_kind:     by_value
    .group_segment_fixed_size: 0
    .kernarg_segment_align: 8
    .kernarg_segment_size: 52
    .language:       OpenCL C
    .language_version:
      - 2
      - 0
    .max_flat_workgroup_size: 1024
    .name:           _ZN5aiter24topk_softplus_kernel_optIffLi384ELb1ELi0EEEvPKT_PKT0_PfPimiif
    .private_segment_fixed_size: 196
    .sgpr_count:     18
    .sgpr_spill_count: 0
    .symbol:         _ZN5aiter24topk_softplus_kernel_optIffLi384ELb1ELi0EEEvPKT_PKT0_PfPimiif.kd
    .uniform_work_group_size: 1
    .uses_dynamic_stack: false
    .vgpr_count:     184
    .vgpr_spill_count: 300
    .wavefront_size: 32
    .workgroup_processor_mode: 1
  - .args:
      - .actual_access:  read_only
        .address_space:  global
        .offset:         0
        .size:           8
        .value_kind:     global_buffer
      - .actual_access:  read_only
        .address_space:  global
        .offset:         8
        .size:           8
        .value_kind:     global_buffer
      - .actual_access:  write_only
        .address_space:  global
        .offset:         16
        .size:           8
        .value_kind:     global_buffer
      - .actual_access:  write_only
        .address_space:  global
        .offset:         24
        .size:           8
        .value_kind:     global_buffer
      - .offset:         32
        .size:           8
        .value_kind:     by_value
      - .offset:         40
        .size:           4
        .value_kind:     by_value
      - .offset:         44
        .size:           4
        .value_kind:     by_value
      - .offset:         48
        .size:           4
        .value_kind:     by_value
    .group_segment_fixed_size: 0
    .kernarg_segment_align: 8
    .kernarg_segment_size: 52
    .language:       OpenCL C
    .language_version:
      - 2
      - 0
    .max_flat_workgroup_size: 1024
    .name:           _ZN5aiter24topk_softplus_kernel_optIffLi384ELb0ELi0EEEvPKT_PKT0_PfPimiif
    .private_segment_fixed_size: 196
    .sgpr_count:     18
    .sgpr_spill_count: 0
    .symbol:         _ZN5aiter24topk_softplus_kernel_optIffLi384ELb0ELi0EEEvPKT_PKT0_PfPimiif.kd
    .uniform_work_group_size: 1
    .uses_dynamic_stack: false
    .vgpr_count:     184
    .vgpr_spill_count: 300
    .wavefront_size: 32
    .workgroup_processor_mode: 1
  - .args:
      - .actual_access:  read_only
        .address_space:  global
        .offset:         0
        .size:           8
        .value_kind:     global_buffer
      - .actual_access:  read_only
        .address_space:  global
        .offset:         8
        .size:           8
        .value_kind:     global_buffer
      - .actual_access:  write_only
        .address_space:  global
        .offset:         16
        .size:           8
        .value_kind:     global_buffer
      - .actual_access:  write_only
        .address_space:  global
        .offset:         24
        .size:           8
        .value_kind:     global_buffer
      - .offset:         32
        .size:           8
        .value_kind:     by_value
      - .offset:         40
        .size:           4
        .value_kind:     by_value
      - .offset:         44
        .size:           4
        .value_kind:     by_value
      - .offset:         48
        .size:           4
        .value_kind:     by_value
      - .offset:         52
        .size:           4
        .value_kind:     by_value
      - .offset:         56
        .size:           4
        .value_kind:     hidden_block_count_x
      - .offset:         60
        .size:           4
        .value_kind:     hidden_block_count_y
      - .offset:         64
        .size:           4
        .value_kind:     hidden_block_count_z
      - .offset:         68
        .size:           2
        .value_kind:     hidden_group_size_x
      - .offset:         70
        .size:           2
        .value_kind:     hidden_group_size_y
      - .offset:         72
        .size:           2
        .value_kind:     hidden_group_size_z
      - .offset:         74
        .size:           2
        .value_kind:     hidden_remainder_x
      - .offset:         76
        .size:           2
        .value_kind:     hidden_remainder_y
      - .offset:         78
        .size:           2
        .value_kind:     hidden_remainder_z
      - .offset:         96
        .size:           8
        .value_kind:     hidden_global_offset_x
      - .offset:         104
        .size:           8
        .value_kind:     hidden_global_offset_y
      - .offset:         112
        .size:           8
        .value_kind:     hidden_global_offset_z
      - .offset:         120
        .size:           2
        .value_kind:     hidden_grid_dims
      - .offset:         176
        .size:           4
        .value_kind:     hidden_dynamic_lds_size
    .group_segment_fixed_size: 0
    .kernarg_segment_align: 8
    .kernarg_segment_size: 312
    .language:       OpenCL C
    .language_version:
      - 2
      - 0
    .max_flat_workgroup_size: 1024
    .name:           _ZN5aiter20topk_softplus_kernelIffDv4_fLb1ELi0EEEvPKT_PKT0_PfPimiiif
    .private_segment_fixed_size: 0
    .sgpr_count:     32
    .sgpr_spill_count: 0
    .symbol:         _ZN5aiter20topk_softplus_kernelIffDv4_fLb1ELi0EEEvPKT_PKT0_PfPimiiif.kd
    .uniform_work_group_size: 1
    .uses_dynamic_stack: false
    .vgpr_count:     19
    .vgpr_spill_count: 0
    .wavefront_size: 32
    .workgroup_processor_mode: 1
  - .args:
      - .actual_access:  read_only
        .address_space:  global
        .offset:         0
        .size:           8
        .value_kind:     global_buffer
      - .actual_access:  read_only
        .address_space:  global
        .offset:         8
        .size:           8
        .value_kind:     global_buffer
      - .actual_access:  write_only
        .address_space:  global
        .offset:         16
        .size:           8
        .value_kind:     global_buffer
      - .actual_access:  write_only
        .address_space:  global
        .offset:         24
        .size:           8
        .value_kind:     global_buffer
      - .offset:         32
        .size:           8
        .value_kind:     by_value
      - .offset:         40
        .size:           4
        .value_kind:     by_value
      - .offset:         44
        .size:           4
        .value_kind:     by_value
      - .offset:         48
        .size:           4
        .value_kind:     by_value
      - .offset:         52
        .size:           4
        .value_kind:     by_value
      - .offset:         56
        .size:           4
        .value_kind:     hidden_block_count_x
      - .offset:         60
        .size:           4
        .value_kind:     hidden_block_count_y
      - .offset:         64
        .size:           4
        .value_kind:     hidden_block_count_z
      - .offset:         68
        .size:           2
        .value_kind:     hidden_group_size_x
      - .offset:         70
        .size:           2
        .value_kind:     hidden_group_size_y
      - .offset:         72
        .size:           2
        .value_kind:     hidden_group_size_z
      - .offset:         74
        .size:           2
        .value_kind:     hidden_remainder_x
      - .offset:         76
        .size:           2
        .value_kind:     hidden_remainder_y
      - .offset:         78
        .size:           2
        .value_kind:     hidden_remainder_z
      - .offset:         96
        .size:           8
        .value_kind:     hidden_global_offset_x
      - .offset:         104
        .size:           8
        .value_kind:     hidden_global_offset_y
      - .offset:         112
        .size:           8
        .value_kind:     hidden_global_offset_z
      - .offset:         120
        .size:           2
        .value_kind:     hidden_grid_dims
      - .offset:         176
        .size:           4
        .value_kind:     hidden_dynamic_lds_size
    .group_segment_fixed_size: 0
    .kernarg_segment_align: 8
    .kernarg_segment_size: 312
    .language:       OpenCL C
    .language_version:
      - 2
      - 0
    .max_flat_workgroup_size: 1024
    .name:           _ZN5aiter20topk_softplus_kernelIffDv4_fLb0ELi0EEEvPKT_PKT0_PfPimiiif
    .private_segment_fixed_size: 0
    .sgpr_count:     32
    .sgpr_spill_count: 0
    .symbol:         _ZN5aiter20topk_softplus_kernelIffDv4_fLb0ELi0EEEvPKT_PKT0_PfPimiiif.kd
    .uniform_work_group_size: 1
    .uses_dynamic_stack: false
    .vgpr_count:     19
    .vgpr_spill_count: 0
    .wavefront_size: 32
    .workgroup_processor_mode: 1
  - .args:
      - .actual_access:  read_only
        .address_space:  global
        .offset:         0
        .size:           8
        .value_kind:     global_buffer
      - .actual_access:  read_only
        .address_space:  global
        .offset:         8
        .size:           8
        .value_kind:     global_buffer
      - .actual_access:  write_only
        .address_space:  global
        .offset:         16
        .size:           8
        .value_kind:     global_buffer
      - .actual_access:  write_only
        .address_space:  global
        .offset:         24
        .size:           8
        .value_kind:     global_buffer
      - .offset:         32
        .size:           8
        .value_kind:     by_value
      - .offset:         40
        .size:           4
        .value_kind:     by_value
      - .offset:         44
        .size:           4
        .value_kind:     by_value
      - .offset:         48
        .size:           4
        .value_kind:     by_value
      - .offset:         52
        .size:           4
        .value_kind:     by_value
      - .offset:         56
        .size:           4
        .value_kind:     hidden_block_count_x
      - .offset:         60
        .size:           4
        .value_kind:     hidden_block_count_y
      - .offset:         64
        .size:           4
        .value_kind:     hidden_block_count_z
      - .offset:         68
        .size:           2
        .value_kind:     hidden_group_size_x
      - .offset:         70
        .size:           2
        .value_kind:     hidden_group_size_y
      - .offset:         72
        .size:           2
        .value_kind:     hidden_group_size_z
      - .offset:         74
        .size:           2
        .value_kind:     hidden_remainder_x
      - .offset:         76
        .size:           2
        .value_kind:     hidden_remainder_y
      - .offset:         78
        .size:           2
        .value_kind:     hidden_remainder_z
      - .offset:         96
        .size:           8
        .value_kind:     hidden_global_offset_x
      - .offset:         104
        .size:           8
        .value_kind:     hidden_global_offset_y
      - .offset:         112
        .size:           8
        .value_kind:     hidden_global_offset_z
      - .offset:         120
        .size:           2
        .value_kind:     hidden_grid_dims
      - .offset:         176
        .size:           4
        .value_kind:     hidden_dynamic_lds_size
    .group_segment_fixed_size: 0
    .kernarg_segment_align: 8
    .kernarg_segment_size: 312
    .language:       OpenCL C
    .language_version:
      - 2
      - 0
    .max_flat_workgroup_size: 1024
    .name:           _ZN5aiter20topk_softplus_kernelIffDv2_fLb1ELi0EEEvPKT_PKT0_PfPimiiif
    .private_segment_fixed_size: 0
    .sgpr_count:     25
    .sgpr_spill_count: 0
    .symbol:         _ZN5aiter20topk_softplus_kernelIffDv2_fLb1ELi0EEEvPKT_PKT0_PfPimiiif.kd
    .uniform_work_group_size: 1
    .uses_dynamic_stack: false
    .vgpr_count:     14
    .vgpr_spill_count: 0
    .wavefront_size: 32
    .workgroup_processor_mode: 1
  - .args:
      - .actual_access:  read_only
        .address_space:  global
        .offset:         0
        .size:           8
        .value_kind:     global_buffer
      - .actual_access:  read_only
        .address_space:  global
        .offset:         8
        .size:           8
        .value_kind:     global_buffer
      - .actual_access:  write_only
        .address_space:  global
        .offset:         16
        .size:           8
        .value_kind:     global_buffer
      - .actual_access:  write_only
        .address_space:  global
        .offset:         24
        .size:           8
        .value_kind:     global_buffer
      - .offset:         32
        .size:           8
        .value_kind:     by_value
      - .offset:         40
        .size:           4
        .value_kind:     by_value
      - .offset:         44
        .size:           4
        .value_kind:     by_value
      - .offset:         48
        .size:           4
        .value_kind:     by_value
      - .offset:         52
        .size:           4
        .value_kind:     by_value
      - .offset:         56
        .size:           4
        .value_kind:     hidden_block_count_x
      - .offset:         60
        .size:           4
        .value_kind:     hidden_block_count_y
      - .offset:         64
        .size:           4
        .value_kind:     hidden_block_count_z
      - .offset:         68
        .size:           2
        .value_kind:     hidden_group_size_x
      - .offset:         70
        .size:           2
        .value_kind:     hidden_group_size_y
      - .offset:         72
        .size:           2
        .value_kind:     hidden_group_size_z
      - .offset:         74
        .size:           2
        .value_kind:     hidden_remainder_x
      - .offset:         76
        .size:           2
        .value_kind:     hidden_remainder_y
      - .offset:         78
        .size:           2
        .value_kind:     hidden_remainder_z
      - .offset:         96
        .size:           8
        .value_kind:     hidden_global_offset_x
      - .offset:         104
        .size:           8
        .value_kind:     hidden_global_offset_y
      - .offset:         112
        .size:           8
        .value_kind:     hidden_global_offset_z
      - .offset:         120
        .size:           2
        .value_kind:     hidden_grid_dims
      - .offset:         176
        .size:           4
        .value_kind:     hidden_dynamic_lds_size
    .group_segment_fixed_size: 0
    .kernarg_segment_align: 8
    .kernarg_segment_size: 312
    .language:       OpenCL C
    .language_version:
      - 2
      - 0
    .max_flat_workgroup_size: 1024
    .name:           _ZN5aiter20topk_softplus_kernelIffDv2_fLb0ELi0EEEvPKT_PKT0_PfPimiiif
    .private_segment_fixed_size: 0
    .sgpr_count:     25
    .sgpr_spill_count: 0
    .symbol:         _ZN5aiter20topk_softplus_kernelIffDv2_fLb0ELi0EEEvPKT_PKT0_PfPimiiif.kd
    .uniform_work_group_size: 1
    .uses_dynamic_stack: false
    .vgpr_count:     13
    .vgpr_spill_count: 0
    .wavefront_size: 32
    .workgroup_processor_mode: 1
  - .args:
      - .actual_access:  read_only
        .address_space:  global
        .offset:         0
        .size:           8
        .value_kind:     global_buffer
      - .actual_access:  read_only
        .address_space:  global
        .offset:         8
        .size:           8
        .value_kind:     global_buffer
      - .actual_access:  write_only
        .address_space:  global
        .offset:         16
        .size:           8
        .value_kind:     global_buffer
      - .actual_access:  write_only
        .address_space:  global
        .offset:         24
        .size:           8
        .value_kind:     global_buffer
      - .offset:         32
        .size:           8
        .value_kind:     by_value
      - .offset:         40
        .size:           4
        .value_kind:     by_value
      - .offset:         44
        .size:           4
        .value_kind:     by_value
      - .offset:         48
        .size:           4
        .value_kind:     by_value
      - .offset:         52
        .size:           4
        .value_kind:     by_value
      - .offset:         56
        .size:           4
        .value_kind:     hidden_block_count_x
      - .offset:         60
        .size:           4
        .value_kind:     hidden_block_count_y
      - .offset:         64
        .size:           4
        .value_kind:     hidden_block_count_z
      - .offset:         68
        .size:           2
        .value_kind:     hidden_group_size_x
      - .offset:         70
        .size:           2
        .value_kind:     hidden_group_size_y
      - .offset:         72
        .size:           2
        .value_kind:     hidden_group_size_z
      - .offset:         74
        .size:           2
        .value_kind:     hidden_remainder_x
      - .offset:         76
        .size:           2
        .value_kind:     hidden_remainder_y
      - .offset:         78
        .size:           2
        .value_kind:     hidden_remainder_z
      - .offset:         96
        .size:           8
        .value_kind:     hidden_global_offset_x
      - .offset:         104
        .size:           8
        .value_kind:     hidden_global_offset_y
      - .offset:         112
        .size:           8
        .value_kind:     hidden_global_offset_z
      - .offset:         120
        .size:           2
        .value_kind:     hidden_grid_dims
      - .offset:         176
        .size:           4
        .value_kind:     hidden_dynamic_lds_size
    .group_segment_fixed_size: 0
    .kernarg_segment_align: 8
    .kernarg_segment_size: 312
    .language:       OpenCL C
    .language_version:
      - 2
      - 0
    .max_flat_workgroup_size: 1024
    .name:           _ZN5aiter20topk_softplus_kernelIffDv1_fLb1ELi0EEEvPKT_PKT0_PfPimiiif
    .private_segment_fixed_size: 0
    .sgpr_count:     24
    .sgpr_spill_count: 0
    .symbol:         _ZN5aiter20topk_softplus_kernelIffDv1_fLb1ELi0EEEvPKT_PKT0_PfPimiiif.kd
    .uniform_work_group_size: 1
    .uses_dynamic_stack: false
    .vgpr_count:     12
    .vgpr_spill_count: 0
    .wavefront_size: 32
    .workgroup_processor_mode: 1
  - .args:
      - .actual_access:  read_only
        .address_space:  global
        .offset:         0
        .size:           8
        .value_kind:     global_buffer
      - .actual_access:  read_only
        .address_space:  global
        .offset:         8
        .size:           8
        .value_kind:     global_buffer
      - .actual_access:  write_only
        .address_space:  global
        .offset:         16
        .size:           8
        .value_kind:     global_buffer
      - .actual_access:  write_only
        .address_space:  global
        .offset:         24
        .size:           8
        .value_kind:     global_buffer
      - .offset:         32
        .size:           8
        .value_kind:     by_value
      - .offset:         40
        .size:           4
        .value_kind:     by_value
      - .offset:         44
        .size:           4
        .value_kind:     by_value
      - .offset:         48
        .size:           4
        .value_kind:     by_value
      - .offset:         52
        .size:           4
        .value_kind:     by_value
      - .offset:         56
        .size:           4
        .value_kind:     hidden_block_count_x
      - .offset:         60
        .size:           4
        .value_kind:     hidden_block_count_y
      - .offset:         64
        .size:           4
        .value_kind:     hidden_block_count_z
      - .offset:         68
        .size:           2
        .value_kind:     hidden_group_size_x
      - .offset:         70
        .size:           2
        .value_kind:     hidden_group_size_y
      - .offset:         72
        .size:           2
        .value_kind:     hidden_group_size_z
      - .offset:         74
        .size:           2
        .value_kind:     hidden_remainder_x
      - .offset:         76
        .size:           2
        .value_kind:     hidden_remainder_y
      - .offset:         78
        .size:           2
        .value_kind:     hidden_remainder_z
      - .offset:         96
        .size:           8
        .value_kind:     hidden_global_offset_x
      - .offset:         104
        .size:           8
        .value_kind:     hidden_global_offset_y
      - .offset:         112
        .size:           8
        .value_kind:     hidden_global_offset_z
      - .offset:         120
        .size:           2
        .value_kind:     hidden_grid_dims
      - .offset:         176
        .size:           4
        .value_kind:     hidden_dynamic_lds_size
    .group_segment_fixed_size: 0
    .kernarg_segment_align: 8
    .kernarg_segment_size: 312
    .language:       OpenCL C
    .language_version:
      - 2
      - 0
    .max_flat_workgroup_size: 1024
    .name:           _ZN5aiter20topk_softplus_kernelIffDv1_fLb0ELi0EEEvPKT_PKT0_PfPimiiif
    .private_segment_fixed_size: 0
    .sgpr_count:     24
    .sgpr_spill_count: 0
    .symbol:         _ZN5aiter20topk_softplus_kernelIffDv1_fLb0ELi0EEEvPKT_PKT0_PfPimiiif.kd
    .uniform_work_group_size: 1
    .uses_dynamic_stack: false
    .vgpr_count:     12
    .vgpr_spill_count: 0
    .wavefront_size: 32
    .workgroup_processor_mode: 1
  - .args:
      - .actual_access:  read_only
        .address_space:  global
        .offset:         0
        .size:           8
        .value_kind:     global_buffer
      - .actual_access:  read_only
        .address_space:  global
        .offset:         8
        .size:           8
        .value_kind:     global_buffer
      - .actual_access:  write_only
        .address_space:  global
        .offset:         16
        .size:           8
        .value_kind:     global_buffer
      - .actual_access:  write_only
        .address_space:  global
        .offset:         24
        .size:           8
        .value_kind:     global_buffer
      - .offset:         32
        .size:           8
        .value_kind:     by_value
      - .offset:         40
        .size:           4
        .value_kind:     by_value
      - .offset:         44
        .size:           4
        .value_kind:     by_value
      - .offset:         48
        .size:           4
        .value_kind:     by_value
    .group_segment_fixed_size: 0
    .kernarg_segment_align: 8
    .kernarg_segment_size: 52
    .language:       OpenCL C
    .language_version:
      - 2
      - 0
    .max_flat_workgroup_size: 1024
    .name:           _ZN5aiter24topk_softplus_kernel_optIf6__halfLi64ELb1ELi1EEEvPKT_PKT0_PfPimiif
    .private_segment_fixed_size: 0
    .sgpr_count:     18
    .sgpr_spill_count: 0
    .symbol:         _ZN5aiter24topk_softplus_kernel_optIf6__halfLi64ELb1ELi1EEEvPKT_PKT0_PfPimiif.kd
    .uniform_work_group_size: 1
    .uses_dynamic_stack: false
    .vgpr_count:     18
    .vgpr_spill_count: 0
    .wavefront_size: 32
    .workgroup_processor_mode: 1
  - .args:
      - .actual_access:  read_only
        .address_space:  global
        .offset:         0
        .size:           8
        .value_kind:     global_buffer
      - .actual_access:  read_only
        .address_space:  global
        .offset:         8
        .size:           8
        .value_kind:     global_buffer
      - .actual_access:  write_only
        .address_space:  global
        .offset:         16
        .size:           8
        .value_kind:     global_buffer
      - .actual_access:  write_only
        .address_space:  global
        .offset:         24
        .size:           8
        .value_kind:     global_buffer
      - .offset:         32
        .size:           8
        .value_kind:     by_value
      - .offset:         40
        .size:           4
        .value_kind:     by_value
      - .offset:         44
        .size:           4
        .value_kind:     by_value
      - .offset:         48
        .size:           4
        .value_kind:     by_value
    .group_segment_fixed_size: 0
    .kernarg_segment_align: 8
    .kernarg_segment_size: 52
    .language:       OpenCL C
    .language_version:
      - 2
      - 0
    .max_flat_workgroup_size: 1024
    .name:           _ZN5aiter24topk_softplus_kernel_optIf6__halfLi64ELb0ELi1EEEvPKT_PKT0_PfPimiif
    .private_segment_fixed_size: 0
    .sgpr_count:     18
    .sgpr_spill_count: 0
    .symbol:         _ZN5aiter24topk_softplus_kernel_optIf6__halfLi64ELb0ELi1EEEvPKT_PKT0_PfPimiif.kd
    .uniform_work_group_size: 1
    .uses_dynamic_stack: false
    .vgpr_count:     15
    .vgpr_spill_count: 0
    .wavefront_size: 32
    .workgroup_processor_mode: 1
  - .args:
      - .actual_access:  read_only
        .address_space:  global
        .offset:         0
        .size:           8
        .value_kind:     global_buffer
      - .actual_access:  read_only
        .address_space:  global
        .offset:         8
        .size:           8
        .value_kind:     global_buffer
      - .actual_access:  write_only
        .address_space:  global
        .offset:         16
        .size:           8
        .value_kind:     global_buffer
      - .actual_access:  write_only
        .address_space:  global
        .offset:         24
        .size:           8
        .value_kind:     global_buffer
      - .offset:         32
        .size:           8
        .value_kind:     by_value
      - .offset:         40
        .size:           4
        .value_kind:     by_value
      - .offset:         44
        .size:           4
        .value_kind:     by_value
      - .offset:         48
        .size:           4
        .value_kind:     by_value
    .group_segment_fixed_size: 0
    .kernarg_segment_align: 8
    .kernarg_segment_size: 52
    .language:       OpenCL C
    .language_version:
      - 2
      - 0
    .max_flat_workgroup_size: 1024
    .name:           _ZN5aiter24topk_softplus_kernel_optIf6__halfLi128ELb1ELi1EEEvPKT_PKT0_PfPimiif
    .private_segment_fixed_size: 0
    .sgpr_count:     18
    .sgpr_spill_count: 0
    .symbol:         _ZN5aiter24topk_softplus_kernel_optIf6__halfLi128ELb1ELi1EEEvPKT_PKT0_PfPimiif.kd
    .uniform_work_group_size: 1
    .uses_dynamic_stack: false
    .vgpr_count:     25
    .vgpr_spill_count: 0
    .wavefront_size: 32
    .workgroup_processor_mode: 1
  - .args:
      - .actual_access:  read_only
        .address_space:  global
        .offset:         0
        .size:           8
        .value_kind:     global_buffer
      - .actual_access:  read_only
        .address_space:  global
        .offset:         8
        .size:           8
        .value_kind:     global_buffer
      - .actual_access:  write_only
        .address_space:  global
        .offset:         16
        .size:           8
        .value_kind:     global_buffer
      - .actual_access:  write_only
        .address_space:  global
        .offset:         24
        .size:           8
        .value_kind:     global_buffer
      - .offset:         32
        .size:           8
        .value_kind:     by_value
      - .offset:         40
        .size:           4
        .value_kind:     by_value
      - .offset:         44
        .size:           4
        .value_kind:     by_value
      - .offset:         48
        .size:           4
        .value_kind:     by_value
    .group_segment_fixed_size: 0
    .kernarg_segment_align: 8
    .kernarg_segment_size: 52
    .language:       OpenCL C
    .language_version:
      - 2
      - 0
    .max_flat_workgroup_size: 1024
    .name:           _ZN5aiter24topk_softplus_kernel_optIf6__halfLi128ELb0ELi1EEEvPKT_PKT0_PfPimiif
    .private_segment_fixed_size: 0
    .sgpr_count:     18
    .sgpr_spill_count: 0
    .symbol:         _ZN5aiter24topk_softplus_kernel_optIf6__halfLi128ELb0ELi1EEEvPKT_PKT0_PfPimiif.kd
    .uniform_work_group_size: 1
    .uses_dynamic_stack: false
    .vgpr_count:     23
    .vgpr_spill_count: 0
    .wavefront_size: 32
    .workgroup_processor_mode: 1
  - .args:
      - .actual_access:  read_only
        .address_space:  global
        .offset:         0
        .size:           8
        .value_kind:     global_buffer
      - .actual_access:  read_only
        .address_space:  global
        .offset:         8
        .size:           8
        .value_kind:     global_buffer
      - .actual_access:  write_only
        .address_space:  global
        .offset:         16
        .size:           8
        .value_kind:     global_buffer
      - .actual_access:  write_only
        .address_space:  global
        .offset:         24
        .size:           8
        .value_kind:     global_buffer
      - .offset:         32
        .size:           8
        .value_kind:     by_value
      - .offset:         40
        .size:           4
        .value_kind:     by_value
      - .offset:         44
        .size:           4
        .value_kind:     by_value
      - .offset:         48
        .size:           4
        .value_kind:     by_value
    .group_segment_fixed_size: 0
    .kernarg_segment_align: 8
    .kernarg_segment_size: 52
    .language:       OpenCL C
    .language_version:
      - 2
      - 0
    .max_flat_workgroup_size: 1024
    .name:           _ZN5aiter24topk_softplus_kernel_optIf6__halfLi256ELb1ELi1EEEvPKT_PKT0_PfPimiif
    .private_segment_fixed_size: 0
    .sgpr_count:     18
    .sgpr_spill_count: 0
    .symbol:         _ZN5aiter24topk_softplus_kernel_optIf6__halfLi256ELb1ELi1EEEvPKT_PKT0_PfPimiif.kd
    .uniform_work_group_size: 1
    .uses_dynamic_stack: false
    .vgpr_count:     104
    .vgpr_spill_count: 0
    .wavefront_size: 32
    .workgroup_processor_mode: 1
  - .args:
      - .actual_access:  read_only
        .address_space:  global
        .offset:         0
        .size:           8
        .value_kind:     global_buffer
      - .actual_access:  read_only
        .address_space:  global
        .offset:         8
        .size:           8
        .value_kind:     global_buffer
      - .actual_access:  write_only
        .address_space:  global
        .offset:         16
        .size:           8
        .value_kind:     global_buffer
      - .actual_access:  write_only
        .address_space:  global
        .offset:         24
        .size:           8
        .value_kind:     global_buffer
      - .offset:         32
        .size:           8
        .value_kind:     by_value
      - .offset:         40
        .size:           4
        .value_kind:     by_value
      - .offset:         44
        .size:           4
        .value_kind:     by_value
      - .offset:         48
        .size:           4
        .value_kind:     by_value
    .group_segment_fixed_size: 0
    .kernarg_segment_align: 8
    .kernarg_segment_size: 52
    .language:       OpenCL C
    .language_version:
      - 2
      - 0
    .max_flat_workgroup_size: 1024
    .name:           _ZN5aiter24topk_softplus_kernel_optIf6__halfLi256ELb0ELi1EEEvPKT_PKT0_PfPimiif
    .private_segment_fixed_size: 0
    .sgpr_count:     18
    .sgpr_spill_count: 0
    .symbol:         _ZN5aiter24topk_softplus_kernel_optIf6__halfLi256ELb0ELi1EEEvPKT_PKT0_PfPimiif.kd
    .uniform_work_group_size: 1
    .uses_dynamic_stack: false
    .vgpr_count:     104
    .vgpr_spill_count: 0
    .wavefront_size: 32
    .workgroup_processor_mode: 1
  - .args:
      - .actual_access:  read_only
        .address_space:  global
        .offset:         0
        .size:           8
        .value_kind:     global_buffer
      - .actual_access:  read_only
        .address_space:  global
        .offset:         8
        .size:           8
        .value_kind:     global_buffer
      - .actual_access:  write_only
        .address_space:  global
        .offset:         16
        .size:           8
        .value_kind:     global_buffer
      - .actual_access:  write_only
        .address_space:  global
        .offset:         24
        .size:           8
        .value_kind:     global_buffer
      - .offset:         32
        .size:           8
        .value_kind:     by_value
      - .offset:         40
        .size:           4
        .value_kind:     by_value
      - .offset:         44
        .size:           4
        .value_kind:     by_value
      - .offset:         48
        .size:           4
        .value_kind:     by_value
    .group_segment_fixed_size: 0
    .kernarg_segment_align: 8
    .kernarg_segment_size: 52
    .language:       OpenCL C
    .language_version:
      - 2
      - 0
    .max_flat_workgroup_size: 1024
    .name:           _ZN5aiter24topk_softplus_kernel_optIf6__halfLi384ELb1ELi1EEEvPKT_PKT0_PfPimiif
    .private_segment_fixed_size: 196
    .sgpr_count:     18
    .sgpr_spill_count: 0
    .symbol:         _ZN5aiter24topk_softplus_kernel_optIf6__halfLi384ELb1ELi1EEEvPKT_PKT0_PfPimiif.kd
    .uniform_work_group_size: 1
    .uses_dynamic_stack: false
    .vgpr_count:     184
    .vgpr_spill_count: 300
    .wavefront_size: 32
    .workgroup_processor_mode: 1
  - .args:
      - .actual_access:  read_only
        .address_space:  global
        .offset:         0
        .size:           8
        .value_kind:     global_buffer
      - .actual_access:  read_only
        .address_space:  global
        .offset:         8
        .size:           8
        .value_kind:     global_buffer
      - .actual_access:  write_only
        .address_space:  global
        .offset:         16
        .size:           8
        .value_kind:     global_buffer
      - .actual_access:  write_only
        .address_space:  global
        .offset:         24
        .size:           8
        .value_kind:     global_buffer
      - .offset:         32
        .size:           8
        .value_kind:     by_value
      - .offset:         40
        .size:           4
        .value_kind:     by_value
      - .offset:         44
        .size:           4
        .value_kind:     by_value
      - .offset:         48
        .size:           4
        .value_kind:     by_value
    .group_segment_fixed_size: 0
    .kernarg_segment_align: 8
    .kernarg_segment_size: 52
    .language:       OpenCL C
    .language_version:
      - 2
      - 0
    .max_flat_workgroup_size: 1024
    .name:           _ZN5aiter24topk_softplus_kernel_optIf6__halfLi384ELb0ELi1EEEvPKT_PKT0_PfPimiif
    .private_segment_fixed_size: 196
    .sgpr_count:     18
    .sgpr_spill_count: 0
    .symbol:         _ZN5aiter24topk_softplus_kernel_optIf6__halfLi384ELb0ELi1EEEvPKT_PKT0_PfPimiif.kd
    .uniform_work_group_size: 1
    .uses_dynamic_stack: false
    .vgpr_count:     184
    .vgpr_spill_count: 300
    .wavefront_size: 32
    .workgroup_processor_mode: 1
  - .args:
      - .actual_access:  read_only
        .address_space:  global
        .offset:         0
        .size:           8
        .value_kind:     global_buffer
      - .actual_access:  read_only
        .address_space:  global
        .offset:         8
        .size:           8
        .value_kind:     global_buffer
      - .actual_access:  write_only
        .address_space:  global
        .offset:         16
        .size:           8
        .value_kind:     global_buffer
      - .actual_access:  write_only
        .address_space:  global
        .offset:         24
        .size:           8
        .value_kind:     global_buffer
      - .offset:         32
        .size:           8
        .value_kind:     by_value
      - .offset:         40
        .size:           4
        .value_kind:     by_value
      - .offset:         44
        .size:           4
        .value_kind:     by_value
      - .offset:         48
        .size:           4
        .value_kind:     by_value
      - .offset:         52
        .size:           4
        .value_kind:     by_value
      - .offset:         56
        .size:           4
        .value_kind:     hidden_block_count_x
      - .offset:         60
        .size:           4
        .value_kind:     hidden_block_count_y
      - .offset:         64
        .size:           4
        .value_kind:     hidden_block_count_z
      - .offset:         68
        .size:           2
        .value_kind:     hidden_group_size_x
      - .offset:         70
        .size:           2
        .value_kind:     hidden_group_size_y
      - .offset:         72
        .size:           2
        .value_kind:     hidden_group_size_z
      - .offset:         74
        .size:           2
        .value_kind:     hidden_remainder_x
      - .offset:         76
        .size:           2
        .value_kind:     hidden_remainder_y
      - .offset:         78
        .size:           2
        .value_kind:     hidden_remainder_z
      - .offset:         96
        .size:           8
        .value_kind:     hidden_global_offset_x
      - .offset:         104
        .size:           8
        .value_kind:     hidden_global_offset_y
      - .offset:         112
        .size:           8
        .value_kind:     hidden_global_offset_z
      - .offset:         120
        .size:           2
        .value_kind:     hidden_grid_dims
      - .offset:         176
        .size:           4
        .value_kind:     hidden_dynamic_lds_size
    .group_segment_fixed_size: 0
    .kernarg_segment_align: 8
    .kernarg_segment_size: 312
    .language:       OpenCL C
    .language_version:
      - 2
      - 0
    .max_flat_workgroup_size: 1024
    .name:           _ZN5aiter20topk_softplus_kernelIf6__halfDv4_fLb1ELi1EEEvPKT_PKT0_PfPimiiif
    .private_segment_fixed_size: 0
    .sgpr_count:     32
    .sgpr_spill_count: 0
    .symbol:         _ZN5aiter20topk_softplus_kernelIf6__halfDv4_fLb1ELi1EEEvPKT_PKT0_PfPimiiif.kd
    .uniform_work_group_size: 1
    .uses_dynamic_stack: false
    .vgpr_count:     17
    .vgpr_spill_count: 0
    .wavefront_size: 32
    .workgroup_processor_mode: 1
  - .args:
      - .actual_access:  read_only
        .address_space:  global
        .offset:         0
        .size:           8
        .value_kind:     global_buffer
      - .actual_access:  read_only
        .address_space:  global
        .offset:         8
        .size:           8
        .value_kind:     global_buffer
      - .actual_access:  write_only
        .address_space:  global
        .offset:         16
        .size:           8
        .value_kind:     global_buffer
      - .actual_access:  write_only
        .address_space:  global
        .offset:         24
        .size:           8
        .value_kind:     global_buffer
      - .offset:         32
        .size:           8
        .value_kind:     by_value
      - .offset:         40
        .size:           4
        .value_kind:     by_value
      - .offset:         44
        .size:           4
        .value_kind:     by_value
      - .offset:         48
        .size:           4
        .value_kind:     by_value
      - .offset:         52
        .size:           4
        .value_kind:     by_value
      - .offset:         56
        .size:           4
        .value_kind:     hidden_block_count_x
      - .offset:         60
        .size:           4
        .value_kind:     hidden_block_count_y
      - .offset:         64
        .size:           4
        .value_kind:     hidden_block_count_z
      - .offset:         68
        .size:           2
        .value_kind:     hidden_group_size_x
      - .offset:         70
        .size:           2
        .value_kind:     hidden_group_size_y
      - .offset:         72
        .size:           2
        .value_kind:     hidden_group_size_z
      - .offset:         74
        .size:           2
        .value_kind:     hidden_remainder_x
      - .offset:         76
        .size:           2
        .value_kind:     hidden_remainder_y
      - .offset:         78
        .size:           2
        .value_kind:     hidden_remainder_z
      - .offset:         96
        .size:           8
        .value_kind:     hidden_global_offset_x
      - .offset:         104
        .size:           8
        .value_kind:     hidden_global_offset_y
      - .offset:         112
        .size:           8
        .value_kind:     hidden_global_offset_z
      - .offset:         120
        .size:           2
        .value_kind:     hidden_grid_dims
      - .offset:         176
        .size:           4
        .value_kind:     hidden_dynamic_lds_size
    .group_segment_fixed_size: 0
    .kernarg_segment_align: 8
    .kernarg_segment_size: 312
    .language:       OpenCL C
    .language_version:
      - 2
      - 0
    .max_flat_workgroup_size: 1024
    .name:           _ZN5aiter20topk_softplus_kernelIf6__halfDv4_fLb0ELi1EEEvPKT_PKT0_PfPimiiif
    .private_segment_fixed_size: 0
    .sgpr_count:     32
    .sgpr_spill_count: 0
    .symbol:         _ZN5aiter20topk_softplus_kernelIf6__halfDv4_fLb0ELi1EEEvPKT_PKT0_PfPimiiif.kd
    .uniform_work_group_size: 1
    .uses_dynamic_stack: false
    .vgpr_count:     16
    .vgpr_spill_count: 0
    .wavefront_size: 32
    .workgroup_processor_mode: 1
  - .args:
      - .actual_access:  read_only
        .address_space:  global
        .offset:         0
        .size:           8
        .value_kind:     global_buffer
      - .actual_access:  read_only
        .address_space:  global
        .offset:         8
        .size:           8
        .value_kind:     global_buffer
      - .actual_access:  write_only
        .address_space:  global
        .offset:         16
        .size:           8
        .value_kind:     global_buffer
      - .actual_access:  write_only
        .address_space:  global
        .offset:         24
        .size:           8
        .value_kind:     global_buffer
      - .offset:         32
        .size:           8
        .value_kind:     by_value
      - .offset:         40
        .size:           4
        .value_kind:     by_value
      - .offset:         44
        .size:           4
        .value_kind:     by_value
      - .offset:         48
        .size:           4
        .value_kind:     by_value
      - .offset:         52
        .size:           4
        .value_kind:     by_value
      - .offset:         56
        .size:           4
        .value_kind:     hidden_block_count_x
      - .offset:         60
        .size:           4
        .value_kind:     hidden_block_count_y
      - .offset:         64
        .size:           4
        .value_kind:     hidden_block_count_z
      - .offset:         68
        .size:           2
        .value_kind:     hidden_group_size_x
      - .offset:         70
        .size:           2
        .value_kind:     hidden_group_size_y
      - .offset:         72
        .size:           2
        .value_kind:     hidden_group_size_z
      - .offset:         74
        .size:           2
        .value_kind:     hidden_remainder_x
      - .offset:         76
        .size:           2
        .value_kind:     hidden_remainder_y
      - .offset:         78
        .size:           2
        .value_kind:     hidden_remainder_z
      - .offset:         96
        .size:           8
        .value_kind:     hidden_global_offset_x
      - .offset:         104
        .size:           8
        .value_kind:     hidden_global_offset_y
      - .offset:         112
        .size:           8
        .value_kind:     hidden_global_offset_z
      - .offset:         120
        .size:           2
        .value_kind:     hidden_grid_dims
      - .offset:         176
        .size:           4
        .value_kind:     hidden_dynamic_lds_size
    .group_segment_fixed_size: 0
    .kernarg_segment_align: 8
    .kernarg_segment_size: 312
    .language:       OpenCL C
    .language_version:
      - 2
      - 0
    .max_flat_workgroup_size: 1024
    .name:           _ZN5aiter20topk_softplus_kernelIf6__halfDv2_fLb1ELi1EEEvPKT_PKT0_PfPimiiif
    .private_segment_fixed_size: 0
    .sgpr_count:     26
    .sgpr_spill_count: 0
    .symbol:         _ZN5aiter20topk_softplus_kernelIf6__halfDv2_fLb1ELi1EEEvPKT_PKT0_PfPimiiif.kd
    .uniform_work_group_size: 1
    .uses_dynamic_stack: false
    .vgpr_count:     15
    .vgpr_spill_count: 0
    .wavefront_size: 32
    .workgroup_processor_mode: 1
  - .args:
      - .actual_access:  read_only
        .address_space:  global
        .offset:         0
        .size:           8
        .value_kind:     global_buffer
      - .actual_access:  read_only
        .address_space:  global
        .offset:         8
        .size:           8
        .value_kind:     global_buffer
      - .actual_access:  write_only
        .address_space:  global
        .offset:         16
        .size:           8
        .value_kind:     global_buffer
      - .actual_access:  write_only
        .address_space:  global
        .offset:         24
        .size:           8
        .value_kind:     global_buffer
      - .offset:         32
        .size:           8
        .value_kind:     by_value
      - .offset:         40
        .size:           4
        .value_kind:     by_value
      - .offset:         44
        .size:           4
        .value_kind:     by_value
      - .offset:         48
        .size:           4
        .value_kind:     by_value
      - .offset:         52
        .size:           4
        .value_kind:     by_value
      - .offset:         56
        .size:           4
        .value_kind:     hidden_block_count_x
      - .offset:         60
        .size:           4
        .value_kind:     hidden_block_count_y
      - .offset:         64
        .size:           4
        .value_kind:     hidden_block_count_z
      - .offset:         68
        .size:           2
        .value_kind:     hidden_group_size_x
      - .offset:         70
        .size:           2
        .value_kind:     hidden_group_size_y
      - .offset:         72
        .size:           2
        .value_kind:     hidden_group_size_z
      - .offset:         74
        .size:           2
        .value_kind:     hidden_remainder_x
      - .offset:         76
        .size:           2
        .value_kind:     hidden_remainder_y
      - .offset:         78
        .size:           2
        .value_kind:     hidden_remainder_z
      - .offset:         96
        .size:           8
        .value_kind:     hidden_global_offset_x
      - .offset:         104
        .size:           8
        .value_kind:     hidden_global_offset_y
      - .offset:         112
        .size:           8
        .value_kind:     hidden_global_offset_z
      - .offset:         120
        .size:           2
        .value_kind:     hidden_grid_dims
      - .offset:         176
        .size:           4
        .value_kind:     hidden_dynamic_lds_size
    .group_segment_fixed_size: 0
    .kernarg_segment_align: 8
    .kernarg_segment_size: 312
    .language:       OpenCL C
    .language_version:
      - 2
      - 0
    .max_flat_workgroup_size: 1024
    .name:           _ZN5aiter20topk_softplus_kernelIf6__halfDv2_fLb0ELi1EEEvPKT_PKT0_PfPimiiif
    .private_segment_fixed_size: 0
    .sgpr_count:     26
    .sgpr_spill_count: 0
    .symbol:         _ZN5aiter20topk_softplus_kernelIf6__halfDv2_fLb0ELi1EEEvPKT_PKT0_PfPimiiif.kd
    .uniform_work_group_size: 1
    .uses_dynamic_stack: false
    .vgpr_count:     14
    .vgpr_spill_count: 0
    .wavefront_size: 32
    .workgroup_processor_mode: 1
  - .args:
      - .actual_access:  read_only
        .address_space:  global
        .offset:         0
        .size:           8
        .value_kind:     global_buffer
      - .actual_access:  read_only
        .address_space:  global
        .offset:         8
        .size:           8
        .value_kind:     global_buffer
      - .actual_access:  write_only
        .address_space:  global
        .offset:         16
        .size:           8
        .value_kind:     global_buffer
      - .actual_access:  write_only
        .address_space:  global
        .offset:         24
        .size:           8
        .value_kind:     global_buffer
      - .offset:         32
        .size:           8
        .value_kind:     by_value
      - .offset:         40
        .size:           4
        .value_kind:     by_value
      - .offset:         44
        .size:           4
        .value_kind:     by_value
      - .offset:         48
        .size:           4
        .value_kind:     by_value
      - .offset:         52
        .size:           4
        .value_kind:     by_value
      - .offset:         56
        .size:           4
        .value_kind:     hidden_block_count_x
      - .offset:         60
        .size:           4
        .value_kind:     hidden_block_count_y
      - .offset:         64
        .size:           4
        .value_kind:     hidden_block_count_z
      - .offset:         68
        .size:           2
        .value_kind:     hidden_group_size_x
      - .offset:         70
        .size:           2
        .value_kind:     hidden_group_size_y
      - .offset:         72
        .size:           2
        .value_kind:     hidden_group_size_z
      - .offset:         74
        .size:           2
        .value_kind:     hidden_remainder_x
      - .offset:         76
        .size:           2
        .value_kind:     hidden_remainder_y
      - .offset:         78
        .size:           2
        .value_kind:     hidden_remainder_z
      - .offset:         96
        .size:           8
        .value_kind:     hidden_global_offset_x
      - .offset:         104
        .size:           8
        .value_kind:     hidden_global_offset_y
      - .offset:         112
        .size:           8
        .value_kind:     hidden_global_offset_z
      - .offset:         120
        .size:           2
        .value_kind:     hidden_grid_dims
      - .offset:         176
        .size:           4
        .value_kind:     hidden_dynamic_lds_size
    .group_segment_fixed_size: 0
    .kernarg_segment_align: 8
    .kernarg_segment_size: 312
    .language:       OpenCL C
    .language_version:
      - 2
      - 0
    .max_flat_workgroup_size: 1024
    .name:           _ZN5aiter20topk_softplus_kernelIf6__halfDv1_fLb1ELi1EEEvPKT_PKT0_PfPimiiif
    .private_segment_fixed_size: 0
    .sgpr_count:     24
    .sgpr_spill_count: 0
    .symbol:         _ZN5aiter20topk_softplus_kernelIf6__halfDv1_fLb1ELi1EEEvPKT_PKT0_PfPimiiif.kd
    .uniform_work_group_size: 1
    .uses_dynamic_stack: false
    .vgpr_count:     12
    .vgpr_spill_count: 0
    .wavefront_size: 32
    .workgroup_processor_mode: 1
  - .args:
      - .actual_access:  read_only
        .address_space:  global
        .offset:         0
        .size:           8
        .value_kind:     global_buffer
      - .actual_access:  read_only
        .address_space:  global
        .offset:         8
        .size:           8
        .value_kind:     global_buffer
      - .actual_access:  write_only
        .address_space:  global
        .offset:         16
        .size:           8
        .value_kind:     global_buffer
      - .actual_access:  write_only
        .address_space:  global
        .offset:         24
        .size:           8
        .value_kind:     global_buffer
      - .offset:         32
        .size:           8
        .value_kind:     by_value
      - .offset:         40
        .size:           4
        .value_kind:     by_value
      - .offset:         44
        .size:           4
        .value_kind:     by_value
      - .offset:         48
        .size:           4
        .value_kind:     by_value
      - .offset:         52
        .size:           4
        .value_kind:     by_value
      - .offset:         56
        .size:           4
        .value_kind:     hidden_block_count_x
      - .offset:         60
        .size:           4
        .value_kind:     hidden_block_count_y
      - .offset:         64
        .size:           4
        .value_kind:     hidden_block_count_z
      - .offset:         68
        .size:           2
        .value_kind:     hidden_group_size_x
      - .offset:         70
        .size:           2
        .value_kind:     hidden_group_size_y
      - .offset:         72
        .size:           2
        .value_kind:     hidden_group_size_z
      - .offset:         74
        .size:           2
        .value_kind:     hidden_remainder_x
      - .offset:         76
        .size:           2
        .value_kind:     hidden_remainder_y
      - .offset:         78
        .size:           2
        .value_kind:     hidden_remainder_z
      - .offset:         96
        .size:           8
        .value_kind:     hidden_global_offset_x
      - .offset:         104
        .size:           8
        .value_kind:     hidden_global_offset_y
      - .offset:         112
        .size:           8
        .value_kind:     hidden_global_offset_z
      - .offset:         120
        .size:           2
        .value_kind:     hidden_grid_dims
      - .offset:         176
        .size:           4
        .value_kind:     hidden_dynamic_lds_size
    .group_segment_fixed_size: 0
    .kernarg_segment_align: 8
    .kernarg_segment_size: 312
    .language:       OpenCL C
    .language_version:
      - 2
      - 0
    .max_flat_workgroup_size: 1024
    .name:           _ZN5aiter20topk_softplus_kernelIf6__halfDv1_fLb0ELi1EEEvPKT_PKT0_PfPimiiif
    .private_segment_fixed_size: 0
    .sgpr_count:     24
    .sgpr_spill_count: 0
    .symbol:         _ZN5aiter20topk_softplus_kernelIf6__halfDv1_fLb0ELi1EEEvPKT_PKT0_PfPimiiif.kd
    .uniform_work_group_size: 1
    .uses_dynamic_stack: false
    .vgpr_count:     11
    .vgpr_spill_count: 0
    .wavefront_size: 32
    .workgroup_processor_mode: 1
  - .args:
      - .actual_access:  read_only
        .address_space:  global
        .offset:         0
        .size:           8
        .value_kind:     global_buffer
      - .actual_access:  read_only
        .address_space:  global
        .offset:         8
        .size:           8
        .value_kind:     global_buffer
      - .actual_access:  write_only
        .address_space:  global
        .offset:         16
        .size:           8
        .value_kind:     global_buffer
      - .actual_access:  write_only
        .address_space:  global
        .offset:         24
        .size:           8
        .value_kind:     global_buffer
      - .offset:         32
        .size:           8
        .value_kind:     by_value
      - .offset:         40
        .size:           4
        .value_kind:     by_value
      - .offset:         44
        .size:           4
        .value_kind:     by_value
      - .offset:         48
        .size:           4
        .value_kind:     by_value
      - .offset:         52
        .size:           4
        .value_kind:     by_value
      - .offset:         56
        .size:           4
        .value_kind:     hidden_block_count_x
      - .offset:         60
        .size:           4
        .value_kind:     hidden_block_count_y
      - .offset:         64
        .size:           4
        .value_kind:     hidden_block_count_z
      - .offset:         68
        .size:           2
        .value_kind:     hidden_group_size_x
      - .offset:         70
        .size:           2
        .value_kind:     hidden_group_size_y
      - .offset:         72
        .size:           2
        .value_kind:     hidden_group_size_z
      - .offset:         74
        .size:           2
        .value_kind:     hidden_remainder_x
      - .offset:         76
        .size:           2
        .value_kind:     hidden_remainder_y
      - .offset:         78
        .size:           2
        .value_kind:     hidden_remainder_z
      - .offset:         96
        .size:           8
        .value_kind:     hidden_global_offset_x
      - .offset:         104
        .size:           8
        .value_kind:     hidden_global_offset_y
      - .offset:         112
        .size:           8
        .value_kind:     hidden_global_offset_z
      - .offset:         120
        .size:           2
        .value_kind:     hidden_grid_dims
      - .offset:         176
        .size:           4
        .value_kind:     hidden_dynamic_lds_size
    .group_segment_fixed_size: 0
    .kernarg_segment_align: 8
    .kernarg_segment_size: 312
    .language:       OpenCL C
    .language_version:
      - 2
      - 0
    .max_flat_workgroup_size: 1024
    .name:           _ZN5aiter20topk_softplus_kernelIf6__halfDv4_fLb1ELi2EEEvPKT_PKT0_PfPimiiif
    .private_segment_fixed_size: 0
    .sgpr_count:     25
    .sgpr_spill_count: 0
    .symbol:         _ZN5aiter20topk_softplus_kernelIf6__halfDv4_fLb1ELi2EEEvPKT_PKT0_PfPimiiif.kd
    .uniform_work_group_size: 1
    .uses_dynamic_stack: false
    .vgpr_count:     17
    .vgpr_spill_count: 0
    .wavefront_size: 32
    .workgroup_processor_mode: 1
  - .args:
      - .actual_access:  read_only
        .address_space:  global
        .offset:         0
        .size:           8
        .value_kind:     global_buffer
      - .actual_access:  read_only
        .address_space:  global
        .offset:         8
        .size:           8
        .value_kind:     global_buffer
      - .actual_access:  write_only
        .address_space:  global
        .offset:         16
        .size:           8
        .value_kind:     global_buffer
      - .actual_access:  write_only
        .address_space:  global
        .offset:         24
        .size:           8
        .value_kind:     global_buffer
      - .offset:         32
        .size:           8
        .value_kind:     by_value
      - .offset:         40
        .size:           4
        .value_kind:     by_value
      - .offset:         44
        .size:           4
        .value_kind:     by_value
      - .offset:         48
        .size:           4
        .value_kind:     by_value
      - .offset:         52
        .size:           4
        .value_kind:     by_value
      - .offset:         56
        .size:           4
        .value_kind:     hidden_block_count_x
      - .offset:         60
        .size:           4
        .value_kind:     hidden_block_count_y
      - .offset:         64
        .size:           4
        .value_kind:     hidden_block_count_z
      - .offset:         68
        .size:           2
        .value_kind:     hidden_group_size_x
      - .offset:         70
        .size:           2
        .value_kind:     hidden_group_size_y
      - .offset:         72
        .size:           2
        .value_kind:     hidden_group_size_z
      - .offset:         74
        .size:           2
        .value_kind:     hidden_remainder_x
      - .offset:         76
        .size:           2
        .value_kind:     hidden_remainder_y
      - .offset:         78
        .size:           2
        .value_kind:     hidden_remainder_z
      - .offset:         96
        .size:           8
        .value_kind:     hidden_global_offset_x
      - .offset:         104
        .size:           8
        .value_kind:     hidden_global_offset_y
      - .offset:         112
        .size:           8
        .value_kind:     hidden_global_offset_z
      - .offset:         120
        .size:           2
        .value_kind:     hidden_grid_dims
      - .offset:         176
        .size:           4
        .value_kind:     hidden_dynamic_lds_size
    .group_segment_fixed_size: 0
    .kernarg_segment_align: 8
    .kernarg_segment_size: 312
    .language:       OpenCL C
    .language_version:
      - 2
      - 0
    .max_flat_workgroup_size: 1024
    .name:           _ZN5aiter20topk_softplus_kernelIf6__halfDv4_fLb0ELi2EEEvPKT_PKT0_PfPimiiif
    .private_segment_fixed_size: 0
    .sgpr_count:     25
    .sgpr_spill_count: 0
    .symbol:         _ZN5aiter20topk_softplus_kernelIf6__halfDv4_fLb0ELi2EEEvPKT_PKT0_PfPimiiif.kd
    .uniform_work_group_size: 1
    .uses_dynamic_stack: false
    .vgpr_count:     16
    .vgpr_spill_count: 0
    .wavefront_size: 32
    .workgroup_processor_mode: 1
  - .args:
      - .actual_access:  read_only
        .address_space:  global
        .offset:         0
        .size:           8
        .value_kind:     global_buffer
      - .actual_access:  read_only
        .address_space:  global
        .offset:         8
        .size:           8
        .value_kind:     global_buffer
      - .actual_access:  write_only
        .address_space:  global
        .offset:         16
        .size:           8
        .value_kind:     global_buffer
      - .actual_access:  write_only
        .address_space:  global
        .offset:         24
        .size:           8
        .value_kind:     global_buffer
      - .offset:         32
        .size:           8
        .value_kind:     by_value
      - .offset:         40
        .size:           4
        .value_kind:     by_value
      - .offset:         44
        .size:           4
        .value_kind:     by_value
      - .offset:         48
        .size:           4
        .value_kind:     by_value
      - .offset:         52
        .size:           4
        .value_kind:     by_value
      - .offset:         56
        .size:           4
        .value_kind:     hidden_block_count_x
      - .offset:         60
        .size:           4
        .value_kind:     hidden_block_count_y
      - .offset:         64
        .size:           4
        .value_kind:     hidden_block_count_z
      - .offset:         68
        .size:           2
        .value_kind:     hidden_group_size_x
      - .offset:         70
        .size:           2
        .value_kind:     hidden_group_size_y
      - .offset:         72
        .size:           2
        .value_kind:     hidden_group_size_z
      - .offset:         74
        .size:           2
        .value_kind:     hidden_remainder_x
      - .offset:         76
        .size:           2
        .value_kind:     hidden_remainder_y
      - .offset:         78
        .size:           2
        .value_kind:     hidden_remainder_z
      - .offset:         96
        .size:           8
        .value_kind:     hidden_global_offset_x
      - .offset:         104
        .size:           8
        .value_kind:     hidden_global_offset_y
      - .offset:         112
        .size:           8
        .value_kind:     hidden_global_offset_z
      - .offset:         120
        .size:           2
        .value_kind:     hidden_grid_dims
      - .offset:         176
        .size:           4
        .value_kind:     hidden_dynamic_lds_size
    .group_segment_fixed_size: 0
    .kernarg_segment_align: 8
    .kernarg_segment_size: 312
    .language:       OpenCL C
    .language_version:
      - 2
      - 0
    .max_flat_workgroup_size: 1024
    .name:           _ZN5aiter20topk_softplus_kernelIf6__halfDv2_fLb1ELi2EEEvPKT_PKT0_PfPimiiif
    .private_segment_fixed_size: 0
    .sgpr_count:     25
    .sgpr_spill_count: 0
    .symbol:         _ZN5aiter20topk_softplus_kernelIf6__halfDv2_fLb1ELi2EEEvPKT_PKT0_PfPimiiif.kd
    .uniform_work_group_size: 1
    .uses_dynamic_stack: false
    .vgpr_count:     15
    .vgpr_spill_count: 0
    .wavefront_size: 32
    .workgroup_processor_mode: 1
  - .args:
      - .actual_access:  read_only
        .address_space:  global
        .offset:         0
        .size:           8
        .value_kind:     global_buffer
      - .actual_access:  read_only
        .address_space:  global
        .offset:         8
        .size:           8
        .value_kind:     global_buffer
      - .actual_access:  write_only
        .address_space:  global
        .offset:         16
        .size:           8
        .value_kind:     global_buffer
      - .actual_access:  write_only
        .address_space:  global
        .offset:         24
        .size:           8
        .value_kind:     global_buffer
      - .offset:         32
        .size:           8
        .value_kind:     by_value
      - .offset:         40
        .size:           4
        .value_kind:     by_value
      - .offset:         44
        .size:           4
        .value_kind:     by_value
      - .offset:         48
        .size:           4
        .value_kind:     by_value
      - .offset:         52
        .size:           4
        .value_kind:     by_value
      - .offset:         56
        .size:           4
        .value_kind:     hidden_block_count_x
      - .offset:         60
        .size:           4
        .value_kind:     hidden_block_count_y
      - .offset:         64
        .size:           4
        .value_kind:     hidden_block_count_z
      - .offset:         68
        .size:           2
        .value_kind:     hidden_group_size_x
      - .offset:         70
        .size:           2
        .value_kind:     hidden_group_size_y
      - .offset:         72
        .size:           2
        .value_kind:     hidden_group_size_z
      - .offset:         74
        .size:           2
        .value_kind:     hidden_remainder_x
      - .offset:         76
        .size:           2
        .value_kind:     hidden_remainder_y
      - .offset:         78
        .size:           2
        .value_kind:     hidden_remainder_z
      - .offset:         96
        .size:           8
        .value_kind:     hidden_global_offset_x
      - .offset:         104
        .size:           8
        .value_kind:     hidden_global_offset_y
      - .offset:         112
        .size:           8
        .value_kind:     hidden_global_offset_z
      - .offset:         120
        .size:           2
        .value_kind:     hidden_grid_dims
      - .offset:         176
        .size:           4
        .value_kind:     hidden_dynamic_lds_size
    .group_segment_fixed_size: 0
    .kernarg_segment_align: 8
    .kernarg_segment_size: 312
    .language:       OpenCL C
    .language_version:
      - 2
      - 0
    .max_flat_workgroup_size: 1024
    .name:           _ZN5aiter20topk_softplus_kernelIf6__halfDv2_fLb0ELi2EEEvPKT_PKT0_PfPimiiif
    .private_segment_fixed_size: 0
    .sgpr_count:     25
    .sgpr_spill_count: 0
    .symbol:         _ZN5aiter20topk_softplus_kernelIf6__halfDv2_fLb0ELi2EEEvPKT_PKT0_PfPimiiif.kd
    .uniform_work_group_size: 1
    .uses_dynamic_stack: false
    .vgpr_count:     14
    .vgpr_spill_count: 0
    .wavefront_size: 32
    .workgroup_processor_mode: 1
  - .args:
      - .actual_access:  read_only
        .address_space:  global
        .offset:         0
        .size:           8
        .value_kind:     global_buffer
      - .actual_access:  read_only
        .address_space:  global
        .offset:         8
        .size:           8
        .value_kind:     global_buffer
      - .actual_access:  write_only
        .address_space:  global
        .offset:         16
        .size:           8
        .value_kind:     global_buffer
      - .actual_access:  write_only
        .address_space:  global
        .offset:         24
        .size:           8
        .value_kind:     global_buffer
      - .offset:         32
        .size:           8
        .value_kind:     by_value
      - .offset:         40
        .size:           4
        .value_kind:     by_value
      - .offset:         44
        .size:           4
        .value_kind:     by_value
      - .offset:         48
        .size:           4
        .value_kind:     by_value
      - .offset:         52
        .size:           4
        .value_kind:     by_value
      - .offset:         56
        .size:           4
        .value_kind:     hidden_block_count_x
      - .offset:         60
        .size:           4
        .value_kind:     hidden_block_count_y
      - .offset:         64
        .size:           4
        .value_kind:     hidden_block_count_z
      - .offset:         68
        .size:           2
        .value_kind:     hidden_group_size_x
      - .offset:         70
        .size:           2
        .value_kind:     hidden_group_size_y
      - .offset:         72
        .size:           2
        .value_kind:     hidden_group_size_z
      - .offset:         74
        .size:           2
        .value_kind:     hidden_remainder_x
      - .offset:         76
        .size:           2
        .value_kind:     hidden_remainder_y
      - .offset:         78
        .size:           2
        .value_kind:     hidden_remainder_z
      - .offset:         96
        .size:           8
        .value_kind:     hidden_global_offset_x
      - .offset:         104
        .size:           8
        .value_kind:     hidden_global_offset_y
      - .offset:         112
        .size:           8
        .value_kind:     hidden_global_offset_z
      - .offset:         120
        .size:           2
        .value_kind:     hidden_grid_dims
      - .offset:         176
        .size:           4
        .value_kind:     hidden_dynamic_lds_size
    .group_segment_fixed_size: 0
    .kernarg_segment_align: 8
    .kernarg_segment_size: 312
    .language:       OpenCL C
    .language_version:
      - 2
      - 0
    .max_flat_workgroup_size: 1024
    .name:           _ZN5aiter20topk_softplus_kernelIf6__halfDv1_fLb1ELi2EEEvPKT_PKT0_PfPimiiif
    .private_segment_fixed_size: 0
    .sgpr_count:     24
    .sgpr_spill_count: 0
    .symbol:         _ZN5aiter20topk_softplus_kernelIf6__halfDv1_fLb1ELi2EEEvPKT_PKT0_PfPimiiif.kd
    .uniform_work_group_size: 1
    .uses_dynamic_stack: false
    .vgpr_count:     12
    .vgpr_spill_count: 0
    .wavefront_size: 32
    .workgroup_processor_mode: 1
  - .args:
      - .actual_access:  read_only
        .address_space:  global
        .offset:         0
        .size:           8
        .value_kind:     global_buffer
      - .actual_access:  read_only
        .address_space:  global
        .offset:         8
        .size:           8
        .value_kind:     global_buffer
      - .actual_access:  write_only
        .address_space:  global
        .offset:         16
        .size:           8
        .value_kind:     global_buffer
      - .actual_access:  write_only
        .address_space:  global
        .offset:         24
        .size:           8
        .value_kind:     global_buffer
      - .offset:         32
        .size:           8
        .value_kind:     by_value
      - .offset:         40
        .size:           4
        .value_kind:     by_value
      - .offset:         44
        .size:           4
        .value_kind:     by_value
      - .offset:         48
        .size:           4
        .value_kind:     by_value
      - .offset:         52
        .size:           4
        .value_kind:     by_value
      - .offset:         56
        .size:           4
        .value_kind:     hidden_block_count_x
      - .offset:         60
        .size:           4
        .value_kind:     hidden_block_count_y
      - .offset:         64
        .size:           4
        .value_kind:     hidden_block_count_z
      - .offset:         68
        .size:           2
        .value_kind:     hidden_group_size_x
      - .offset:         70
        .size:           2
        .value_kind:     hidden_group_size_y
      - .offset:         72
        .size:           2
        .value_kind:     hidden_group_size_z
      - .offset:         74
        .size:           2
        .value_kind:     hidden_remainder_x
      - .offset:         76
        .size:           2
        .value_kind:     hidden_remainder_y
      - .offset:         78
        .size:           2
        .value_kind:     hidden_remainder_z
      - .offset:         96
        .size:           8
        .value_kind:     hidden_global_offset_x
      - .offset:         104
        .size:           8
        .value_kind:     hidden_global_offset_y
      - .offset:         112
        .size:           8
        .value_kind:     hidden_global_offset_z
      - .offset:         120
        .size:           2
        .value_kind:     hidden_grid_dims
      - .offset:         176
        .size:           4
        .value_kind:     hidden_dynamic_lds_size
    .group_segment_fixed_size: 0
    .kernarg_segment_align: 8
    .kernarg_segment_size: 312
    .language:       OpenCL C
    .language_version:
      - 2
      - 0
    .max_flat_workgroup_size: 1024
    .name:           _ZN5aiter20topk_softplus_kernelIf6__halfDv1_fLb0ELi2EEEvPKT_PKT0_PfPimiiif
    .private_segment_fixed_size: 0
    .sgpr_count:     24
    .sgpr_spill_count: 0
    .symbol:         _ZN5aiter20topk_softplus_kernelIf6__halfDv1_fLb0ELi2EEEvPKT_PKT0_PfPimiiif.kd
    .uniform_work_group_size: 1
    .uses_dynamic_stack: false
    .vgpr_count:     11
    .vgpr_spill_count: 0
    .wavefront_size: 32
    .workgroup_processor_mode: 1
  - .args:
      - .actual_access:  read_only
        .address_space:  global
        .offset:         0
        .size:           8
        .value_kind:     global_buffer
      - .actual_access:  read_only
        .address_space:  global
        .offset:         8
        .size:           8
        .value_kind:     global_buffer
      - .actual_access:  write_only
        .address_space:  global
        .offset:         16
        .size:           8
        .value_kind:     global_buffer
      - .actual_access:  write_only
        .address_space:  global
        .offset:         24
        .size:           8
        .value_kind:     global_buffer
      - .offset:         32
        .size:           8
        .value_kind:     by_value
      - .offset:         40
        .size:           4
        .value_kind:     by_value
      - .offset:         44
        .size:           4
        .value_kind:     by_value
      - .offset:         48
        .size:           4
        .value_kind:     by_value
    .group_segment_fixed_size: 0
    .kernarg_segment_align: 8
    .kernarg_segment_size: 52
    .language:       OpenCL C
    .language_version:
      - 2
      - 0
    .max_flat_workgroup_size: 1024
    .name:           _ZN5aiter24topk_softplus_kernel_optIf6__halfLi64ELb1ELi0EEEvPKT_PKT0_PfPimiif
    .private_segment_fixed_size: 0
    .sgpr_count:     18
    .sgpr_spill_count: 0
    .symbol:         _ZN5aiter24topk_softplus_kernel_optIf6__halfLi64ELb1ELi0EEEvPKT_PKT0_PfPimiif.kd
    .uniform_work_group_size: 1
    .uses_dynamic_stack: false
    .vgpr_count:     18
    .vgpr_spill_count: 0
    .wavefront_size: 32
    .workgroup_processor_mode: 1
  - .args:
      - .actual_access:  read_only
        .address_space:  global
        .offset:         0
        .size:           8
        .value_kind:     global_buffer
      - .actual_access:  read_only
        .address_space:  global
        .offset:         8
        .size:           8
        .value_kind:     global_buffer
      - .actual_access:  write_only
        .address_space:  global
        .offset:         16
        .size:           8
        .value_kind:     global_buffer
      - .actual_access:  write_only
        .address_space:  global
        .offset:         24
        .size:           8
        .value_kind:     global_buffer
      - .offset:         32
        .size:           8
        .value_kind:     by_value
      - .offset:         40
        .size:           4
        .value_kind:     by_value
      - .offset:         44
        .size:           4
        .value_kind:     by_value
      - .offset:         48
        .size:           4
        .value_kind:     by_value
    .group_segment_fixed_size: 0
    .kernarg_segment_align: 8
    .kernarg_segment_size: 52
    .language:       OpenCL C
    .language_version:
      - 2
      - 0
    .max_flat_workgroup_size: 1024
    .name:           _ZN5aiter24topk_softplus_kernel_optIf6__halfLi64ELb0ELi0EEEvPKT_PKT0_PfPimiif
    .private_segment_fixed_size: 0
    .sgpr_count:     18
    .sgpr_spill_count: 0
    .symbol:         _ZN5aiter24topk_softplus_kernel_optIf6__halfLi64ELb0ELi0EEEvPKT_PKT0_PfPimiif.kd
    .uniform_work_group_size: 1
    .uses_dynamic_stack: false
    .vgpr_count:     15
    .vgpr_spill_count: 0
    .wavefront_size: 32
    .workgroup_processor_mode: 1
  - .args:
      - .actual_access:  read_only
        .address_space:  global
        .offset:         0
        .size:           8
        .value_kind:     global_buffer
      - .actual_access:  read_only
        .address_space:  global
        .offset:         8
        .size:           8
        .value_kind:     global_buffer
      - .actual_access:  write_only
        .address_space:  global
        .offset:         16
        .size:           8
        .value_kind:     global_buffer
      - .actual_access:  write_only
        .address_space:  global
        .offset:         24
        .size:           8
        .value_kind:     global_buffer
      - .offset:         32
        .size:           8
        .value_kind:     by_value
      - .offset:         40
        .size:           4
        .value_kind:     by_value
      - .offset:         44
        .size:           4
        .value_kind:     by_value
      - .offset:         48
        .size:           4
        .value_kind:     by_value
    .group_segment_fixed_size: 0
    .kernarg_segment_align: 8
    .kernarg_segment_size: 52
    .language:       OpenCL C
    .language_version:
      - 2
      - 0
    .max_flat_workgroup_size: 1024
    .name:           _ZN5aiter24topk_softplus_kernel_optIf6__halfLi128ELb1ELi0EEEvPKT_PKT0_PfPimiif
    .private_segment_fixed_size: 0
    .sgpr_count:     18
    .sgpr_spill_count: 0
    .symbol:         _ZN5aiter24topk_softplus_kernel_optIf6__halfLi128ELb1ELi0EEEvPKT_PKT0_PfPimiif.kd
    .uniform_work_group_size: 1
    .uses_dynamic_stack: false
    .vgpr_count:     25
    .vgpr_spill_count: 0
    .wavefront_size: 32
    .workgroup_processor_mode: 1
  - .args:
      - .actual_access:  read_only
        .address_space:  global
        .offset:         0
        .size:           8
        .value_kind:     global_buffer
      - .actual_access:  read_only
        .address_space:  global
        .offset:         8
        .size:           8
        .value_kind:     global_buffer
      - .actual_access:  write_only
        .address_space:  global
        .offset:         16
        .size:           8
        .value_kind:     global_buffer
      - .actual_access:  write_only
        .address_space:  global
        .offset:         24
        .size:           8
        .value_kind:     global_buffer
      - .offset:         32
        .size:           8
        .value_kind:     by_value
      - .offset:         40
        .size:           4
        .value_kind:     by_value
      - .offset:         44
        .size:           4
        .value_kind:     by_value
      - .offset:         48
        .size:           4
        .value_kind:     by_value
    .group_segment_fixed_size: 0
    .kernarg_segment_align: 8
    .kernarg_segment_size: 52
    .language:       OpenCL C
    .language_version:
      - 2
      - 0
    .max_flat_workgroup_size: 1024
    .name:           _ZN5aiter24topk_softplus_kernel_optIf6__halfLi128ELb0ELi0EEEvPKT_PKT0_PfPimiif
    .private_segment_fixed_size: 0
    .sgpr_count:     18
    .sgpr_spill_count: 0
    .symbol:         _ZN5aiter24topk_softplus_kernel_optIf6__halfLi128ELb0ELi0EEEvPKT_PKT0_PfPimiif.kd
    .uniform_work_group_size: 1
    .uses_dynamic_stack: false
    .vgpr_count:     23
    .vgpr_spill_count: 0
    .wavefront_size: 32
    .workgroup_processor_mode: 1
  - .args:
      - .actual_access:  read_only
        .address_space:  global
        .offset:         0
        .size:           8
        .value_kind:     global_buffer
      - .actual_access:  read_only
        .address_space:  global
        .offset:         8
        .size:           8
        .value_kind:     global_buffer
      - .actual_access:  write_only
        .address_space:  global
        .offset:         16
        .size:           8
        .value_kind:     global_buffer
      - .actual_access:  write_only
        .address_space:  global
        .offset:         24
        .size:           8
        .value_kind:     global_buffer
      - .offset:         32
        .size:           8
        .value_kind:     by_value
      - .offset:         40
        .size:           4
        .value_kind:     by_value
      - .offset:         44
        .size:           4
        .value_kind:     by_value
      - .offset:         48
        .size:           4
        .value_kind:     by_value
    .group_segment_fixed_size: 0
    .kernarg_segment_align: 8
    .kernarg_segment_size: 52
    .language:       OpenCL C
    .language_version:
      - 2
      - 0
    .max_flat_workgroup_size: 1024
    .name:           _ZN5aiter24topk_softplus_kernel_optIf6__halfLi256ELb1ELi0EEEvPKT_PKT0_PfPimiif
    .private_segment_fixed_size: 0
    .sgpr_count:     18
    .sgpr_spill_count: 0
    .symbol:         _ZN5aiter24topk_softplus_kernel_optIf6__halfLi256ELb1ELi0EEEvPKT_PKT0_PfPimiif.kd
    .uniform_work_group_size: 1
    .uses_dynamic_stack: false
    .vgpr_count:     97
    .vgpr_spill_count: 0
    .wavefront_size: 32
    .workgroup_processor_mode: 1
  - .args:
      - .actual_access:  read_only
        .address_space:  global
        .offset:         0
        .size:           8
        .value_kind:     global_buffer
      - .actual_access:  read_only
        .address_space:  global
        .offset:         8
        .size:           8
        .value_kind:     global_buffer
      - .actual_access:  write_only
        .address_space:  global
        .offset:         16
        .size:           8
        .value_kind:     global_buffer
      - .actual_access:  write_only
        .address_space:  global
        .offset:         24
        .size:           8
        .value_kind:     global_buffer
      - .offset:         32
        .size:           8
        .value_kind:     by_value
      - .offset:         40
        .size:           4
        .value_kind:     by_value
      - .offset:         44
        .size:           4
        .value_kind:     by_value
      - .offset:         48
        .size:           4
        .value_kind:     by_value
    .group_segment_fixed_size: 0
    .kernarg_segment_align: 8
    .kernarg_segment_size: 52
    .language:       OpenCL C
    .language_version:
      - 2
      - 0
    .max_flat_workgroup_size: 1024
    .name:           _ZN5aiter24topk_softplus_kernel_optIf6__halfLi256ELb0ELi0EEEvPKT_PKT0_PfPimiif
    .private_segment_fixed_size: 0
    .sgpr_count:     18
    .sgpr_spill_count: 0
    .symbol:         _ZN5aiter24topk_softplus_kernel_optIf6__halfLi256ELb0ELi0EEEvPKT_PKT0_PfPimiif.kd
    .uniform_work_group_size: 1
    .uses_dynamic_stack: false
    .vgpr_count:     97
    .vgpr_spill_count: 0
    .wavefront_size: 32
    .workgroup_processor_mode: 1
  - .args:
      - .actual_access:  read_only
        .address_space:  global
        .offset:         0
        .size:           8
        .value_kind:     global_buffer
      - .actual_access:  read_only
        .address_space:  global
        .offset:         8
        .size:           8
        .value_kind:     global_buffer
      - .actual_access:  write_only
        .address_space:  global
        .offset:         16
        .size:           8
        .value_kind:     global_buffer
      - .actual_access:  write_only
        .address_space:  global
        .offset:         24
        .size:           8
        .value_kind:     global_buffer
      - .offset:         32
        .size:           8
        .value_kind:     by_value
      - .offset:         40
        .size:           4
        .value_kind:     by_value
      - .offset:         44
        .size:           4
        .value_kind:     by_value
      - .offset:         48
        .size:           4
        .value_kind:     by_value
    .group_segment_fixed_size: 0
    .kernarg_segment_align: 8
    .kernarg_segment_size: 52
    .language:       OpenCL C
    .language_version:
      - 2
      - 0
    .max_flat_workgroup_size: 1024
    .name:           _ZN5aiter24topk_softplus_kernel_optIf6__halfLi384ELb1ELi0EEEvPKT_PKT0_PfPimiif
    .private_segment_fixed_size: 196
    .sgpr_count:     18
    .sgpr_spill_count: 0
    .symbol:         _ZN5aiter24topk_softplus_kernel_optIf6__halfLi384ELb1ELi0EEEvPKT_PKT0_PfPimiif.kd
    .uniform_work_group_size: 1
    .uses_dynamic_stack: false
    .vgpr_count:     184
    .vgpr_spill_count: 300
    .wavefront_size: 32
    .workgroup_processor_mode: 1
  - .args:
      - .actual_access:  read_only
        .address_space:  global
        .offset:         0
        .size:           8
        .value_kind:     global_buffer
      - .actual_access:  read_only
        .address_space:  global
        .offset:         8
        .size:           8
        .value_kind:     global_buffer
      - .actual_access:  write_only
        .address_space:  global
        .offset:         16
        .size:           8
        .value_kind:     global_buffer
      - .actual_access:  write_only
        .address_space:  global
        .offset:         24
        .size:           8
        .value_kind:     global_buffer
      - .offset:         32
        .size:           8
        .value_kind:     by_value
      - .offset:         40
        .size:           4
        .value_kind:     by_value
      - .offset:         44
        .size:           4
        .value_kind:     by_value
      - .offset:         48
        .size:           4
        .value_kind:     by_value
    .group_segment_fixed_size: 0
    .kernarg_segment_align: 8
    .kernarg_segment_size: 52
    .language:       OpenCL C
    .language_version:
      - 2
      - 0
    .max_flat_workgroup_size: 1024
    .name:           _ZN5aiter24topk_softplus_kernel_optIf6__halfLi384ELb0ELi0EEEvPKT_PKT0_PfPimiif
    .private_segment_fixed_size: 196
    .sgpr_count:     18
    .sgpr_spill_count: 0
    .symbol:         _ZN5aiter24topk_softplus_kernel_optIf6__halfLi384ELb0ELi0EEEvPKT_PKT0_PfPimiif.kd
    .uniform_work_group_size: 1
    .uses_dynamic_stack: false
    .vgpr_count:     184
    .vgpr_spill_count: 300
    .wavefront_size: 32
    .workgroup_processor_mode: 1
  - .args:
      - .actual_access:  read_only
        .address_space:  global
        .offset:         0
        .size:           8
        .value_kind:     global_buffer
      - .actual_access:  read_only
        .address_space:  global
        .offset:         8
        .size:           8
        .value_kind:     global_buffer
      - .actual_access:  write_only
        .address_space:  global
        .offset:         16
        .size:           8
        .value_kind:     global_buffer
      - .actual_access:  write_only
        .address_space:  global
        .offset:         24
        .size:           8
        .value_kind:     global_buffer
      - .offset:         32
        .size:           8
        .value_kind:     by_value
      - .offset:         40
        .size:           4
        .value_kind:     by_value
      - .offset:         44
        .size:           4
        .value_kind:     by_value
      - .offset:         48
        .size:           4
        .value_kind:     by_value
      - .offset:         52
        .size:           4
        .value_kind:     by_value
      - .offset:         56
        .size:           4
        .value_kind:     hidden_block_count_x
      - .offset:         60
        .size:           4
        .value_kind:     hidden_block_count_y
      - .offset:         64
        .size:           4
        .value_kind:     hidden_block_count_z
      - .offset:         68
        .size:           2
        .value_kind:     hidden_group_size_x
      - .offset:         70
        .size:           2
        .value_kind:     hidden_group_size_y
      - .offset:         72
        .size:           2
        .value_kind:     hidden_group_size_z
      - .offset:         74
        .size:           2
        .value_kind:     hidden_remainder_x
      - .offset:         76
        .size:           2
        .value_kind:     hidden_remainder_y
      - .offset:         78
        .size:           2
        .value_kind:     hidden_remainder_z
      - .offset:         96
        .size:           8
        .value_kind:     hidden_global_offset_x
      - .offset:         104
        .size:           8
        .value_kind:     hidden_global_offset_y
      - .offset:         112
        .size:           8
        .value_kind:     hidden_global_offset_z
      - .offset:         120
        .size:           2
        .value_kind:     hidden_grid_dims
      - .offset:         176
        .size:           4
        .value_kind:     hidden_dynamic_lds_size
    .group_segment_fixed_size: 0
    .kernarg_segment_align: 8
    .kernarg_segment_size: 312
    .language:       OpenCL C
    .language_version:
      - 2
      - 0
    .max_flat_workgroup_size: 1024
    .name:           _ZN5aiter20topk_softplus_kernelIf6__halfDv4_fLb1ELi0EEEvPKT_PKT0_PfPimiiif
    .private_segment_fixed_size: 0
    .sgpr_count:     32
    .sgpr_spill_count: 0
    .symbol:         _ZN5aiter20topk_softplus_kernelIf6__halfDv4_fLb1ELi0EEEvPKT_PKT0_PfPimiiif.kd
    .uniform_work_group_size: 1
    .uses_dynamic_stack: false
    .vgpr_count:     19
    .vgpr_spill_count: 0
    .wavefront_size: 32
    .workgroup_processor_mode: 1
  - .args:
      - .actual_access:  read_only
        .address_space:  global
        .offset:         0
        .size:           8
        .value_kind:     global_buffer
      - .actual_access:  read_only
        .address_space:  global
        .offset:         8
        .size:           8
        .value_kind:     global_buffer
      - .actual_access:  write_only
        .address_space:  global
        .offset:         16
        .size:           8
        .value_kind:     global_buffer
      - .actual_access:  write_only
        .address_space:  global
        .offset:         24
        .size:           8
        .value_kind:     global_buffer
      - .offset:         32
        .size:           8
        .value_kind:     by_value
      - .offset:         40
        .size:           4
        .value_kind:     by_value
      - .offset:         44
        .size:           4
        .value_kind:     by_value
      - .offset:         48
        .size:           4
        .value_kind:     by_value
      - .offset:         52
        .size:           4
        .value_kind:     by_value
      - .offset:         56
        .size:           4
        .value_kind:     hidden_block_count_x
      - .offset:         60
        .size:           4
        .value_kind:     hidden_block_count_y
      - .offset:         64
        .size:           4
        .value_kind:     hidden_block_count_z
      - .offset:         68
        .size:           2
        .value_kind:     hidden_group_size_x
      - .offset:         70
        .size:           2
        .value_kind:     hidden_group_size_y
      - .offset:         72
        .size:           2
        .value_kind:     hidden_group_size_z
      - .offset:         74
        .size:           2
        .value_kind:     hidden_remainder_x
      - .offset:         76
        .size:           2
        .value_kind:     hidden_remainder_y
      - .offset:         78
        .size:           2
        .value_kind:     hidden_remainder_z
      - .offset:         96
        .size:           8
        .value_kind:     hidden_global_offset_x
      - .offset:         104
        .size:           8
        .value_kind:     hidden_global_offset_y
      - .offset:         112
        .size:           8
        .value_kind:     hidden_global_offset_z
      - .offset:         120
        .size:           2
        .value_kind:     hidden_grid_dims
      - .offset:         176
        .size:           4
        .value_kind:     hidden_dynamic_lds_size
    .group_segment_fixed_size: 0
    .kernarg_segment_align: 8
    .kernarg_segment_size: 312
    .language:       OpenCL C
    .language_version:
      - 2
      - 0
    .max_flat_workgroup_size: 1024
    .name:           _ZN5aiter20topk_softplus_kernelIf6__halfDv4_fLb0ELi0EEEvPKT_PKT0_PfPimiiif
    .private_segment_fixed_size: 0
    .sgpr_count:     32
    .sgpr_spill_count: 0
    .symbol:         _ZN5aiter20topk_softplus_kernelIf6__halfDv4_fLb0ELi0EEEvPKT_PKT0_PfPimiiif.kd
    .uniform_work_group_size: 1
    .uses_dynamic_stack: false
    .vgpr_count:     19
    .vgpr_spill_count: 0
    .wavefront_size: 32
    .workgroup_processor_mode: 1
  - .args:
      - .actual_access:  read_only
        .address_space:  global
        .offset:         0
        .size:           8
        .value_kind:     global_buffer
      - .actual_access:  read_only
        .address_space:  global
        .offset:         8
        .size:           8
        .value_kind:     global_buffer
      - .actual_access:  write_only
        .address_space:  global
        .offset:         16
        .size:           8
        .value_kind:     global_buffer
      - .actual_access:  write_only
        .address_space:  global
        .offset:         24
        .size:           8
        .value_kind:     global_buffer
      - .offset:         32
        .size:           8
        .value_kind:     by_value
      - .offset:         40
        .size:           4
        .value_kind:     by_value
      - .offset:         44
        .size:           4
        .value_kind:     by_value
      - .offset:         48
        .size:           4
        .value_kind:     by_value
      - .offset:         52
        .size:           4
        .value_kind:     by_value
      - .offset:         56
        .size:           4
        .value_kind:     hidden_block_count_x
      - .offset:         60
        .size:           4
        .value_kind:     hidden_block_count_y
      - .offset:         64
        .size:           4
        .value_kind:     hidden_block_count_z
      - .offset:         68
        .size:           2
        .value_kind:     hidden_group_size_x
      - .offset:         70
        .size:           2
        .value_kind:     hidden_group_size_y
      - .offset:         72
        .size:           2
        .value_kind:     hidden_group_size_z
      - .offset:         74
        .size:           2
        .value_kind:     hidden_remainder_x
      - .offset:         76
        .size:           2
        .value_kind:     hidden_remainder_y
      - .offset:         78
        .size:           2
        .value_kind:     hidden_remainder_z
      - .offset:         96
        .size:           8
        .value_kind:     hidden_global_offset_x
      - .offset:         104
        .size:           8
        .value_kind:     hidden_global_offset_y
      - .offset:         112
        .size:           8
        .value_kind:     hidden_global_offset_z
      - .offset:         120
        .size:           2
        .value_kind:     hidden_grid_dims
      - .offset:         176
        .size:           4
        .value_kind:     hidden_dynamic_lds_size
    .group_segment_fixed_size: 0
    .kernarg_segment_align: 8
    .kernarg_segment_size: 312
    .language:       OpenCL C
    .language_version:
      - 2
      - 0
    .max_flat_workgroup_size: 1024
    .name:           _ZN5aiter20topk_softplus_kernelIf6__halfDv2_fLb1ELi0EEEvPKT_PKT0_PfPimiiif
    .private_segment_fixed_size: 0
    .sgpr_count:     26
    .sgpr_spill_count: 0
    .symbol:         _ZN5aiter20topk_softplus_kernelIf6__halfDv2_fLb1ELi0EEEvPKT_PKT0_PfPimiiif.kd
    .uniform_work_group_size: 1
    .uses_dynamic_stack: false
    .vgpr_count:     15
    .vgpr_spill_count: 0
    .wavefront_size: 32
    .workgroup_processor_mode: 1
  - .args:
      - .actual_access:  read_only
        .address_space:  global
        .offset:         0
        .size:           8
        .value_kind:     global_buffer
      - .actual_access:  read_only
        .address_space:  global
        .offset:         8
        .size:           8
        .value_kind:     global_buffer
      - .actual_access:  write_only
        .address_space:  global
        .offset:         16
        .size:           8
        .value_kind:     global_buffer
      - .actual_access:  write_only
        .address_space:  global
        .offset:         24
        .size:           8
        .value_kind:     global_buffer
      - .offset:         32
        .size:           8
        .value_kind:     by_value
      - .offset:         40
        .size:           4
        .value_kind:     by_value
      - .offset:         44
        .size:           4
        .value_kind:     by_value
      - .offset:         48
        .size:           4
        .value_kind:     by_value
      - .offset:         52
        .size:           4
        .value_kind:     by_value
      - .offset:         56
        .size:           4
        .value_kind:     hidden_block_count_x
      - .offset:         60
        .size:           4
        .value_kind:     hidden_block_count_y
      - .offset:         64
        .size:           4
        .value_kind:     hidden_block_count_z
      - .offset:         68
        .size:           2
        .value_kind:     hidden_group_size_x
      - .offset:         70
        .size:           2
        .value_kind:     hidden_group_size_y
      - .offset:         72
        .size:           2
        .value_kind:     hidden_group_size_z
      - .offset:         74
        .size:           2
        .value_kind:     hidden_remainder_x
      - .offset:         76
        .size:           2
        .value_kind:     hidden_remainder_y
      - .offset:         78
        .size:           2
        .value_kind:     hidden_remainder_z
      - .offset:         96
        .size:           8
        .value_kind:     hidden_global_offset_x
      - .offset:         104
        .size:           8
        .value_kind:     hidden_global_offset_y
      - .offset:         112
        .size:           8
        .value_kind:     hidden_global_offset_z
      - .offset:         120
        .size:           2
        .value_kind:     hidden_grid_dims
      - .offset:         176
        .size:           4
        .value_kind:     hidden_dynamic_lds_size
    .group_segment_fixed_size: 0
    .kernarg_segment_align: 8
    .kernarg_segment_size: 312
    .language:       OpenCL C
    .language_version:
      - 2
      - 0
    .max_flat_workgroup_size: 1024
    .name:           _ZN5aiter20topk_softplus_kernelIf6__halfDv2_fLb0ELi0EEEvPKT_PKT0_PfPimiiif
    .private_segment_fixed_size: 0
    .sgpr_count:     26
    .sgpr_spill_count: 0
    .symbol:         _ZN5aiter20topk_softplus_kernelIf6__halfDv2_fLb0ELi0EEEvPKT_PKT0_PfPimiiif.kd
    .uniform_work_group_size: 1
    .uses_dynamic_stack: false
    .vgpr_count:     14
    .vgpr_spill_count: 0
    .wavefront_size: 32
    .workgroup_processor_mode: 1
  - .args:
      - .actual_access:  read_only
        .address_space:  global
        .offset:         0
        .size:           8
        .value_kind:     global_buffer
      - .actual_access:  read_only
        .address_space:  global
        .offset:         8
        .size:           8
        .value_kind:     global_buffer
      - .actual_access:  write_only
        .address_space:  global
        .offset:         16
        .size:           8
        .value_kind:     global_buffer
      - .actual_access:  write_only
        .address_space:  global
        .offset:         24
        .size:           8
        .value_kind:     global_buffer
      - .offset:         32
        .size:           8
        .value_kind:     by_value
      - .offset:         40
        .size:           4
        .value_kind:     by_value
      - .offset:         44
        .size:           4
        .value_kind:     by_value
      - .offset:         48
        .size:           4
        .value_kind:     by_value
      - .offset:         52
        .size:           4
        .value_kind:     by_value
      - .offset:         56
        .size:           4
        .value_kind:     hidden_block_count_x
      - .offset:         60
        .size:           4
        .value_kind:     hidden_block_count_y
      - .offset:         64
        .size:           4
        .value_kind:     hidden_block_count_z
      - .offset:         68
        .size:           2
        .value_kind:     hidden_group_size_x
      - .offset:         70
        .size:           2
        .value_kind:     hidden_group_size_y
      - .offset:         72
        .size:           2
        .value_kind:     hidden_group_size_z
      - .offset:         74
        .size:           2
        .value_kind:     hidden_remainder_x
      - .offset:         76
        .size:           2
        .value_kind:     hidden_remainder_y
      - .offset:         78
        .size:           2
        .value_kind:     hidden_remainder_z
      - .offset:         96
        .size:           8
        .value_kind:     hidden_global_offset_x
      - .offset:         104
        .size:           8
        .value_kind:     hidden_global_offset_y
      - .offset:         112
        .size:           8
        .value_kind:     hidden_global_offset_z
      - .offset:         120
        .size:           2
        .value_kind:     hidden_grid_dims
      - .offset:         176
        .size:           4
        .value_kind:     hidden_dynamic_lds_size
    .group_segment_fixed_size: 0
    .kernarg_segment_align: 8
    .kernarg_segment_size: 312
    .language:       OpenCL C
    .language_version:
      - 2
      - 0
    .max_flat_workgroup_size: 1024
    .name:           _ZN5aiter20topk_softplus_kernelIf6__halfDv1_fLb1ELi0EEEvPKT_PKT0_PfPimiiif
    .private_segment_fixed_size: 0
    .sgpr_count:     24
    .sgpr_spill_count: 0
    .symbol:         _ZN5aiter20topk_softplus_kernelIf6__halfDv1_fLb1ELi0EEEvPKT_PKT0_PfPimiiif.kd
    .uniform_work_group_size: 1
    .uses_dynamic_stack: false
    .vgpr_count:     12
    .vgpr_spill_count: 0
    .wavefront_size: 32
    .workgroup_processor_mode: 1
  - .args:
      - .actual_access:  read_only
        .address_space:  global
        .offset:         0
        .size:           8
        .value_kind:     global_buffer
      - .actual_access:  read_only
        .address_space:  global
        .offset:         8
        .size:           8
        .value_kind:     global_buffer
      - .actual_access:  write_only
        .address_space:  global
        .offset:         16
        .size:           8
        .value_kind:     global_buffer
      - .actual_access:  write_only
        .address_space:  global
        .offset:         24
        .size:           8
        .value_kind:     global_buffer
      - .offset:         32
        .size:           8
        .value_kind:     by_value
      - .offset:         40
        .size:           4
        .value_kind:     by_value
      - .offset:         44
        .size:           4
        .value_kind:     by_value
      - .offset:         48
        .size:           4
        .value_kind:     by_value
      - .offset:         52
        .size:           4
        .value_kind:     by_value
      - .offset:         56
        .size:           4
        .value_kind:     hidden_block_count_x
      - .offset:         60
        .size:           4
        .value_kind:     hidden_block_count_y
      - .offset:         64
        .size:           4
        .value_kind:     hidden_block_count_z
      - .offset:         68
        .size:           2
        .value_kind:     hidden_group_size_x
      - .offset:         70
        .size:           2
        .value_kind:     hidden_group_size_y
      - .offset:         72
        .size:           2
        .value_kind:     hidden_group_size_z
      - .offset:         74
        .size:           2
        .value_kind:     hidden_remainder_x
      - .offset:         76
        .size:           2
        .value_kind:     hidden_remainder_y
      - .offset:         78
        .size:           2
        .value_kind:     hidden_remainder_z
      - .offset:         96
        .size:           8
        .value_kind:     hidden_global_offset_x
      - .offset:         104
        .size:           8
        .value_kind:     hidden_global_offset_y
      - .offset:         112
        .size:           8
        .value_kind:     hidden_global_offset_z
      - .offset:         120
        .size:           2
        .value_kind:     hidden_grid_dims
      - .offset:         176
        .size:           4
        .value_kind:     hidden_dynamic_lds_size
    .group_segment_fixed_size: 0
    .kernarg_segment_align: 8
    .kernarg_segment_size: 312
    .language:       OpenCL C
    .language_version:
      - 2
      - 0
    .max_flat_workgroup_size: 1024
    .name:           _ZN5aiter20topk_softplus_kernelIf6__halfDv1_fLb0ELi0EEEvPKT_PKT0_PfPimiiif
    .private_segment_fixed_size: 0
    .sgpr_count:     24
    .sgpr_spill_count: 0
    .symbol:         _ZN5aiter20topk_softplus_kernelIf6__halfDv1_fLb0ELi0EEEvPKT_PKT0_PfPimiiif.kd
    .uniform_work_group_size: 1
    .uses_dynamic_stack: false
    .vgpr_count:     11
    .vgpr_spill_count: 0
    .wavefront_size: 32
    .workgroup_processor_mode: 1
  - .args:
      - .actual_access:  read_only
        .address_space:  global
        .offset:         0
        .size:           8
        .value_kind:     global_buffer
      - .actual_access:  read_only
        .address_space:  global
        .offset:         8
        .size:           8
        .value_kind:     global_buffer
      - .actual_access:  write_only
        .address_space:  global
        .offset:         16
        .size:           8
        .value_kind:     global_buffer
      - .actual_access:  write_only
        .address_space:  global
        .offset:         24
        .size:           8
        .value_kind:     global_buffer
      - .offset:         32
        .size:           8
        .value_kind:     by_value
      - .offset:         40
        .size:           4
        .value_kind:     by_value
      - .offset:         44
        .size:           4
        .value_kind:     by_value
      - .offset:         48
        .size:           4
        .value_kind:     by_value
    .group_segment_fixed_size: 0
    .kernarg_segment_align: 8
    .kernarg_segment_size: 52
    .language:       OpenCL C
    .language_version:
      - 2
      - 0
    .max_flat_workgroup_size: 1024
    .name:           _ZN5aiter24topk_softplus_kernel_optIf12hip_bfloat16Li64ELb1ELi1EEEvPKT_PKT0_PfPimiif
    .private_segment_fixed_size: 0
    .sgpr_count:     18
    .sgpr_spill_count: 0
    .symbol:         _ZN5aiter24topk_softplus_kernel_optIf12hip_bfloat16Li64ELb1ELi1EEEvPKT_PKT0_PfPimiif.kd
    .uniform_work_group_size: 1
    .uses_dynamic_stack: false
    .vgpr_count:     18
    .vgpr_spill_count: 0
    .wavefront_size: 32
    .workgroup_processor_mode: 1
  - .args:
      - .actual_access:  read_only
        .address_space:  global
        .offset:         0
        .size:           8
        .value_kind:     global_buffer
      - .actual_access:  read_only
        .address_space:  global
        .offset:         8
        .size:           8
        .value_kind:     global_buffer
      - .actual_access:  write_only
        .address_space:  global
        .offset:         16
        .size:           8
        .value_kind:     global_buffer
      - .actual_access:  write_only
        .address_space:  global
        .offset:         24
        .size:           8
        .value_kind:     global_buffer
      - .offset:         32
        .size:           8
        .value_kind:     by_value
      - .offset:         40
        .size:           4
        .value_kind:     by_value
      - .offset:         44
        .size:           4
        .value_kind:     by_value
      - .offset:         48
        .size:           4
        .value_kind:     by_value
    .group_segment_fixed_size: 0
    .kernarg_segment_align: 8
    .kernarg_segment_size: 52
    .language:       OpenCL C
    .language_version:
      - 2
      - 0
    .max_flat_workgroup_size: 1024
    .name:           _ZN5aiter24topk_softplus_kernel_optIf12hip_bfloat16Li64ELb0ELi1EEEvPKT_PKT0_PfPimiif
    .private_segment_fixed_size: 0
    .sgpr_count:     18
    .sgpr_spill_count: 0
    .symbol:         _ZN5aiter24topk_softplus_kernel_optIf12hip_bfloat16Li64ELb0ELi1EEEvPKT_PKT0_PfPimiif.kd
    .uniform_work_group_size: 1
    .uses_dynamic_stack: false
    .vgpr_count:     15
    .vgpr_spill_count: 0
    .wavefront_size: 32
    .workgroup_processor_mode: 1
  - .args:
      - .actual_access:  read_only
        .address_space:  global
        .offset:         0
        .size:           8
        .value_kind:     global_buffer
      - .actual_access:  read_only
        .address_space:  global
        .offset:         8
        .size:           8
        .value_kind:     global_buffer
      - .actual_access:  write_only
        .address_space:  global
        .offset:         16
        .size:           8
        .value_kind:     global_buffer
      - .actual_access:  write_only
        .address_space:  global
        .offset:         24
        .size:           8
        .value_kind:     global_buffer
      - .offset:         32
        .size:           8
        .value_kind:     by_value
      - .offset:         40
        .size:           4
        .value_kind:     by_value
      - .offset:         44
        .size:           4
        .value_kind:     by_value
      - .offset:         48
        .size:           4
        .value_kind:     by_value
    .group_segment_fixed_size: 0
    .kernarg_segment_align: 8
    .kernarg_segment_size: 52
    .language:       OpenCL C
    .language_version:
      - 2
      - 0
    .max_flat_workgroup_size: 1024
    .name:           _ZN5aiter24topk_softplus_kernel_optIf12hip_bfloat16Li128ELb1ELi1EEEvPKT_PKT0_PfPimiif
    .private_segment_fixed_size: 0
    .sgpr_count:     18
    .sgpr_spill_count: 0
    .symbol:         _ZN5aiter24topk_softplus_kernel_optIf12hip_bfloat16Li128ELb1ELi1EEEvPKT_PKT0_PfPimiif.kd
    .uniform_work_group_size: 1
    .uses_dynamic_stack: false
    .vgpr_count:     25
    .vgpr_spill_count: 0
    .wavefront_size: 32
    .workgroup_processor_mode: 1
  - .args:
      - .actual_access:  read_only
        .address_space:  global
        .offset:         0
        .size:           8
        .value_kind:     global_buffer
      - .actual_access:  read_only
        .address_space:  global
        .offset:         8
        .size:           8
        .value_kind:     global_buffer
      - .actual_access:  write_only
        .address_space:  global
        .offset:         16
        .size:           8
        .value_kind:     global_buffer
      - .actual_access:  write_only
        .address_space:  global
        .offset:         24
        .size:           8
        .value_kind:     global_buffer
      - .offset:         32
        .size:           8
        .value_kind:     by_value
      - .offset:         40
        .size:           4
        .value_kind:     by_value
      - .offset:         44
        .size:           4
        .value_kind:     by_value
      - .offset:         48
        .size:           4
        .value_kind:     by_value
    .group_segment_fixed_size: 0
    .kernarg_segment_align: 8
    .kernarg_segment_size: 52
    .language:       OpenCL C
    .language_version:
      - 2
      - 0
    .max_flat_workgroup_size: 1024
    .name:           _ZN5aiter24topk_softplus_kernel_optIf12hip_bfloat16Li128ELb0ELi1EEEvPKT_PKT0_PfPimiif
    .private_segment_fixed_size: 0
    .sgpr_count:     18
    .sgpr_spill_count: 0
    .symbol:         _ZN5aiter24topk_softplus_kernel_optIf12hip_bfloat16Li128ELb0ELi1EEEvPKT_PKT0_PfPimiif.kd
    .uniform_work_group_size: 1
    .uses_dynamic_stack: false
    .vgpr_count:     23
    .vgpr_spill_count: 0
    .wavefront_size: 32
    .workgroup_processor_mode: 1
  - .args:
      - .actual_access:  read_only
        .address_space:  global
        .offset:         0
        .size:           8
        .value_kind:     global_buffer
      - .actual_access:  read_only
        .address_space:  global
        .offset:         8
        .size:           8
        .value_kind:     global_buffer
      - .actual_access:  write_only
        .address_space:  global
        .offset:         16
        .size:           8
        .value_kind:     global_buffer
      - .actual_access:  write_only
        .address_space:  global
        .offset:         24
        .size:           8
        .value_kind:     global_buffer
      - .offset:         32
        .size:           8
        .value_kind:     by_value
      - .offset:         40
        .size:           4
        .value_kind:     by_value
      - .offset:         44
        .size:           4
        .value_kind:     by_value
      - .offset:         48
        .size:           4
        .value_kind:     by_value
    .group_segment_fixed_size: 0
    .kernarg_segment_align: 8
    .kernarg_segment_size: 52
    .language:       OpenCL C
    .language_version:
      - 2
      - 0
    .max_flat_workgroup_size: 1024
    .name:           _ZN5aiter24topk_softplus_kernel_optIf12hip_bfloat16Li256ELb1ELi1EEEvPKT_PKT0_PfPimiif
    .private_segment_fixed_size: 0
    .sgpr_count:     18
    .sgpr_spill_count: 0
    .symbol:         _ZN5aiter24topk_softplus_kernel_optIf12hip_bfloat16Li256ELb1ELi1EEEvPKT_PKT0_PfPimiif.kd
    .uniform_work_group_size: 1
    .uses_dynamic_stack: false
    .vgpr_count:     104
    .vgpr_spill_count: 0
    .wavefront_size: 32
    .workgroup_processor_mode: 1
  - .args:
      - .actual_access:  read_only
        .address_space:  global
        .offset:         0
        .size:           8
        .value_kind:     global_buffer
      - .actual_access:  read_only
        .address_space:  global
        .offset:         8
        .size:           8
        .value_kind:     global_buffer
      - .actual_access:  write_only
        .address_space:  global
        .offset:         16
        .size:           8
        .value_kind:     global_buffer
      - .actual_access:  write_only
        .address_space:  global
        .offset:         24
        .size:           8
        .value_kind:     global_buffer
      - .offset:         32
        .size:           8
        .value_kind:     by_value
      - .offset:         40
        .size:           4
        .value_kind:     by_value
      - .offset:         44
        .size:           4
        .value_kind:     by_value
      - .offset:         48
        .size:           4
        .value_kind:     by_value
    .group_segment_fixed_size: 0
    .kernarg_segment_align: 8
    .kernarg_segment_size: 52
    .language:       OpenCL C
    .language_version:
      - 2
      - 0
    .max_flat_workgroup_size: 1024
    .name:           _ZN5aiter24topk_softplus_kernel_optIf12hip_bfloat16Li256ELb0ELi1EEEvPKT_PKT0_PfPimiif
    .private_segment_fixed_size: 0
    .sgpr_count:     18
    .sgpr_spill_count: 0
    .symbol:         _ZN5aiter24topk_softplus_kernel_optIf12hip_bfloat16Li256ELb0ELi1EEEvPKT_PKT0_PfPimiif.kd
    .uniform_work_group_size: 1
    .uses_dynamic_stack: false
    .vgpr_count:     104
    .vgpr_spill_count: 0
    .wavefront_size: 32
    .workgroup_processor_mode: 1
  - .args:
      - .actual_access:  read_only
        .address_space:  global
        .offset:         0
        .size:           8
        .value_kind:     global_buffer
      - .actual_access:  read_only
        .address_space:  global
        .offset:         8
        .size:           8
        .value_kind:     global_buffer
      - .actual_access:  write_only
        .address_space:  global
        .offset:         16
        .size:           8
        .value_kind:     global_buffer
      - .actual_access:  write_only
        .address_space:  global
        .offset:         24
        .size:           8
        .value_kind:     global_buffer
      - .offset:         32
        .size:           8
        .value_kind:     by_value
      - .offset:         40
        .size:           4
        .value_kind:     by_value
      - .offset:         44
        .size:           4
        .value_kind:     by_value
      - .offset:         48
        .size:           4
        .value_kind:     by_value
    .group_segment_fixed_size: 0
    .kernarg_segment_align: 8
    .kernarg_segment_size: 52
    .language:       OpenCL C
    .language_version:
      - 2
      - 0
    .max_flat_workgroup_size: 1024
    .name:           _ZN5aiter24topk_softplus_kernel_optIf12hip_bfloat16Li384ELb1ELi1EEEvPKT_PKT0_PfPimiif
    .private_segment_fixed_size: 196
    .sgpr_count:     18
    .sgpr_spill_count: 0
    .symbol:         _ZN5aiter24topk_softplus_kernel_optIf12hip_bfloat16Li384ELb1ELi1EEEvPKT_PKT0_PfPimiif.kd
    .uniform_work_group_size: 1
    .uses_dynamic_stack: false
    .vgpr_count:     184
    .vgpr_spill_count: 300
    .wavefront_size: 32
    .workgroup_processor_mode: 1
  - .args:
      - .actual_access:  read_only
        .address_space:  global
        .offset:         0
        .size:           8
        .value_kind:     global_buffer
      - .actual_access:  read_only
        .address_space:  global
        .offset:         8
        .size:           8
        .value_kind:     global_buffer
      - .actual_access:  write_only
        .address_space:  global
        .offset:         16
        .size:           8
        .value_kind:     global_buffer
      - .actual_access:  write_only
        .address_space:  global
        .offset:         24
        .size:           8
        .value_kind:     global_buffer
      - .offset:         32
        .size:           8
        .value_kind:     by_value
      - .offset:         40
        .size:           4
        .value_kind:     by_value
      - .offset:         44
        .size:           4
        .value_kind:     by_value
      - .offset:         48
        .size:           4
        .value_kind:     by_value
    .group_segment_fixed_size: 0
    .kernarg_segment_align: 8
    .kernarg_segment_size: 52
    .language:       OpenCL C
    .language_version:
      - 2
      - 0
    .max_flat_workgroup_size: 1024
    .name:           _ZN5aiter24topk_softplus_kernel_optIf12hip_bfloat16Li384ELb0ELi1EEEvPKT_PKT0_PfPimiif
    .private_segment_fixed_size: 196
    .sgpr_count:     18
    .sgpr_spill_count: 0
    .symbol:         _ZN5aiter24topk_softplus_kernel_optIf12hip_bfloat16Li384ELb0ELi1EEEvPKT_PKT0_PfPimiif.kd
    .uniform_work_group_size: 1
    .uses_dynamic_stack: false
    .vgpr_count:     184
    .vgpr_spill_count: 300
    .wavefront_size: 32
    .workgroup_processor_mode: 1
  - .args:
      - .actual_access:  read_only
        .address_space:  global
        .offset:         0
        .size:           8
        .value_kind:     global_buffer
      - .actual_access:  read_only
        .address_space:  global
        .offset:         8
        .size:           8
        .value_kind:     global_buffer
      - .actual_access:  write_only
        .address_space:  global
        .offset:         16
        .size:           8
        .value_kind:     global_buffer
      - .actual_access:  write_only
        .address_space:  global
        .offset:         24
        .size:           8
        .value_kind:     global_buffer
      - .offset:         32
        .size:           8
        .value_kind:     by_value
      - .offset:         40
        .size:           4
        .value_kind:     by_value
      - .offset:         44
        .size:           4
        .value_kind:     by_value
      - .offset:         48
        .size:           4
        .value_kind:     by_value
      - .offset:         52
        .size:           4
        .value_kind:     by_value
      - .offset:         56
        .size:           4
        .value_kind:     hidden_block_count_x
      - .offset:         60
        .size:           4
        .value_kind:     hidden_block_count_y
      - .offset:         64
        .size:           4
        .value_kind:     hidden_block_count_z
      - .offset:         68
        .size:           2
        .value_kind:     hidden_group_size_x
      - .offset:         70
        .size:           2
        .value_kind:     hidden_group_size_y
      - .offset:         72
        .size:           2
        .value_kind:     hidden_group_size_z
      - .offset:         74
        .size:           2
        .value_kind:     hidden_remainder_x
      - .offset:         76
        .size:           2
        .value_kind:     hidden_remainder_y
      - .offset:         78
        .size:           2
        .value_kind:     hidden_remainder_z
      - .offset:         96
        .size:           8
        .value_kind:     hidden_global_offset_x
      - .offset:         104
        .size:           8
        .value_kind:     hidden_global_offset_y
      - .offset:         112
        .size:           8
        .value_kind:     hidden_global_offset_z
      - .offset:         120
        .size:           2
        .value_kind:     hidden_grid_dims
      - .offset:         176
        .size:           4
        .value_kind:     hidden_dynamic_lds_size
    .group_segment_fixed_size: 0
    .kernarg_segment_align: 8
    .kernarg_segment_size: 312
    .language:       OpenCL C
    .language_version:
      - 2
      - 0
    .max_flat_workgroup_size: 1024
    .name:           _ZN5aiter20topk_softplus_kernelIf12hip_bfloat16Dv4_fLb1ELi1EEEvPKT_PKT0_PfPimiiif
    .private_segment_fixed_size: 0
    .sgpr_count:     32
    .sgpr_spill_count: 0
    .symbol:         _ZN5aiter20topk_softplus_kernelIf12hip_bfloat16Dv4_fLb1ELi1EEEvPKT_PKT0_PfPimiiif.kd
    .uniform_work_group_size: 1
    .uses_dynamic_stack: false
    .vgpr_count:     17
    .vgpr_spill_count: 0
    .wavefront_size: 32
    .workgroup_processor_mode: 1
  - .args:
      - .actual_access:  read_only
        .address_space:  global
        .offset:         0
        .size:           8
        .value_kind:     global_buffer
      - .actual_access:  read_only
        .address_space:  global
        .offset:         8
        .size:           8
        .value_kind:     global_buffer
      - .actual_access:  write_only
        .address_space:  global
        .offset:         16
        .size:           8
        .value_kind:     global_buffer
      - .actual_access:  write_only
        .address_space:  global
        .offset:         24
        .size:           8
        .value_kind:     global_buffer
      - .offset:         32
        .size:           8
        .value_kind:     by_value
      - .offset:         40
        .size:           4
        .value_kind:     by_value
      - .offset:         44
        .size:           4
        .value_kind:     by_value
      - .offset:         48
        .size:           4
        .value_kind:     by_value
      - .offset:         52
        .size:           4
        .value_kind:     by_value
      - .offset:         56
        .size:           4
        .value_kind:     hidden_block_count_x
      - .offset:         60
        .size:           4
        .value_kind:     hidden_block_count_y
      - .offset:         64
        .size:           4
        .value_kind:     hidden_block_count_z
      - .offset:         68
        .size:           2
        .value_kind:     hidden_group_size_x
      - .offset:         70
        .size:           2
        .value_kind:     hidden_group_size_y
      - .offset:         72
        .size:           2
        .value_kind:     hidden_group_size_z
      - .offset:         74
        .size:           2
        .value_kind:     hidden_remainder_x
      - .offset:         76
        .size:           2
        .value_kind:     hidden_remainder_y
      - .offset:         78
        .size:           2
        .value_kind:     hidden_remainder_z
      - .offset:         96
        .size:           8
        .value_kind:     hidden_global_offset_x
      - .offset:         104
        .size:           8
        .value_kind:     hidden_global_offset_y
      - .offset:         112
        .size:           8
        .value_kind:     hidden_global_offset_z
      - .offset:         120
        .size:           2
        .value_kind:     hidden_grid_dims
      - .offset:         176
        .size:           4
        .value_kind:     hidden_dynamic_lds_size
    .group_segment_fixed_size: 0
    .kernarg_segment_align: 8
    .kernarg_segment_size: 312
    .language:       OpenCL C
    .language_version:
      - 2
      - 0
    .max_flat_workgroup_size: 1024
    .name:           _ZN5aiter20topk_softplus_kernelIf12hip_bfloat16Dv4_fLb0ELi1EEEvPKT_PKT0_PfPimiiif
    .private_segment_fixed_size: 0
    .sgpr_count:     32
    .sgpr_spill_count: 0
    .symbol:         _ZN5aiter20topk_softplus_kernelIf12hip_bfloat16Dv4_fLb0ELi1EEEvPKT_PKT0_PfPimiiif.kd
    .uniform_work_group_size: 1
    .uses_dynamic_stack: false
    .vgpr_count:     16
    .vgpr_spill_count: 0
    .wavefront_size: 32
    .workgroup_processor_mode: 1
  - .args:
      - .actual_access:  read_only
        .address_space:  global
        .offset:         0
        .size:           8
        .value_kind:     global_buffer
      - .actual_access:  read_only
        .address_space:  global
        .offset:         8
        .size:           8
        .value_kind:     global_buffer
      - .actual_access:  write_only
        .address_space:  global
        .offset:         16
        .size:           8
        .value_kind:     global_buffer
      - .actual_access:  write_only
        .address_space:  global
        .offset:         24
        .size:           8
        .value_kind:     global_buffer
      - .offset:         32
        .size:           8
        .value_kind:     by_value
      - .offset:         40
        .size:           4
        .value_kind:     by_value
      - .offset:         44
        .size:           4
        .value_kind:     by_value
      - .offset:         48
        .size:           4
        .value_kind:     by_value
      - .offset:         52
        .size:           4
        .value_kind:     by_value
      - .offset:         56
        .size:           4
        .value_kind:     hidden_block_count_x
      - .offset:         60
        .size:           4
        .value_kind:     hidden_block_count_y
      - .offset:         64
        .size:           4
        .value_kind:     hidden_block_count_z
      - .offset:         68
        .size:           2
        .value_kind:     hidden_group_size_x
      - .offset:         70
        .size:           2
        .value_kind:     hidden_group_size_y
      - .offset:         72
        .size:           2
        .value_kind:     hidden_group_size_z
      - .offset:         74
        .size:           2
        .value_kind:     hidden_remainder_x
      - .offset:         76
        .size:           2
        .value_kind:     hidden_remainder_y
      - .offset:         78
        .size:           2
        .value_kind:     hidden_remainder_z
      - .offset:         96
        .size:           8
        .value_kind:     hidden_global_offset_x
      - .offset:         104
        .size:           8
        .value_kind:     hidden_global_offset_y
      - .offset:         112
        .size:           8
        .value_kind:     hidden_global_offset_z
      - .offset:         120
        .size:           2
        .value_kind:     hidden_grid_dims
      - .offset:         176
        .size:           4
        .value_kind:     hidden_dynamic_lds_size
    .group_segment_fixed_size: 0
    .kernarg_segment_align: 8
    .kernarg_segment_size: 312
    .language:       OpenCL C
    .language_version:
      - 2
      - 0
    .max_flat_workgroup_size: 1024
    .name:           _ZN5aiter20topk_softplus_kernelIf12hip_bfloat16Dv2_fLb1ELi1EEEvPKT_PKT0_PfPimiiif
    .private_segment_fixed_size: 0
    .sgpr_count:     26
    .sgpr_spill_count: 0
    .symbol:         _ZN5aiter20topk_softplus_kernelIf12hip_bfloat16Dv2_fLb1ELi1EEEvPKT_PKT0_PfPimiiif.kd
    .uniform_work_group_size: 1
    .uses_dynamic_stack: false
    .vgpr_count:     15
    .vgpr_spill_count: 0
    .wavefront_size: 32
    .workgroup_processor_mode: 1
  - .args:
      - .actual_access:  read_only
        .address_space:  global
        .offset:         0
        .size:           8
        .value_kind:     global_buffer
      - .actual_access:  read_only
        .address_space:  global
        .offset:         8
        .size:           8
        .value_kind:     global_buffer
      - .actual_access:  write_only
        .address_space:  global
        .offset:         16
        .size:           8
        .value_kind:     global_buffer
      - .actual_access:  write_only
        .address_space:  global
        .offset:         24
        .size:           8
        .value_kind:     global_buffer
      - .offset:         32
        .size:           8
        .value_kind:     by_value
      - .offset:         40
        .size:           4
        .value_kind:     by_value
      - .offset:         44
        .size:           4
        .value_kind:     by_value
      - .offset:         48
        .size:           4
        .value_kind:     by_value
      - .offset:         52
        .size:           4
        .value_kind:     by_value
      - .offset:         56
        .size:           4
        .value_kind:     hidden_block_count_x
      - .offset:         60
        .size:           4
        .value_kind:     hidden_block_count_y
      - .offset:         64
        .size:           4
        .value_kind:     hidden_block_count_z
      - .offset:         68
        .size:           2
        .value_kind:     hidden_group_size_x
      - .offset:         70
        .size:           2
        .value_kind:     hidden_group_size_y
      - .offset:         72
        .size:           2
        .value_kind:     hidden_group_size_z
      - .offset:         74
        .size:           2
        .value_kind:     hidden_remainder_x
      - .offset:         76
        .size:           2
        .value_kind:     hidden_remainder_y
      - .offset:         78
        .size:           2
        .value_kind:     hidden_remainder_z
      - .offset:         96
        .size:           8
        .value_kind:     hidden_global_offset_x
      - .offset:         104
        .size:           8
        .value_kind:     hidden_global_offset_y
      - .offset:         112
        .size:           8
        .value_kind:     hidden_global_offset_z
      - .offset:         120
        .size:           2
        .value_kind:     hidden_grid_dims
      - .offset:         176
        .size:           4
        .value_kind:     hidden_dynamic_lds_size
    .group_segment_fixed_size: 0
    .kernarg_segment_align: 8
    .kernarg_segment_size: 312
    .language:       OpenCL C
    .language_version:
      - 2
      - 0
    .max_flat_workgroup_size: 1024
    .name:           _ZN5aiter20topk_softplus_kernelIf12hip_bfloat16Dv2_fLb0ELi1EEEvPKT_PKT0_PfPimiiif
    .private_segment_fixed_size: 0
    .sgpr_count:     26
    .sgpr_spill_count: 0
    .symbol:         _ZN5aiter20topk_softplus_kernelIf12hip_bfloat16Dv2_fLb0ELi1EEEvPKT_PKT0_PfPimiiif.kd
    .uniform_work_group_size: 1
    .uses_dynamic_stack: false
    .vgpr_count:     14
    .vgpr_spill_count: 0
    .wavefront_size: 32
    .workgroup_processor_mode: 1
  - .args:
      - .actual_access:  read_only
        .address_space:  global
        .offset:         0
        .size:           8
        .value_kind:     global_buffer
      - .actual_access:  read_only
        .address_space:  global
        .offset:         8
        .size:           8
        .value_kind:     global_buffer
      - .actual_access:  write_only
        .address_space:  global
        .offset:         16
        .size:           8
        .value_kind:     global_buffer
      - .actual_access:  write_only
        .address_space:  global
        .offset:         24
        .size:           8
        .value_kind:     global_buffer
      - .offset:         32
        .size:           8
        .value_kind:     by_value
      - .offset:         40
        .size:           4
        .value_kind:     by_value
      - .offset:         44
        .size:           4
        .value_kind:     by_value
      - .offset:         48
        .size:           4
        .value_kind:     by_value
      - .offset:         52
        .size:           4
        .value_kind:     by_value
      - .offset:         56
        .size:           4
        .value_kind:     hidden_block_count_x
      - .offset:         60
        .size:           4
        .value_kind:     hidden_block_count_y
      - .offset:         64
        .size:           4
        .value_kind:     hidden_block_count_z
      - .offset:         68
        .size:           2
        .value_kind:     hidden_group_size_x
      - .offset:         70
        .size:           2
        .value_kind:     hidden_group_size_y
      - .offset:         72
        .size:           2
        .value_kind:     hidden_group_size_z
      - .offset:         74
        .size:           2
        .value_kind:     hidden_remainder_x
      - .offset:         76
        .size:           2
        .value_kind:     hidden_remainder_y
      - .offset:         78
        .size:           2
        .value_kind:     hidden_remainder_z
      - .offset:         96
        .size:           8
        .value_kind:     hidden_global_offset_x
      - .offset:         104
        .size:           8
        .value_kind:     hidden_global_offset_y
      - .offset:         112
        .size:           8
        .value_kind:     hidden_global_offset_z
      - .offset:         120
        .size:           2
        .value_kind:     hidden_grid_dims
      - .offset:         176
        .size:           4
        .value_kind:     hidden_dynamic_lds_size
    .group_segment_fixed_size: 0
    .kernarg_segment_align: 8
    .kernarg_segment_size: 312
    .language:       OpenCL C
    .language_version:
      - 2
      - 0
    .max_flat_workgroup_size: 1024
    .name:           _ZN5aiter20topk_softplus_kernelIf12hip_bfloat16Dv1_fLb1ELi1EEEvPKT_PKT0_PfPimiiif
    .private_segment_fixed_size: 0
    .sgpr_count:     24
    .sgpr_spill_count: 0
    .symbol:         _ZN5aiter20topk_softplus_kernelIf12hip_bfloat16Dv1_fLb1ELi1EEEvPKT_PKT0_PfPimiiif.kd
    .uniform_work_group_size: 1
    .uses_dynamic_stack: false
    .vgpr_count:     12
    .vgpr_spill_count: 0
    .wavefront_size: 32
    .workgroup_processor_mode: 1
  - .args:
      - .actual_access:  read_only
        .address_space:  global
        .offset:         0
        .size:           8
        .value_kind:     global_buffer
      - .actual_access:  read_only
        .address_space:  global
        .offset:         8
        .size:           8
        .value_kind:     global_buffer
      - .actual_access:  write_only
        .address_space:  global
        .offset:         16
        .size:           8
        .value_kind:     global_buffer
      - .actual_access:  write_only
        .address_space:  global
        .offset:         24
        .size:           8
        .value_kind:     global_buffer
      - .offset:         32
        .size:           8
        .value_kind:     by_value
      - .offset:         40
        .size:           4
        .value_kind:     by_value
      - .offset:         44
        .size:           4
        .value_kind:     by_value
      - .offset:         48
        .size:           4
        .value_kind:     by_value
      - .offset:         52
        .size:           4
        .value_kind:     by_value
      - .offset:         56
        .size:           4
        .value_kind:     hidden_block_count_x
      - .offset:         60
        .size:           4
        .value_kind:     hidden_block_count_y
      - .offset:         64
        .size:           4
        .value_kind:     hidden_block_count_z
      - .offset:         68
        .size:           2
        .value_kind:     hidden_group_size_x
      - .offset:         70
        .size:           2
        .value_kind:     hidden_group_size_y
      - .offset:         72
        .size:           2
        .value_kind:     hidden_group_size_z
      - .offset:         74
        .size:           2
        .value_kind:     hidden_remainder_x
      - .offset:         76
        .size:           2
        .value_kind:     hidden_remainder_y
      - .offset:         78
        .size:           2
        .value_kind:     hidden_remainder_z
      - .offset:         96
        .size:           8
        .value_kind:     hidden_global_offset_x
      - .offset:         104
        .size:           8
        .value_kind:     hidden_global_offset_y
      - .offset:         112
        .size:           8
        .value_kind:     hidden_global_offset_z
      - .offset:         120
        .size:           2
        .value_kind:     hidden_grid_dims
      - .offset:         176
        .size:           4
        .value_kind:     hidden_dynamic_lds_size
    .group_segment_fixed_size: 0
    .kernarg_segment_align: 8
    .kernarg_segment_size: 312
    .language:       OpenCL C
    .language_version:
      - 2
      - 0
    .max_flat_workgroup_size: 1024
    .name:           _ZN5aiter20topk_softplus_kernelIf12hip_bfloat16Dv1_fLb0ELi1EEEvPKT_PKT0_PfPimiiif
    .private_segment_fixed_size: 0
    .sgpr_count:     24
    .sgpr_spill_count: 0
    .symbol:         _ZN5aiter20topk_softplus_kernelIf12hip_bfloat16Dv1_fLb0ELi1EEEvPKT_PKT0_PfPimiiif.kd
    .uniform_work_group_size: 1
    .uses_dynamic_stack: false
    .vgpr_count:     11
    .vgpr_spill_count: 0
    .wavefront_size: 32
    .workgroup_processor_mode: 1
  - .args:
      - .actual_access:  read_only
        .address_space:  global
        .offset:         0
        .size:           8
        .value_kind:     global_buffer
      - .actual_access:  read_only
        .address_space:  global
        .offset:         8
        .size:           8
        .value_kind:     global_buffer
      - .actual_access:  write_only
        .address_space:  global
        .offset:         16
        .size:           8
        .value_kind:     global_buffer
      - .actual_access:  write_only
        .address_space:  global
        .offset:         24
        .size:           8
        .value_kind:     global_buffer
      - .offset:         32
        .size:           8
        .value_kind:     by_value
      - .offset:         40
        .size:           4
        .value_kind:     by_value
      - .offset:         44
        .size:           4
        .value_kind:     by_value
      - .offset:         48
        .size:           4
        .value_kind:     by_value
      - .offset:         52
        .size:           4
        .value_kind:     by_value
      - .offset:         56
        .size:           4
        .value_kind:     hidden_block_count_x
      - .offset:         60
        .size:           4
        .value_kind:     hidden_block_count_y
      - .offset:         64
        .size:           4
        .value_kind:     hidden_block_count_z
      - .offset:         68
        .size:           2
        .value_kind:     hidden_group_size_x
      - .offset:         70
        .size:           2
        .value_kind:     hidden_group_size_y
      - .offset:         72
        .size:           2
        .value_kind:     hidden_group_size_z
      - .offset:         74
        .size:           2
        .value_kind:     hidden_remainder_x
      - .offset:         76
        .size:           2
        .value_kind:     hidden_remainder_y
      - .offset:         78
        .size:           2
        .value_kind:     hidden_remainder_z
      - .offset:         96
        .size:           8
        .value_kind:     hidden_global_offset_x
      - .offset:         104
        .size:           8
        .value_kind:     hidden_global_offset_y
      - .offset:         112
        .size:           8
        .value_kind:     hidden_global_offset_z
      - .offset:         120
        .size:           2
        .value_kind:     hidden_grid_dims
      - .offset:         176
        .size:           4
        .value_kind:     hidden_dynamic_lds_size
    .group_segment_fixed_size: 0
    .kernarg_segment_align: 8
    .kernarg_segment_size: 312
    .language:       OpenCL C
    .language_version:
      - 2
      - 0
    .max_flat_workgroup_size: 1024
    .name:           _ZN5aiter20topk_softplus_kernelIf12hip_bfloat16Dv4_fLb1ELi2EEEvPKT_PKT0_PfPimiiif
    .private_segment_fixed_size: 0
    .sgpr_count:     25
    .sgpr_spill_count: 0
    .symbol:         _ZN5aiter20topk_softplus_kernelIf12hip_bfloat16Dv4_fLb1ELi2EEEvPKT_PKT0_PfPimiiif.kd
    .uniform_work_group_size: 1
    .uses_dynamic_stack: false
    .vgpr_count:     17
    .vgpr_spill_count: 0
    .wavefront_size: 32
    .workgroup_processor_mode: 1
  - .args:
      - .actual_access:  read_only
        .address_space:  global
        .offset:         0
        .size:           8
        .value_kind:     global_buffer
      - .actual_access:  read_only
        .address_space:  global
        .offset:         8
        .size:           8
        .value_kind:     global_buffer
      - .actual_access:  write_only
        .address_space:  global
        .offset:         16
        .size:           8
        .value_kind:     global_buffer
      - .actual_access:  write_only
        .address_space:  global
        .offset:         24
        .size:           8
        .value_kind:     global_buffer
      - .offset:         32
        .size:           8
        .value_kind:     by_value
      - .offset:         40
        .size:           4
        .value_kind:     by_value
      - .offset:         44
        .size:           4
        .value_kind:     by_value
      - .offset:         48
        .size:           4
        .value_kind:     by_value
      - .offset:         52
        .size:           4
        .value_kind:     by_value
      - .offset:         56
        .size:           4
        .value_kind:     hidden_block_count_x
      - .offset:         60
        .size:           4
        .value_kind:     hidden_block_count_y
      - .offset:         64
        .size:           4
        .value_kind:     hidden_block_count_z
      - .offset:         68
        .size:           2
        .value_kind:     hidden_group_size_x
      - .offset:         70
        .size:           2
        .value_kind:     hidden_group_size_y
      - .offset:         72
        .size:           2
        .value_kind:     hidden_group_size_z
      - .offset:         74
        .size:           2
        .value_kind:     hidden_remainder_x
      - .offset:         76
        .size:           2
        .value_kind:     hidden_remainder_y
      - .offset:         78
        .size:           2
        .value_kind:     hidden_remainder_z
      - .offset:         96
        .size:           8
        .value_kind:     hidden_global_offset_x
      - .offset:         104
        .size:           8
        .value_kind:     hidden_global_offset_y
      - .offset:         112
        .size:           8
        .value_kind:     hidden_global_offset_z
      - .offset:         120
        .size:           2
        .value_kind:     hidden_grid_dims
      - .offset:         176
        .size:           4
        .value_kind:     hidden_dynamic_lds_size
    .group_segment_fixed_size: 0
    .kernarg_segment_align: 8
    .kernarg_segment_size: 312
    .language:       OpenCL C
    .language_version:
      - 2
      - 0
    .max_flat_workgroup_size: 1024
    .name:           _ZN5aiter20topk_softplus_kernelIf12hip_bfloat16Dv4_fLb0ELi2EEEvPKT_PKT0_PfPimiiif
    .private_segment_fixed_size: 0
    .sgpr_count:     25
    .sgpr_spill_count: 0
    .symbol:         _ZN5aiter20topk_softplus_kernelIf12hip_bfloat16Dv4_fLb0ELi2EEEvPKT_PKT0_PfPimiiif.kd
    .uniform_work_group_size: 1
    .uses_dynamic_stack: false
    .vgpr_count:     16
    .vgpr_spill_count: 0
    .wavefront_size: 32
    .workgroup_processor_mode: 1
  - .args:
      - .actual_access:  read_only
        .address_space:  global
        .offset:         0
        .size:           8
        .value_kind:     global_buffer
      - .actual_access:  read_only
        .address_space:  global
        .offset:         8
        .size:           8
        .value_kind:     global_buffer
      - .actual_access:  write_only
        .address_space:  global
        .offset:         16
        .size:           8
        .value_kind:     global_buffer
      - .actual_access:  write_only
        .address_space:  global
        .offset:         24
        .size:           8
        .value_kind:     global_buffer
      - .offset:         32
        .size:           8
        .value_kind:     by_value
      - .offset:         40
        .size:           4
        .value_kind:     by_value
      - .offset:         44
        .size:           4
        .value_kind:     by_value
      - .offset:         48
        .size:           4
        .value_kind:     by_value
      - .offset:         52
        .size:           4
        .value_kind:     by_value
      - .offset:         56
        .size:           4
        .value_kind:     hidden_block_count_x
      - .offset:         60
        .size:           4
        .value_kind:     hidden_block_count_y
      - .offset:         64
        .size:           4
        .value_kind:     hidden_block_count_z
      - .offset:         68
        .size:           2
        .value_kind:     hidden_group_size_x
      - .offset:         70
        .size:           2
        .value_kind:     hidden_group_size_y
      - .offset:         72
        .size:           2
        .value_kind:     hidden_group_size_z
      - .offset:         74
        .size:           2
        .value_kind:     hidden_remainder_x
      - .offset:         76
        .size:           2
        .value_kind:     hidden_remainder_y
      - .offset:         78
        .size:           2
        .value_kind:     hidden_remainder_z
      - .offset:         96
        .size:           8
        .value_kind:     hidden_global_offset_x
      - .offset:         104
        .size:           8
        .value_kind:     hidden_global_offset_y
      - .offset:         112
        .size:           8
        .value_kind:     hidden_global_offset_z
      - .offset:         120
        .size:           2
        .value_kind:     hidden_grid_dims
      - .offset:         176
        .size:           4
        .value_kind:     hidden_dynamic_lds_size
    .group_segment_fixed_size: 0
    .kernarg_segment_align: 8
    .kernarg_segment_size: 312
    .language:       OpenCL C
    .language_version:
      - 2
      - 0
    .max_flat_workgroup_size: 1024
    .name:           _ZN5aiter20topk_softplus_kernelIf12hip_bfloat16Dv2_fLb1ELi2EEEvPKT_PKT0_PfPimiiif
    .private_segment_fixed_size: 0
    .sgpr_count:     25
    .sgpr_spill_count: 0
    .symbol:         _ZN5aiter20topk_softplus_kernelIf12hip_bfloat16Dv2_fLb1ELi2EEEvPKT_PKT0_PfPimiiif.kd
    .uniform_work_group_size: 1
    .uses_dynamic_stack: false
    .vgpr_count:     15
    .vgpr_spill_count: 0
    .wavefront_size: 32
    .workgroup_processor_mode: 1
  - .args:
      - .actual_access:  read_only
        .address_space:  global
        .offset:         0
        .size:           8
        .value_kind:     global_buffer
      - .actual_access:  read_only
        .address_space:  global
        .offset:         8
        .size:           8
        .value_kind:     global_buffer
      - .actual_access:  write_only
        .address_space:  global
        .offset:         16
        .size:           8
        .value_kind:     global_buffer
      - .actual_access:  write_only
        .address_space:  global
        .offset:         24
        .size:           8
        .value_kind:     global_buffer
      - .offset:         32
        .size:           8
        .value_kind:     by_value
      - .offset:         40
        .size:           4
        .value_kind:     by_value
      - .offset:         44
        .size:           4
        .value_kind:     by_value
      - .offset:         48
        .size:           4
        .value_kind:     by_value
      - .offset:         52
        .size:           4
        .value_kind:     by_value
      - .offset:         56
        .size:           4
        .value_kind:     hidden_block_count_x
      - .offset:         60
        .size:           4
        .value_kind:     hidden_block_count_y
      - .offset:         64
        .size:           4
        .value_kind:     hidden_block_count_z
      - .offset:         68
        .size:           2
        .value_kind:     hidden_group_size_x
      - .offset:         70
        .size:           2
        .value_kind:     hidden_group_size_y
      - .offset:         72
        .size:           2
        .value_kind:     hidden_group_size_z
      - .offset:         74
        .size:           2
        .value_kind:     hidden_remainder_x
      - .offset:         76
        .size:           2
        .value_kind:     hidden_remainder_y
      - .offset:         78
        .size:           2
        .value_kind:     hidden_remainder_z
      - .offset:         96
        .size:           8
        .value_kind:     hidden_global_offset_x
      - .offset:         104
        .size:           8
        .value_kind:     hidden_global_offset_y
      - .offset:         112
        .size:           8
        .value_kind:     hidden_global_offset_z
      - .offset:         120
        .size:           2
        .value_kind:     hidden_grid_dims
      - .offset:         176
        .size:           4
        .value_kind:     hidden_dynamic_lds_size
    .group_segment_fixed_size: 0
    .kernarg_segment_align: 8
    .kernarg_segment_size: 312
    .language:       OpenCL C
    .language_version:
      - 2
      - 0
    .max_flat_workgroup_size: 1024
    .name:           _ZN5aiter20topk_softplus_kernelIf12hip_bfloat16Dv2_fLb0ELi2EEEvPKT_PKT0_PfPimiiif
    .private_segment_fixed_size: 0
    .sgpr_count:     25
    .sgpr_spill_count: 0
    .symbol:         _ZN5aiter20topk_softplus_kernelIf12hip_bfloat16Dv2_fLb0ELi2EEEvPKT_PKT0_PfPimiiif.kd
    .uniform_work_group_size: 1
    .uses_dynamic_stack: false
    .vgpr_count:     14
    .vgpr_spill_count: 0
    .wavefront_size: 32
    .workgroup_processor_mode: 1
  - .args:
      - .actual_access:  read_only
        .address_space:  global
        .offset:         0
        .size:           8
        .value_kind:     global_buffer
      - .actual_access:  read_only
        .address_space:  global
        .offset:         8
        .size:           8
        .value_kind:     global_buffer
      - .actual_access:  write_only
        .address_space:  global
        .offset:         16
        .size:           8
        .value_kind:     global_buffer
      - .actual_access:  write_only
        .address_space:  global
        .offset:         24
        .size:           8
        .value_kind:     global_buffer
      - .offset:         32
        .size:           8
        .value_kind:     by_value
      - .offset:         40
        .size:           4
        .value_kind:     by_value
      - .offset:         44
        .size:           4
        .value_kind:     by_value
      - .offset:         48
        .size:           4
        .value_kind:     by_value
      - .offset:         52
        .size:           4
        .value_kind:     by_value
      - .offset:         56
        .size:           4
        .value_kind:     hidden_block_count_x
      - .offset:         60
        .size:           4
        .value_kind:     hidden_block_count_y
      - .offset:         64
        .size:           4
        .value_kind:     hidden_block_count_z
      - .offset:         68
        .size:           2
        .value_kind:     hidden_group_size_x
      - .offset:         70
        .size:           2
        .value_kind:     hidden_group_size_y
      - .offset:         72
        .size:           2
        .value_kind:     hidden_group_size_z
      - .offset:         74
        .size:           2
        .value_kind:     hidden_remainder_x
      - .offset:         76
        .size:           2
        .value_kind:     hidden_remainder_y
      - .offset:         78
        .size:           2
        .value_kind:     hidden_remainder_z
      - .offset:         96
        .size:           8
        .value_kind:     hidden_global_offset_x
      - .offset:         104
        .size:           8
        .value_kind:     hidden_global_offset_y
      - .offset:         112
        .size:           8
        .value_kind:     hidden_global_offset_z
      - .offset:         120
        .size:           2
        .value_kind:     hidden_grid_dims
      - .offset:         176
        .size:           4
        .value_kind:     hidden_dynamic_lds_size
    .group_segment_fixed_size: 0
    .kernarg_segment_align: 8
    .kernarg_segment_size: 312
    .language:       OpenCL C
    .language_version:
      - 2
      - 0
    .max_flat_workgroup_size: 1024
    .name:           _ZN5aiter20topk_softplus_kernelIf12hip_bfloat16Dv1_fLb1ELi2EEEvPKT_PKT0_PfPimiiif
    .private_segment_fixed_size: 0
    .sgpr_count:     24
    .sgpr_spill_count: 0
    .symbol:         _ZN5aiter20topk_softplus_kernelIf12hip_bfloat16Dv1_fLb1ELi2EEEvPKT_PKT0_PfPimiiif.kd
    .uniform_work_group_size: 1
    .uses_dynamic_stack: false
    .vgpr_count:     12
    .vgpr_spill_count: 0
    .wavefront_size: 32
    .workgroup_processor_mode: 1
  - .args:
      - .actual_access:  read_only
        .address_space:  global
        .offset:         0
        .size:           8
        .value_kind:     global_buffer
      - .actual_access:  read_only
        .address_space:  global
        .offset:         8
        .size:           8
        .value_kind:     global_buffer
      - .actual_access:  write_only
        .address_space:  global
        .offset:         16
        .size:           8
        .value_kind:     global_buffer
      - .actual_access:  write_only
        .address_space:  global
        .offset:         24
        .size:           8
        .value_kind:     global_buffer
      - .offset:         32
        .size:           8
        .value_kind:     by_value
      - .offset:         40
        .size:           4
        .value_kind:     by_value
      - .offset:         44
        .size:           4
        .value_kind:     by_value
      - .offset:         48
        .size:           4
        .value_kind:     by_value
      - .offset:         52
        .size:           4
        .value_kind:     by_value
      - .offset:         56
        .size:           4
        .value_kind:     hidden_block_count_x
      - .offset:         60
        .size:           4
        .value_kind:     hidden_block_count_y
      - .offset:         64
        .size:           4
        .value_kind:     hidden_block_count_z
      - .offset:         68
        .size:           2
        .value_kind:     hidden_group_size_x
      - .offset:         70
        .size:           2
        .value_kind:     hidden_group_size_y
      - .offset:         72
        .size:           2
        .value_kind:     hidden_group_size_z
      - .offset:         74
        .size:           2
        .value_kind:     hidden_remainder_x
      - .offset:         76
        .size:           2
        .value_kind:     hidden_remainder_y
      - .offset:         78
        .size:           2
        .value_kind:     hidden_remainder_z
      - .offset:         96
        .size:           8
        .value_kind:     hidden_global_offset_x
      - .offset:         104
        .size:           8
        .value_kind:     hidden_global_offset_y
      - .offset:         112
        .size:           8
        .value_kind:     hidden_global_offset_z
      - .offset:         120
        .size:           2
        .value_kind:     hidden_grid_dims
      - .offset:         176
        .size:           4
        .value_kind:     hidden_dynamic_lds_size
    .group_segment_fixed_size: 0
    .kernarg_segment_align: 8
    .kernarg_segment_size: 312
    .language:       OpenCL C
    .language_version:
      - 2
      - 0
    .max_flat_workgroup_size: 1024
    .name:           _ZN5aiter20topk_softplus_kernelIf12hip_bfloat16Dv1_fLb0ELi2EEEvPKT_PKT0_PfPimiiif
    .private_segment_fixed_size: 0
    .sgpr_count:     24
    .sgpr_spill_count: 0
    .symbol:         _ZN5aiter20topk_softplus_kernelIf12hip_bfloat16Dv1_fLb0ELi2EEEvPKT_PKT0_PfPimiiif.kd
    .uniform_work_group_size: 1
    .uses_dynamic_stack: false
    .vgpr_count:     11
    .vgpr_spill_count: 0
    .wavefront_size: 32
    .workgroup_processor_mode: 1
  - .args:
      - .actual_access:  read_only
        .address_space:  global
        .offset:         0
        .size:           8
        .value_kind:     global_buffer
      - .actual_access:  read_only
        .address_space:  global
        .offset:         8
        .size:           8
        .value_kind:     global_buffer
      - .actual_access:  write_only
        .address_space:  global
        .offset:         16
        .size:           8
        .value_kind:     global_buffer
      - .actual_access:  write_only
        .address_space:  global
        .offset:         24
        .size:           8
        .value_kind:     global_buffer
      - .offset:         32
        .size:           8
        .value_kind:     by_value
      - .offset:         40
        .size:           4
        .value_kind:     by_value
      - .offset:         44
        .size:           4
        .value_kind:     by_value
      - .offset:         48
        .size:           4
        .value_kind:     by_value
    .group_segment_fixed_size: 0
    .kernarg_segment_align: 8
    .kernarg_segment_size: 52
    .language:       OpenCL C
    .language_version:
      - 2
      - 0
    .max_flat_workgroup_size: 1024
    .name:           _ZN5aiter24topk_softplus_kernel_optIf12hip_bfloat16Li64ELb1ELi0EEEvPKT_PKT0_PfPimiif
    .private_segment_fixed_size: 0
    .sgpr_count:     18
    .sgpr_spill_count: 0
    .symbol:         _ZN5aiter24topk_softplus_kernel_optIf12hip_bfloat16Li64ELb1ELi0EEEvPKT_PKT0_PfPimiif.kd
    .uniform_work_group_size: 1
    .uses_dynamic_stack: false
    .vgpr_count:     18
    .vgpr_spill_count: 0
    .wavefront_size: 32
    .workgroup_processor_mode: 1
  - .args:
      - .actual_access:  read_only
        .address_space:  global
        .offset:         0
        .size:           8
        .value_kind:     global_buffer
      - .actual_access:  read_only
        .address_space:  global
        .offset:         8
        .size:           8
        .value_kind:     global_buffer
      - .actual_access:  write_only
        .address_space:  global
        .offset:         16
        .size:           8
        .value_kind:     global_buffer
      - .actual_access:  write_only
        .address_space:  global
        .offset:         24
        .size:           8
        .value_kind:     global_buffer
      - .offset:         32
        .size:           8
        .value_kind:     by_value
      - .offset:         40
        .size:           4
        .value_kind:     by_value
      - .offset:         44
        .size:           4
        .value_kind:     by_value
      - .offset:         48
        .size:           4
        .value_kind:     by_value
    .group_segment_fixed_size: 0
    .kernarg_segment_align: 8
    .kernarg_segment_size: 52
    .language:       OpenCL C
    .language_version:
      - 2
      - 0
    .max_flat_workgroup_size: 1024
    .name:           _ZN5aiter24topk_softplus_kernel_optIf12hip_bfloat16Li64ELb0ELi0EEEvPKT_PKT0_PfPimiif
    .private_segment_fixed_size: 0
    .sgpr_count:     18
    .sgpr_spill_count: 0
    .symbol:         _ZN5aiter24topk_softplus_kernel_optIf12hip_bfloat16Li64ELb0ELi0EEEvPKT_PKT0_PfPimiif.kd
    .uniform_work_group_size: 1
    .uses_dynamic_stack: false
    .vgpr_count:     15
    .vgpr_spill_count: 0
    .wavefront_size: 32
    .workgroup_processor_mode: 1
  - .args:
      - .actual_access:  read_only
        .address_space:  global
        .offset:         0
        .size:           8
        .value_kind:     global_buffer
      - .actual_access:  read_only
        .address_space:  global
        .offset:         8
        .size:           8
        .value_kind:     global_buffer
      - .actual_access:  write_only
        .address_space:  global
        .offset:         16
        .size:           8
        .value_kind:     global_buffer
      - .actual_access:  write_only
        .address_space:  global
        .offset:         24
        .size:           8
        .value_kind:     global_buffer
      - .offset:         32
        .size:           8
        .value_kind:     by_value
      - .offset:         40
        .size:           4
        .value_kind:     by_value
      - .offset:         44
        .size:           4
        .value_kind:     by_value
      - .offset:         48
        .size:           4
        .value_kind:     by_value
    .group_segment_fixed_size: 0
    .kernarg_segment_align: 8
    .kernarg_segment_size: 52
    .language:       OpenCL C
    .language_version:
      - 2
      - 0
    .max_flat_workgroup_size: 1024
    .name:           _ZN5aiter24topk_softplus_kernel_optIf12hip_bfloat16Li128ELb1ELi0EEEvPKT_PKT0_PfPimiif
    .private_segment_fixed_size: 0
    .sgpr_count:     18
    .sgpr_spill_count: 0
    .symbol:         _ZN5aiter24topk_softplus_kernel_optIf12hip_bfloat16Li128ELb1ELi0EEEvPKT_PKT0_PfPimiif.kd
    .uniform_work_group_size: 1
    .uses_dynamic_stack: false
    .vgpr_count:     25
    .vgpr_spill_count: 0
    .wavefront_size: 32
    .workgroup_processor_mode: 1
  - .args:
      - .actual_access:  read_only
        .address_space:  global
        .offset:         0
        .size:           8
        .value_kind:     global_buffer
      - .actual_access:  read_only
        .address_space:  global
        .offset:         8
        .size:           8
        .value_kind:     global_buffer
      - .actual_access:  write_only
        .address_space:  global
        .offset:         16
        .size:           8
        .value_kind:     global_buffer
      - .actual_access:  write_only
        .address_space:  global
        .offset:         24
        .size:           8
        .value_kind:     global_buffer
      - .offset:         32
        .size:           8
        .value_kind:     by_value
      - .offset:         40
        .size:           4
        .value_kind:     by_value
      - .offset:         44
        .size:           4
        .value_kind:     by_value
      - .offset:         48
        .size:           4
        .value_kind:     by_value
    .group_segment_fixed_size: 0
    .kernarg_segment_align: 8
    .kernarg_segment_size: 52
    .language:       OpenCL C
    .language_version:
      - 2
      - 0
    .max_flat_workgroup_size: 1024
    .name:           _ZN5aiter24topk_softplus_kernel_optIf12hip_bfloat16Li128ELb0ELi0EEEvPKT_PKT0_PfPimiif
    .private_segment_fixed_size: 0
    .sgpr_count:     18
    .sgpr_spill_count: 0
    .symbol:         _ZN5aiter24topk_softplus_kernel_optIf12hip_bfloat16Li128ELb0ELi0EEEvPKT_PKT0_PfPimiif.kd
    .uniform_work_group_size: 1
    .uses_dynamic_stack: false
    .vgpr_count:     23
    .vgpr_spill_count: 0
    .wavefront_size: 32
    .workgroup_processor_mode: 1
  - .args:
      - .actual_access:  read_only
        .address_space:  global
        .offset:         0
        .size:           8
        .value_kind:     global_buffer
      - .actual_access:  read_only
        .address_space:  global
        .offset:         8
        .size:           8
        .value_kind:     global_buffer
      - .actual_access:  write_only
        .address_space:  global
        .offset:         16
        .size:           8
        .value_kind:     global_buffer
      - .actual_access:  write_only
        .address_space:  global
        .offset:         24
        .size:           8
        .value_kind:     global_buffer
      - .offset:         32
        .size:           8
        .value_kind:     by_value
      - .offset:         40
        .size:           4
        .value_kind:     by_value
      - .offset:         44
        .size:           4
        .value_kind:     by_value
      - .offset:         48
        .size:           4
        .value_kind:     by_value
    .group_segment_fixed_size: 0
    .kernarg_segment_align: 8
    .kernarg_segment_size: 52
    .language:       OpenCL C
    .language_version:
      - 2
      - 0
    .max_flat_workgroup_size: 1024
    .name:           _ZN5aiter24topk_softplus_kernel_optIf12hip_bfloat16Li256ELb1ELi0EEEvPKT_PKT0_PfPimiif
    .private_segment_fixed_size: 0
    .sgpr_count:     18
    .sgpr_spill_count: 0
    .symbol:         _ZN5aiter24topk_softplus_kernel_optIf12hip_bfloat16Li256ELb1ELi0EEEvPKT_PKT0_PfPimiif.kd
    .uniform_work_group_size: 1
    .uses_dynamic_stack: false
    .vgpr_count:     97
    .vgpr_spill_count: 0
    .wavefront_size: 32
    .workgroup_processor_mode: 1
  - .args:
      - .actual_access:  read_only
        .address_space:  global
        .offset:         0
        .size:           8
        .value_kind:     global_buffer
      - .actual_access:  read_only
        .address_space:  global
        .offset:         8
        .size:           8
        .value_kind:     global_buffer
      - .actual_access:  write_only
        .address_space:  global
        .offset:         16
        .size:           8
        .value_kind:     global_buffer
      - .actual_access:  write_only
        .address_space:  global
        .offset:         24
        .size:           8
        .value_kind:     global_buffer
      - .offset:         32
        .size:           8
        .value_kind:     by_value
      - .offset:         40
        .size:           4
        .value_kind:     by_value
      - .offset:         44
        .size:           4
        .value_kind:     by_value
      - .offset:         48
        .size:           4
        .value_kind:     by_value
    .group_segment_fixed_size: 0
    .kernarg_segment_align: 8
    .kernarg_segment_size: 52
    .language:       OpenCL C
    .language_version:
      - 2
      - 0
    .max_flat_workgroup_size: 1024
    .name:           _ZN5aiter24topk_softplus_kernel_optIf12hip_bfloat16Li256ELb0ELi0EEEvPKT_PKT0_PfPimiif
    .private_segment_fixed_size: 0
    .sgpr_count:     18
    .sgpr_spill_count: 0
    .symbol:         _ZN5aiter24topk_softplus_kernel_optIf12hip_bfloat16Li256ELb0ELi0EEEvPKT_PKT0_PfPimiif.kd
    .uniform_work_group_size: 1
    .uses_dynamic_stack: false
    .vgpr_count:     97
    .vgpr_spill_count: 0
    .wavefront_size: 32
    .workgroup_processor_mode: 1
  - .args:
      - .actual_access:  read_only
        .address_space:  global
        .offset:         0
        .size:           8
        .value_kind:     global_buffer
      - .actual_access:  read_only
        .address_space:  global
        .offset:         8
        .size:           8
        .value_kind:     global_buffer
      - .actual_access:  write_only
        .address_space:  global
        .offset:         16
        .size:           8
        .value_kind:     global_buffer
      - .actual_access:  write_only
        .address_space:  global
        .offset:         24
        .size:           8
        .value_kind:     global_buffer
      - .offset:         32
        .size:           8
        .value_kind:     by_value
      - .offset:         40
        .size:           4
        .value_kind:     by_value
      - .offset:         44
        .size:           4
        .value_kind:     by_value
      - .offset:         48
        .size:           4
        .value_kind:     by_value
    .group_segment_fixed_size: 0
    .kernarg_segment_align: 8
    .kernarg_segment_size: 52
    .language:       OpenCL C
    .language_version:
      - 2
      - 0
    .max_flat_workgroup_size: 1024
    .name:           _ZN5aiter24topk_softplus_kernel_optIf12hip_bfloat16Li384ELb1ELi0EEEvPKT_PKT0_PfPimiif
    .private_segment_fixed_size: 196
    .sgpr_count:     18
    .sgpr_spill_count: 0
    .symbol:         _ZN5aiter24topk_softplus_kernel_optIf12hip_bfloat16Li384ELb1ELi0EEEvPKT_PKT0_PfPimiif.kd
    .uniform_work_group_size: 1
    .uses_dynamic_stack: false
    .vgpr_count:     184
    .vgpr_spill_count: 300
    .wavefront_size: 32
    .workgroup_processor_mode: 1
  - .args:
      - .actual_access:  read_only
        .address_space:  global
        .offset:         0
        .size:           8
        .value_kind:     global_buffer
      - .actual_access:  read_only
        .address_space:  global
        .offset:         8
        .size:           8
        .value_kind:     global_buffer
      - .actual_access:  write_only
        .address_space:  global
        .offset:         16
        .size:           8
        .value_kind:     global_buffer
      - .actual_access:  write_only
        .address_space:  global
        .offset:         24
        .size:           8
        .value_kind:     global_buffer
      - .offset:         32
        .size:           8
        .value_kind:     by_value
      - .offset:         40
        .size:           4
        .value_kind:     by_value
      - .offset:         44
        .size:           4
        .value_kind:     by_value
      - .offset:         48
        .size:           4
        .value_kind:     by_value
    .group_segment_fixed_size: 0
    .kernarg_segment_align: 8
    .kernarg_segment_size: 52
    .language:       OpenCL C
    .language_version:
      - 2
      - 0
    .max_flat_workgroup_size: 1024
    .name:           _ZN5aiter24topk_softplus_kernel_optIf12hip_bfloat16Li384ELb0ELi0EEEvPKT_PKT0_PfPimiif
    .private_segment_fixed_size: 196
    .sgpr_count:     18
    .sgpr_spill_count: 0
    .symbol:         _ZN5aiter24topk_softplus_kernel_optIf12hip_bfloat16Li384ELb0ELi0EEEvPKT_PKT0_PfPimiif.kd
    .uniform_work_group_size: 1
    .uses_dynamic_stack: false
    .vgpr_count:     184
    .vgpr_spill_count: 300
    .wavefront_size: 32
    .workgroup_processor_mode: 1
  - .args:
      - .actual_access:  read_only
        .address_space:  global
        .offset:         0
        .size:           8
        .value_kind:     global_buffer
      - .actual_access:  read_only
        .address_space:  global
        .offset:         8
        .size:           8
        .value_kind:     global_buffer
      - .actual_access:  write_only
        .address_space:  global
        .offset:         16
        .size:           8
        .value_kind:     global_buffer
      - .actual_access:  write_only
        .address_space:  global
        .offset:         24
        .size:           8
        .value_kind:     global_buffer
      - .offset:         32
        .size:           8
        .value_kind:     by_value
      - .offset:         40
        .size:           4
        .value_kind:     by_value
      - .offset:         44
        .size:           4
        .value_kind:     by_value
      - .offset:         48
        .size:           4
        .value_kind:     by_value
      - .offset:         52
        .size:           4
        .value_kind:     by_value
      - .offset:         56
        .size:           4
        .value_kind:     hidden_block_count_x
      - .offset:         60
        .size:           4
        .value_kind:     hidden_block_count_y
      - .offset:         64
        .size:           4
        .value_kind:     hidden_block_count_z
      - .offset:         68
        .size:           2
        .value_kind:     hidden_group_size_x
      - .offset:         70
        .size:           2
        .value_kind:     hidden_group_size_y
      - .offset:         72
        .size:           2
        .value_kind:     hidden_group_size_z
      - .offset:         74
        .size:           2
        .value_kind:     hidden_remainder_x
      - .offset:         76
        .size:           2
        .value_kind:     hidden_remainder_y
      - .offset:         78
        .size:           2
        .value_kind:     hidden_remainder_z
      - .offset:         96
        .size:           8
        .value_kind:     hidden_global_offset_x
      - .offset:         104
        .size:           8
        .value_kind:     hidden_global_offset_y
      - .offset:         112
        .size:           8
        .value_kind:     hidden_global_offset_z
      - .offset:         120
        .size:           2
        .value_kind:     hidden_grid_dims
      - .offset:         176
        .size:           4
        .value_kind:     hidden_dynamic_lds_size
    .group_segment_fixed_size: 0
    .kernarg_segment_align: 8
    .kernarg_segment_size: 312
    .language:       OpenCL C
    .language_version:
      - 2
      - 0
    .max_flat_workgroup_size: 1024
    .name:           _ZN5aiter20topk_softplus_kernelIf12hip_bfloat16Dv4_fLb1ELi0EEEvPKT_PKT0_PfPimiiif
    .private_segment_fixed_size: 0
    .sgpr_count:     32
    .sgpr_spill_count: 0
    .symbol:         _ZN5aiter20topk_softplus_kernelIf12hip_bfloat16Dv4_fLb1ELi0EEEvPKT_PKT0_PfPimiiif.kd
    .uniform_work_group_size: 1
    .uses_dynamic_stack: false
    .vgpr_count:     19
    .vgpr_spill_count: 0
    .wavefront_size: 32
    .workgroup_processor_mode: 1
  - .args:
      - .actual_access:  read_only
        .address_space:  global
        .offset:         0
        .size:           8
        .value_kind:     global_buffer
      - .actual_access:  read_only
        .address_space:  global
        .offset:         8
        .size:           8
        .value_kind:     global_buffer
      - .actual_access:  write_only
        .address_space:  global
        .offset:         16
        .size:           8
        .value_kind:     global_buffer
      - .actual_access:  write_only
        .address_space:  global
        .offset:         24
        .size:           8
        .value_kind:     global_buffer
      - .offset:         32
        .size:           8
        .value_kind:     by_value
      - .offset:         40
        .size:           4
        .value_kind:     by_value
      - .offset:         44
        .size:           4
        .value_kind:     by_value
      - .offset:         48
        .size:           4
        .value_kind:     by_value
      - .offset:         52
        .size:           4
        .value_kind:     by_value
      - .offset:         56
        .size:           4
        .value_kind:     hidden_block_count_x
      - .offset:         60
        .size:           4
        .value_kind:     hidden_block_count_y
      - .offset:         64
        .size:           4
        .value_kind:     hidden_block_count_z
      - .offset:         68
        .size:           2
        .value_kind:     hidden_group_size_x
      - .offset:         70
        .size:           2
        .value_kind:     hidden_group_size_y
      - .offset:         72
        .size:           2
        .value_kind:     hidden_group_size_z
      - .offset:         74
        .size:           2
        .value_kind:     hidden_remainder_x
      - .offset:         76
        .size:           2
        .value_kind:     hidden_remainder_y
      - .offset:         78
        .size:           2
        .value_kind:     hidden_remainder_z
      - .offset:         96
        .size:           8
        .value_kind:     hidden_global_offset_x
      - .offset:         104
        .size:           8
        .value_kind:     hidden_global_offset_y
      - .offset:         112
        .size:           8
        .value_kind:     hidden_global_offset_z
      - .offset:         120
        .size:           2
        .value_kind:     hidden_grid_dims
      - .offset:         176
        .size:           4
        .value_kind:     hidden_dynamic_lds_size
    .group_segment_fixed_size: 0
    .kernarg_segment_align: 8
    .kernarg_segment_size: 312
    .language:       OpenCL C
    .language_version:
      - 2
      - 0
    .max_flat_workgroup_size: 1024
    .name:           _ZN5aiter20topk_softplus_kernelIf12hip_bfloat16Dv4_fLb0ELi0EEEvPKT_PKT0_PfPimiiif
    .private_segment_fixed_size: 0
    .sgpr_count:     32
    .sgpr_spill_count: 0
    .symbol:         _ZN5aiter20topk_softplus_kernelIf12hip_bfloat16Dv4_fLb0ELi0EEEvPKT_PKT0_PfPimiiif.kd
    .uniform_work_group_size: 1
    .uses_dynamic_stack: false
    .vgpr_count:     19
    .vgpr_spill_count: 0
    .wavefront_size: 32
    .workgroup_processor_mode: 1
  - .args:
      - .actual_access:  read_only
        .address_space:  global
        .offset:         0
        .size:           8
        .value_kind:     global_buffer
      - .actual_access:  read_only
        .address_space:  global
        .offset:         8
        .size:           8
        .value_kind:     global_buffer
      - .actual_access:  write_only
        .address_space:  global
        .offset:         16
        .size:           8
        .value_kind:     global_buffer
      - .actual_access:  write_only
        .address_space:  global
        .offset:         24
        .size:           8
        .value_kind:     global_buffer
      - .offset:         32
        .size:           8
        .value_kind:     by_value
      - .offset:         40
        .size:           4
        .value_kind:     by_value
      - .offset:         44
        .size:           4
        .value_kind:     by_value
      - .offset:         48
        .size:           4
        .value_kind:     by_value
      - .offset:         52
        .size:           4
        .value_kind:     by_value
      - .offset:         56
        .size:           4
        .value_kind:     hidden_block_count_x
      - .offset:         60
        .size:           4
        .value_kind:     hidden_block_count_y
      - .offset:         64
        .size:           4
        .value_kind:     hidden_block_count_z
      - .offset:         68
        .size:           2
        .value_kind:     hidden_group_size_x
      - .offset:         70
        .size:           2
        .value_kind:     hidden_group_size_y
      - .offset:         72
        .size:           2
        .value_kind:     hidden_group_size_z
      - .offset:         74
        .size:           2
        .value_kind:     hidden_remainder_x
      - .offset:         76
        .size:           2
        .value_kind:     hidden_remainder_y
      - .offset:         78
        .size:           2
        .value_kind:     hidden_remainder_z
      - .offset:         96
        .size:           8
        .value_kind:     hidden_global_offset_x
      - .offset:         104
        .size:           8
        .value_kind:     hidden_global_offset_y
      - .offset:         112
        .size:           8
        .value_kind:     hidden_global_offset_z
      - .offset:         120
        .size:           2
        .value_kind:     hidden_grid_dims
      - .offset:         176
        .size:           4
        .value_kind:     hidden_dynamic_lds_size
    .group_segment_fixed_size: 0
    .kernarg_segment_align: 8
    .kernarg_segment_size: 312
    .language:       OpenCL C
    .language_version:
      - 2
      - 0
    .max_flat_workgroup_size: 1024
    .name:           _ZN5aiter20topk_softplus_kernelIf12hip_bfloat16Dv2_fLb1ELi0EEEvPKT_PKT0_PfPimiiif
    .private_segment_fixed_size: 0
    .sgpr_count:     26
    .sgpr_spill_count: 0
    .symbol:         _ZN5aiter20topk_softplus_kernelIf12hip_bfloat16Dv2_fLb1ELi0EEEvPKT_PKT0_PfPimiiif.kd
    .uniform_work_group_size: 1
    .uses_dynamic_stack: false
    .vgpr_count:     15
    .vgpr_spill_count: 0
    .wavefront_size: 32
    .workgroup_processor_mode: 1
  - .args:
      - .actual_access:  read_only
        .address_space:  global
        .offset:         0
        .size:           8
        .value_kind:     global_buffer
      - .actual_access:  read_only
        .address_space:  global
        .offset:         8
        .size:           8
        .value_kind:     global_buffer
      - .actual_access:  write_only
        .address_space:  global
        .offset:         16
        .size:           8
        .value_kind:     global_buffer
      - .actual_access:  write_only
        .address_space:  global
        .offset:         24
        .size:           8
        .value_kind:     global_buffer
      - .offset:         32
        .size:           8
        .value_kind:     by_value
      - .offset:         40
        .size:           4
        .value_kind:     by_value
      - .offset:         44
        .size:           4
        .value_kind:     by_value
      - .offset:         48
        .size:           4
        .value_kind:     by_value
      - .offset:         52
        .size:           4
        .value_kind:     by_value
      - .offset:         56
        .size:           4
        .value_kind:     hidden_block_count_x
      - .offset:         60
        .size:           4
        .value_kind:     hidden_block_count_y
      - .offset:         64
        .size:           4
        .value_kind:     hidden_block_count_z
      - .offset:         68
        .size:           2
        .value_kind:     hidden_group_size_x
      - .offset:         70
        .size:           2
        .value_kind:     hidden_group_size_y
      - .offset:         72
        .size:           2
        .value_kind:     hidden_group_size_z
      - .offset:         74
        .size:           2
        .value_kind:     hidden_remainder_x
      - .offset:         76
        .size:           2
        .value_kind:     hidden_remainder_y
      - .offset:         78
        .size:           2
        .value_kind:     hidden_remainder_z
      - .offset:         96
        .size:           8
        .value_kind:     hidden_global_offset_x
      - .offset:         104
        .size:           8
        .value_kind:     hidden_global_offset_y
      - .offset:         112
        .size:           8
        .value_kind:     hidden_global_offset_z
      - .offset:         120
        .size:           2
        .value_kind:     hidden_grid_dims
      - .offset:         176
        .size:           4
        .value_kind:     hidden_dynamic_lds_size
    .group_segment_fixed_size: 0
    .kernarg_segment_align: 8
    .kernarg_segment_size: 312
    .language:       OpenCL C
    .language_version:
      - 2
      - 0
    .max_flat_workgroup_size: 1024
    .name:           _ZN5aiter20topk_softplus_kernelIf12hip_bfloat16Dv2_fLb0ELi0EEEvPKT_PKT0_PfPimiiif
    .private_segment_fixed_size: 0
    .sgpr_count:     26
    .sgpr_spill_count: 0
    .symbol:         _ZN5aiter20topk_softplus_kernelIf12hip_bfloat16Dv2_fLb0ELi0EEEvPKT_PKT0_PfPimiiif.kd
    .uniform_work_group_size: 1
    .uses_dynamic_stack: false
    .vgpr_count:     14
    .vgpr_spill_count: 0
    .wavefront_size: 32
    .workgroup_processor_mode: 1
  - .args:
      - .actual_access:  read_only
        .address_space:  global
        .offset:         0
        .size:           8
        .value_kind:     global_buffer
      - .actual_access:  read_only
        .address_space:  global
        .offset:         8
        .size:           8
        .value_kind:     global_buffer
      - .actual_access:  write_only
        .address_space:  global
        .offset:         16
        .size:           8
        .value_kind:     global_buffer
      - .actual_access:  write_only
        .address_space:  global
        .offset:         24
        .size:           8
        .value_kind:     global_buffer
      - .offset:         32
        .size:           8
        .value_kind:     by_value
      - .offset:         40
        .size:           4
        .value_kind:     by_value
      - .offset:         44
        .size:           4
        .value_kind:     by_value
      - .offset:         48
        .size:           4
        .value_kind:     by_value
      - .offset:         52
        .size:           4
        .value_kind:     by_value
      - .offset:         56
        .size:           4
        .value_kind:     hidden_block_count_x
      - .offset:         60
        .size:           4
        .value_kind:     hidden_block_count_y
      - .offset:         64
        .size:           4
        .value_kind:     hidden_block_count_z
      - .offset:         68
        .size:           2
        .value_kind:     hidden_group_size_x
      - .offset:         70
        .size:           2
        .value_kind:     hidden_group_size_y
      - .offset:         72
        .size:           2
        .value_kind:     hidden_group_size_z
      - .offset:         74
        .size:           2
        .value_kind:     hidden_remainder_x
      - .offset:         76
        .size:           2
        .value_kind:     hidden_remainder_y
      - .offset:         78
        .size:           2
        .value_kind:     hidden_remainder_z
      - .offset:         96
        .size:           8
        .value_kind:     hidden_global_offset_x
      - .offset:         104
        .size:           8
        .value_kind:     hidden_global_offset_y
      - .offset:         112
        .size:           8
        .value_kind:     hidden_global_offset_z
      - .offset:         120
        .size:           2
        .value_kind:     hidden_grid_dims
      - .offset:         176
        .size:           4
        .value_kind:     hidden_dynamic_lds_size
    .group_segment_fixed_size: 0
    .kernarg_segment_align: 8
    .kernarg_segment_size: 312
    .language:       OpenCL C
    .language_version:
      - 2
      - 0
    .max_flat_workgroup_size: 1024
    .name:           _ZN5aiter20topk_softplus_kernelIf12hip_bfloat16Dv1_fLb1ELi0EEEvPKT_PKT0_PfPimiiif
    .private_segment_fixed_size: 0
    .sgpr_count:     24
    .sgpr_spill_count: 0
    .symbol:         _ZN5aiter20topk_softplus_kernelIf12hip_bfloat16Dv1_fLb1ELi0EEEvPKT_PKT0_PfPimiiif.kd
    .uniform_work_group_size: 1
    .uses_dynamic_stack: false
    .vgpr_count:     12
    .vgpr_spill_count: 0
    .wavefront_size: 32
    .workgroup_processor_mode: 1
  - .args:
      - .actual_access:  read_only
        .address_space:  global
        .offset:         0
        .size:           8
        .value_kind:     global_buffer
      - .actual_access:  read_only
        .address_space:  global
        .offset:         8
        .size:           8
        .value_kind:     global_buffer
      - .actual_access:  write_only
        .address_space:  global
        .offset:         16
        .size:           8
        .value_kind:     global_buffer
      - .actual_access:  write_only
        .address_space:  global
        .offset:         24
        .size:           8
        .value_kind:     global_buffer
      - .offset:         32
        .size:           8
        .value_kind:     by_value
      - .offset:         40
        .size:           4
        .value_kind:     by_value
      - .offset:         44
        .size:           4
        .value_kind:     by_value
      - .offset:         48
        .size:           4
        .value_kind:     by_value
      - .offset:         52
        .size:           4
        .value_kind:     by_value
      - .offset:         56
        .size:           4
        .value_kind:     hidden_block_count_x
      - .offset:         60
        .size:           4
        .value_kind:     hidden_block_count_y
      - .offset:         64
        .size:           4
        .value_kind:     hidden_block_count_z
      - .offset:         68
        .size:           2
        .value_kind:     hidden_group_size_x
      - .offset:         70
        .size:           2
        .value_kind:     hidden_group_size_y
      - .offset:         72
        .size:           2
        .value_kind:     hidden_group_size_z
      - .offset:         74
        .size:           2
        .value_kind:     hidden_remainder_x
      - .offset:         76
        .size:           2
        .value_kind:     hidden_remainder_y
      - .offset:         78
        .size:           2
        .value_kind:     hidden_remainder_z
      - .offset:         96
        .size:           8
        .value_kind:     hidden_global_offset_x
      - .offset:         104
        .size:           8
        .value_kind:     hidden_global_offset_y
      - .offset:         112
        .size:           8
        .value_kind:     hidden_global_offset_z
      - .offset:         120
        .size:           2
        .value_kind:     hidden_grid_dims
      - .offset:         176
        .size:           4
        .value_kind:     hidden_dynamic_lds_size
    .group_segment_fixed_size: 0
    .kernarg_segment_align: 8
    .kernarg_segment_size: 312
    .language:       OpenCL C
    .language_version:
      - 2
      - 0
    .max_flat_workgroup_size: 1024
    .name:           _ZN5aiter20topk_softplus_kernelIf12hip_bfloat16Dv1_fLb0ELi0EEEvPKT_PKT0_PfPimiiif
    .private_segment_fixed_size: 0
    .sgpr_count:     24
    .sgpr_spill_count: 0
    .symbol:         _ZN5aiter20topk_softplus_kernelIf12hip_bfloat16Dv1_fLb0ELi0EEEvPKT_PKT0_PfPimiiif.kd
    .uniform_work_group_size: 1
    .uses_dynamic_stack: false
    .vgpr_count:     11
    .vgpr_spill_count: 0
    .wavefront_size: 32
    .workgroup_processor_mode: 1
  - .args:
      - .actual_access:  read_only
        .address_space:  global
        .offset:         0
        .size:           8
        .value_kind:     global_buffer
      - .actual_access:  read_only
        .address_space:  global
        .offset:         8
        .size:           8
        .value_kind:     global_buffer
      - .actual_access:  write_only
        .address_space:  global
        .offset:         16
        .size:           8
        .value_kind:     global_buffer
      - .actual_access:  write_only
        .address_space:  global
        .offset:         24
        .size:           8
        .value_kind:     global_buffer
      - .offset:         32
        .size:           8
        .value_kind:     by_value
      - .offset:         40
        .size:           4
        .value_kind:     by_value
      - .offset:         44
        .size:           4
        .value_kind:     by_value
      - .offset:         48
        .size:           4
        .value_kind:     by_value
    .group_segment_fixed_size: 0
    .kernarg_segment_align: 8
    .kernarg_segment_size: 52
    .language:       OpenCL C
    .language_version:
      - 2
      - 0
    .max_flat_workgroup_size: 1024
    .name:           _ZN5aiter24topk_softplus_kernel_optI6__halffLi64ELb1ELi1EEEvPKT_PKT0_PfPimiif
    .private_segment_fixed_size: 0
    .sgpr_count:     18
    .sgpr_spill_count: 0
    .symbol:         _ZN5aiter24topk_softplus_kernel_optI6__halffLi64ELb1ELi1EEEvPKT_PKT0_PfPimiif.kd
    .uniform_work_group_size: 1
    .uses_dynamic_stack: false
    .vgpr_count:     18
    .vgpr_spill_count: 0
    .wavefront_size: 32
    .workgroup_processor_mode: 1
  - .args:
      - .actual_access:  read_only
        .address_space:  global
        .offset:         0
        .size:           8
        .value_kind:     global_buffer
      - .actual_access:  read_only
        .address_space:  global
        .offset:         8
        .size:           8
        .value_kind:     global_buffer
      - .actual_access:  write_only
        .address_space:  global
        .offset:         16
        .size:           8
        .value_kind:     global_buffer
      - .actual_access:  write_only
        .address_space:  global
        .offset:         24
        .size:           8
        .value_kind:     global_buffer
      - .offset:         32
        .size:           8
        .value_kind:     by_value
      - .offset:         40
        .size:           4
        .value_kind:     by_value
      - .offset:         44
        .size:           4
        .value_kind:     by_value
      - .offset:         48
        .size:           4
        .value_kind:     by_value
    .group_segment_fixed_size: 0
    .kernarg_segment_align: 8
    .kernarg_segment_size: 52
    .language:       OpenCL C
    .language_version:
      - 2
      - 0
    .max_flat_workgroup_size: 1024
    .name:           _ZN5aiter24topk_softplus_kernel_optI6__halffLi64ELb0ELi1EEEvPKT_PKT0_PfPimiif
    .private_segment_fixed_size: 0
    .sgpr_count:     18
    .sgpr_spill_count: 0
    .symbol:         _ZN5aiter24topk_softplus_kernel_optI6__halffLi64ELb0ELi1EEEvPKT_PKT0_PfPimiif.kd
    .uniform_work_group_size: 1
    .uses_dynamic_stack: false
    .vgpr_count:     15
    .vgpr_spill_count: 0
    .wavefront_size: 32
    .workgroup_processor_mode: 1
  - .args:
      - .actual_access:  read_only
        .address_space:  global
        .offset:         0
        .size:           8
        .value_kind:     global_buffer
      - .actual_access:  read_only
        .address_space:  global
        .offset:         8
        .size:           8
        .value_kind:     global_buffer
      - .actual_access:  write_only
        .address_space:  global
        .offset:         16
        .size:           8
        .value_kind:     global_buffer
      - .actual_access:  write_only
        .address_space:  global
        .offset:         24
        .size:           8
        .value_kind:     global_buffer
      - .offset:         32
        .size:           8
        .value_kind:     by_value
      - .offset:         40
        .size:           4
        .value_kind:     by_value
      - .offset:         44
        .size:           4
        .value_kind:     by_value
      - .offset:         48
        .size:           4
        .value_kind:     by_value
    .group_segment_fixed_size: 0
    .kernarg_segment_align: 8
    .kernarg_segment_size: 52
    .language:       OpenCL C
    .language_version:
      - 2
      - 0
    .max_flat_workgroup_size: 1024
    .name:           _ZN5aiter24topk_softplus_kernel_optI6__halffLi128ELb1ELi1EEEvPKT_PKT0_PfPimiif
    .private_segment_fixed_size: 0
    .sgpr_count:     18
    .sgpr_spill_count: 0
    .symbol:         _ZN5aiter24topk_softplus_kernel_optI6__halffLi128ELb1ELi1EEEvPKT_PKT0_PfPimiif.kd
    .uniform_work_group_size: 1
    .uses_dynamic_stack: false
    .vgpr_count:     25
    .vgpr_spill_count: 0
    .wavefront_size: 32
    .workgroup_processor_mode: 1
  - .args:
      - .actual_access:  read_only
        .address_space:  global
        .offset:         0
        .size:           8
        .value_kind:     global_buffer
      - .actual_access:  read_only
        .address_space:  global
        .offset:         8
        .size:           8
        .value_kind:     global_buffer
      - .actual_access:  write_only
        .address_space:  global
        .offset:         16
        .size:           8
        .value_kind:     global_buffer
      - .actual_access:  write_only
        .address_space:  global
        .offset:         24
        .size:           8
        .value_kind:     global_buffer
      - .offset:         32
        .size:           8
        .value_kind:     by_value
      - .offset:         40
        .size:           4
        .value_kind:     by_value
      - .offset:         44
        .size:           4
        .value_kind:     by_value
      - .offset:         48
        .size:           4
        .value_kind:     by_value
    .group_segment_fixed_size: 0
    .kernarg_segment_align: 8
    .kernarg_segment_size: 52
    .language:       OpenCL C
    .language_version:
      - 2
      - 0
    .max_flat_workgroup_size: 1024
    .name:           _ZN5aiter24topk_softplus_kernel_optI6__halffLi128ELb0ELi1EEEvPKT_PKT0_PfPimiif
    .private_segment_fixed_size: 0
    .sgpr_count:     18
    .sgpr_spill_count: 0
    .symbol:         _ZN5aiter24topk_softplus_kernel_optI6__halffLi128ELb0ELi1EEEvPKT_PKT0_PfPimiif.kd
    .uniform_work_group_size: 1
    .uses_dynamic_stack: false
    .vgpr_count:     23
    .vgpr_spill_count: 0
    .wavefront_size: 32
    .workgroup_processor_mode: 1
  - .args:
      - .actual_access:  read_only
        .address_space:  global
        .offset:         0
        .size:           8
        .value_kind:     global_buffer
      - .actual_access:  read_only
        .address_space:  global
        .offset:         8
        .size:           8
        .value_kind:     global_buffer
      - .actual_access:  write_only
        .address_space:  global
        .offset:         16
        .size:           8
        .value_kind:     global_buffer
      - .actual_access:  write_only
        .address_space:  global
        .offset:         24
        .size:           8
        .value_kind:     global_buffer
      - .offset:         32
        .size:           8
        .value_kind:     by_value
      - .offset:         40
        .size:           4
        .value_kind:     by_value
      - .offset:         44
        .size:           4
        .value_kind:     by_value
      - .offset:         48
        .size:           4
        .value_kind:     by_value
    .group_segment_fixed_size: 0
    .kernarg_segment_align: 8
    .kernarg_segment_size: 52
    .language:       OpenCL C
    .language_version:
      - 2
      - 0
    .max_flat_workgroup_size: 1024
    .name:           _ZN5aiter24topk_softplus_kernel_optI6__halffLi256ELb1ELi1EEEvPKT_PKT0_PfPimiif
    .private_segment_fixed_size: 0
    .sgpr_count:     18
    .sgpr_spill_count: 0
    .symbol:         _ZN5aiter24topk_softplus_kernel_optI6__halffLi256ELb1ELi1EEEvPKT_PKT0_PfPimiif.kd
    .uniform_work_group_size: 1
    .uses_dynamic_stack: false
    .vgpr_count:     104
    .vgpr_spill_count: 0
    .wavefront_size: 32
    .workgroup_processor_mode: 1
  - .args:
      - .actual_access:  read_only
        .address_space:  global
        .offset:         0
        .size:           8
        .value_kind:     global_buffer
      - .actual_access:  read_only
        .address_space:  global
        .offset:         8
        .size:           8
        .value_kind:     global_buffer
      - .actual_access:  write_only
        .address_space:  global
        .offset:         16
        .size:           8
        .value_kind:     global_buffer
      - .actual_access:  write_only
        .address_space:  global
        .offset:         24
        .size:           8
        .value_kind:     global_buffer
      - .offset:         32
        .size:           8
        .value_kind:     by_value
      - .offset:         40
        .size:           4
        .value_kind:     by_value
      - .offset:         44
        .size:           4
        .value_kind:     by_value
      - .offset:         48
        .size:           4
        .value_kind:     by_value
    .group_segment_fixed_size: 0
    .kernarg_segment_align: 8
    .kernarg_segment_size: 52
    .language:       OpenCL C
    .language_version:
      - 2
      - 0
    .max_flat_workgroup_size: 1024
    .name:           _ZN5aiter24topk_softplus_kernel_optI6__halffLi256ELb0ELi1EEEvPKT_PKT0_PfPimiif
    .private_segment_fixed_size: 0
    .sgpr_count:     18
    .sgpr_spill_count: 0
    .symbol:         _ZN5aiter24topk_softplus_kernel_optI6__halffLi256ELb0ELi1EEEvPKT_PKT0_PfPimiif.kd
    .uniform_work_group_size: 1
    .uses_dynamic_stack: false
    .vgpr_count:     104
    .vgpr_spill_count: 0
    .wavefront_size: 32
    .workgroup_processor_mode: 1
  - .args:
      - .actual_access:  read_only
        .address_space:  global
        .offset:         0
        .size:           8
        .value_kind:     global_buffer
      - .actual_access:  read_only
        .address_space:  global
        .offset:         8
        .size:           8
        .value_kind:     global_buffer
      - .actual_access:  write_only
        .address_space:  global
        .offset:         16
        .size:           8
        .value_kind:     global_buffer
      - .actual_access:  write_only
        .address_space:  global
        .offset:         24
        .size:           8
        .value_kind:     global_buffer
      - .offset:         32
        .size:           8
        .value_kind:     by_value
      - .offset:         40
        .size:           4
        .value_kind:     by_value
      - .offset:         44
        .size:           4
        .value_kind:     by_value
      - .offset:         48
        .size:           4
        .value_kind:     by_value
    .group_segment_fixed_size: 0
    .kernarg_segment_align: 8
    .kernarg_segment_size: 52
    .language:       OpenCL C
    .language_version:
      - 2
      - 0
    .max_flat_workgroup_size: 1024
    .name:           _ZN5aiter24topk_softplus_kernel_optI6__halffLi384ELb1ELi1EEEvPKT_PKT0_PfPimiif
    .private_segment_fixed_size: 196
    .sgpr_count:     18
    .sgpr_spill_count: 0
    .symbol:         _ZN5aiter24topk_softplus_kernel_optI6__halffLi384ELb1ELi1EEEvPKT_PKT0_PfPimiif.kd
    .uniform_work_group_size: 1
    .uses_dynamic_stack: false
    .vgpr_count:     184
    .vgpr_spill_count: 300
    .wavefront_size: 32
    .workgroup_processor_mode: 1
  - .args:
      - .actual_access:  read_only
        .address_space:  global
        .offset:         0
        .size:           8
        .value_kind:     global_buffer
      - .actual_access:  read_only
        .address_space:  global
        .offset:         8
        .size:           8
        .value_kind:     global_buffer
      - .actual_access:  write_only
        .address_space:  global
        .offset:         16
        .size:           8
        .value_kind:     global_buffer
      - .actual_access:  write_only
        .address_space:  global
        .offset:         24
        .size:           8
        .value_kind:     global_buffer
      - .offset:         32
        .size:           8
        .value_kind:     by_value
      - .offset:         40
        .size:           4
        .value_kind:     by_value
      - .offset:         44
        .size:           4
        .value_kind:     by_value
      - .offset:         48
        .size:           4
        .value_kind:     by_value
    .group_segment_fixed_size: 0
    .kernarg_segment_align: 8
    .kernarg_segment_size: 52
    .language:       OpenCL C
    .language_version:
      - 2
      - 0
    .max_flat_workgroup_size: 1024
    .name:           _ZN5aiter24topk_softplus_kernel_optI6__halffLi384ELb0ELi1EEEvPKT_PKT0_PfPimiif
    .private_segment_fixed_size: 196
    .sgpr_count:     18
    .sgpr_spill_count: 0
    .symbol:         _ZN5aiter24topk_softplus_kernel_optI6__halffLi384ELb0ELi1EEEvPKT_PKT0_PfPimiif.kd
    .uniform_work_group_size: 1
    .uses_dynamic_stack: false
    .vgpr_count:     184
    .vgpr_spill_count: 300
    .wavefront_size: 32
    .workgroup_processor_mode: 1
  - .args:
      - .actual_access:  read_only
        .address_space:  global
        .offset:         0
        .size:           8
        .value_kind:     global_buffer
      - .actual_access:  read_only
        .address_space:  global
        .offset:         8
        .size:           8
        .value_kind:     global_buffer
      - .actual_access:  write_only
        .address_space:  global
        .offset:         16
        .size:           8
        .value_kind:     global_buffer
      - .actual_access:  write_only
        .address_space:  global
        .offset:         24
        .size:           8
        .value_kind:     global_buffer
      - .offset:         32
        .size:           8
        .value_kind:     by_value
      - .offset:         40
        .size:           4
        .value_kind:     by_value
      - .offset:         44
        .size:           4
        .value_kind:     by_value
      - .offset:         48
        .size:           4
        .value_kind:     by_value
      - .offset:         52
        .size:           4
        .value_kind:     by_value
      - .offset:         56
        .size:           4
        .value_kind:     hidden_block_count_x
      - .offset:         60
        .size:           4
        .value_kind:     hidden_block_count_y
      - .offset:         64
        .size:           4
        .value_kind:     hidden_block_count_z
      - .offset:         68
        .size:           2
        .value_kind:     hidden_group_size_x
      - .offset:         70
        .size:           2
        .value_kind:     hidden_group_size_y
      - .offset:         72
        .size:           2
        .value_kind:     hidden_group_size_z
      - .offset:         74
        .size:           2
        .value_kind:     hidden_remainder_x
      - .offset:         76
        .size:           2
        .value_kind:     hidden_remainder_y
      - .offset:         78
        .size:           2
        .value_kind:     hidden_remainder_z
      - .offset:         96
        .size:           8
        .value_kind:     hidden_global_offset_x
      - .offset:         104
        .size:           8
        .value_kind:     hidden_global_offset_y
      - .offset:         112
        .size:           8
        .value_kind:     hidden_global_offset_z
      - .offset:         120
        .size:           2
        .value_kind:     hidden_grid_dims
      - .offset:         176
        .size:           4
        .value_kind:     hidden_dynamic_lds_size
    .group_segment_fixed_size: 0
    .kernarg_segment_align: 8
    .kernarg_segment_size: 312
    .language:       OpenCL C
    .language_version:
      - 2
      - 0
    .max_flat_workgroup_size: 1024
    .name:           _ZN5aiter20topk_softplus_kernelI6__halffDv4_fLb1ELi1EEEvPKT_PKT0_PfPimiiif
    .private_segment_fixed_size: 0
    .sgpr_count:     34
    .sgpr_spill_count: 0
    .symbol:         _ZN5aiter20topk_softplus_kernelI6__halffDv4_fLb1ELi1EEEvPKT_PKT0_PfPimiiif.kd
    .uniform_work_group_size: 1
    .uses_dynamic_stack: false
    .vgpr_count:     17
    .vgpr_spill_count: 0
    .wavefront_size: 32
    .workgroup_processor_mode: 1
  - .args:
      - .actual_access:  read_only
        .address_space:  global
        .offset:         0
        .size:           8
        .value_kind:     global_buffer
      - .actual_access:  read_only
        .address_space:  global
        .offset:         8
        .size:           8
        .value_kind:     global_buffer
      - .actual_access:  write_only
        .address_space:  global
        .offset:         16
        .size:           8
        .value_kind:     global_buffer
      - .actual_access:  write_only
        .address_space:  global
        .offset:         24
        .size:           8
        .value_kind:     global_buffer
      - .offset:         32
        .size:           8
        .value_kind:     by_value
      - .offset:         40
        .size:           4
        .value_kind:     by_value
      - .offset:         44
        .size:           4
        .value_kind:     by_value
      - .offset:         48
        .size:           4
        .value_kind:     by_value
      - .offset:         52
        .size:           4
        .value_kind:     by_value
      - .offset:         56
        .size:           4
        .value_kind:     hidden_block_count_x
      - .offset:         60
        .size:           4
        .value_kind:     hidden_block_count_y
      - .offset:         64
        .size:           4
        .value_kind:     hidden_block_count_z
      - .offset:         68
        .size:           2
        .value_kind:     hidden_group_size_x
      - .offset:         70
        .size:           2
        .value_kind:     hidden_group_size_y
      - .offset:         72
        .size:           2
        .value_kind:     hidden_group_size_z
      - .offset:         74
        .size:           2
        .value_kind:     hidden_remainder_x
      - .offset:         76
        .size:           2
        .value_kind:     hidden_remainder_y
      - .offset:         78
        .size:           2
        .value_kind:     hidden_remainder_z
      - .offset:         96
        .size:           8
        .value_kind:     hidden_global_offset_x
      - .offset:         104
        .size:           8
        .value_kind:     hidden_global_offset_y
      - .offset:         112
        .size:           8
        .value_kind:     hidden_global_offset_z
      - .offset:         120
        .size:           2
        .value_kind:     hidden_grid_dims
      - .offset:         176
        .size:           4
        .value_kind:     hidden_dynamic_lds_size
    .group_segment_fixed_size: 0
    .kernarg_segment_align: 8
    .kernarg_segment_size: 312
    .language:       OpenCL C
    .language_version:
      - 2
      - 0
    .max_flat_workgroup_size: 1024
    .name:           _ZN5aiter20topk_softplus_kernelI6__halffDv4_fLb0ELi1EEEvPKT_PKT0_PfPimiiif
    .private_segment_fixed_size: 0
    .sgpr_count:     34
    .sgpr_spill_count: 0
    .symbol:         _ZN5aiter20topk_softplus_kernelI6__halffDv4_fLb0ELi1EEEvPKT_PKT0_PfPimiiif.kd
    .uniform_work_group_size: 1
    .uses_dynamic_stack: false
    .vgpr_count:     17
    .vgpr_spill_count: 0
    .wavefront_size: 32
    .workgroup_processor_mode: 1
  - .args:
      - .actual_access:  read_only
        .address_space:  global
        .offset:         0
        .size:           8
        .value_kind:     global_buffer
      - .actual_access:  read_only
        .address_space:  global
        .offset:         8
        .size:           8
        .value_kind:     global_buffer
      - .actual_access:  write_only
        .address_space:  global
        .offset:         16
        .size:           8
        .value_kind:     global_buffer
      - .actual_access:  write_only
        .address_space:  global
        .offset:         24
        .size:           8
        .value_kind:     global_buffer
      - .offset:         32
        .size:           8
        .value_kind:     by_value
      - .offset:         40
        .size:           4
        .value_kind:     by_value
      - .offset:         44
        .size:           4
        .value_kind:     by_value
      - .offset:         48
        .size:           4
        .value_kind:     by_value
      - .offset:         52
        .size:           4
        .value_kind:     by_value
      - .offset:         56
        .size:           4
        .value_kind:     hidden_block_count_x
      - .offset:         60
        .size:           4
        .value_kind:     hidden_block_count_y
      - .offset:         64
        .size:           4
        .value_kind:     hidden_block_count_z
      - .offset:         68
        .size:           2
        .value_kind:     hidden_group_size_x
      - .offset:         70
        .size:           2
        .value_kind:     hidden_group_size_y
      - .offset:         72
        .size:           2
        .value_kind:     hidden_group_size_z
      - .offset:         74
        .size:           2
        .value_kind:     hidden_remainder_x
      - .offset:         76
        .size:           2
        .value_kind:     hidden_remainder_y
      - .offset:         78
        .size:           2
        .value_kind:     hidden_remainder_z
      - .offset:         96
        .size:           8
        .value_kind:     hidden_global_offset_x
      - .offset:         104
        .size:           8
        .value_kind:     hidden_global_offset_y
      - .offset:         112
        .size:           8
        .value_kind:     hidden_global_offset_z
      - .offset:         120
        .size:           2
        .value_kind:     hidden_grid_dims
      - .offset:         176
        .size:           4
        .value_kind:     hidden_dynamic_lds_size
    .group_segment_fixed_size: 0
    .kernarg_segment_align: 8
    .kernarg_segment_size: 312
    .language:       OpenCL C
    .language_version:
      - 2
      - 0
    .max_flat_workgroup_size: 1024
    .name:           _ZN5aiter20topk_softplus_kernelI6__halffDv2_fLb1ELi1EEEvPKT_PKT0_PfPimiiif
    .private_segment_fixed_size: 0
    .sgpr_count:     27
    .sgpr_spill_count: 0
    .symbol:         _ZN5aiter20topk_softplus_kernelI6__halffDv2_fLb1ELi1EEEvPKT_PKT0_PfPimiiif.kd
    .uniform_work_group_size: 1
    .uses_dynamic_stack: false
    .vgpr_count:     14
    .vgpr_spill_count: 0
    .wavefront_size: 32
    .workgroup_processor_mode: 1
  - .args:
      - .actual_access:  read_only
        .address_space:  global
        .offset:         0
        .size:           8
        .value_kind:     global_buffer
      - .actual_access:  read_only
        .address_space:  global
        .offset:         8
        .size:           8
        .value_kind:     global_buffer
      - .actual_access:  write_only
        .address_space:  global
        .offset:         16
        .size:           8
        .value_kind:     global_buffer
      - .actual_access:  write_only
        .address_space:  global
        .offset:         24
        .size:           8
        .value_kind:     global_buffer
      - .offset:         32
        .size:           8
        .value_kind:     by_value
      - .offset:         40
        .size:           4
        .value_kind:     by_value
      - .offset:         44
        .size:           4
        .value_kind:     by_value
      - .offset:         48
        .size:           4
        .value_kind:     by_value
      - .offset:         52
        .size:           4
        .value_kind:     by_value
      - .offset:         56
        .size:           4
        .value_kind:     hidden_block_count_x
      - .offset:         60
        .size:           4
        .value_kind:     hidden_block_count_y
      - .offset:         64
        .size:           4
        .value_kind:     hidden_block_count_z
      - .offset:         68
        .size:           2
        .value_kind:     hidden_group_size_x
      - .offset:         70
        .size:           2
        .value_kind:     hidden_group_size_y
      - .offset:         72
        .size:           2
        .value_kind:     hidden_group_size_z
      - .offset:         74
        .size:           2
        .value_kind:     hidden_remainder_x
      - .offset:         76
        .size:           2
        .value_kind:     hidden_remainder_y
      - .offset:         78
        .size:           2
        .value_kind:     hidden_remainder_z
      - .offset:         96
        .size:           8
        .value_kind:     hidden_global_offset_x
      - .offset:         104
        .size:           8
        .value_kind:     hidden_global_offset_y
      - .offset:         112
        .size:           8
        .value_kind:     hidden_global_offset_z
      - .offset:         120
        .size:           2
        .value_kind:     hidden_grid_dims
      - .offset:         176
        .size:           4
        .value_kind:     hidden_dynamic_lds_size
    .group_segment_fixed_size: 0
    .kernarg_segment_align: 8
    .kernarg_segment_size: 312
    .language:       OpenCL C
    .language_version:
      - 2
      - 0
    .max_flat_workgroup_size: 1024
    .name:           _ZN5aiter20topk_softplus_kernelI6__halffDv2_fLb0ELi1EEEvPKT_PKT0_PfPimiiif
    .private_segment_fixed_size: 0
    .sgpr_count:     27
    .sgpr_spill_count: 0
    .symbol:         _ZN5aiter20topk_softplus_kernelI6__halffDv2_fLb0ELi1EEEvPKT_PKT0_PfPimiiif.kd
    .uniform_work_group_size: 1
    .uses_dynamic_stack: false
    .vgpr_count:     13
    .vgpr_spill_count: 0
    .wavefront_size: 32
    .workgroup_processor_mode: 1
  - .args:
      - .actual_access:  read_only
        .address_space:  global
        .offset:         0
        .size:           8
        .value_kind:     global_buffer
      - .actual_access:  read_only
        .address_space:  global
        .offset:         8
        .size:           8
        .value_kind:     global_buffer
      - .actual_access:  write_only
        .address_space:  global
        .offset:         16
        .size:           8
        .value_kind:     global_buffer
      - .actual_access:  write_only
        .address_space:  global
        .offset:         24
        .size:           8
        .value_kind:     global_buffer
      - .offset:         32
        .size:           8
        .value_kind:     by_value
      - .offset:         40
        .size:           4
        .value_kind:     by_value
      - .offset:         44
        .size:           4
        .value_kind:     by_value
      - .offset:         48
        .size:           4
        .value_kind:     by_value
      - .offset:         52
        .size:           4
        .value_kind:     by_value
      - .offset:         56
        .size:           4
        .value_kind:     hidden_block_count_x
      - .offset:         60
        .size:           4
        .value_kind:     hidden_block_count_y
      - .offset:         64
        .size:           4
        .value_kind:     hidden_block_count_z
      - .offset:         68
        .size:           2
        .value_kind:     hidden_group_size_x
      - .offset:         70
        .size:           2
        .value_kind:     hidden_group_size_y
      - .offset:         72
        .size:           2
        .value_kind:     hidden_group_size_z
      - .offset:         74
        .size:           2
        .value_kind:     hidden_remainder_x
      - .offset:         76
        .size:           2
        .value_kind:     hidden_remainder_y
      - .offset:         78
        .size:           2
        .value_kind:     hidden_remainder_z
      - .offset:         96
        .size:           8
        .value_kind:     hidden_global_offset_x
      - .offset:         104
        .size:           8
        .value_kind:     hidden_global_offset_y
      - .offset:         112
        .size:           8
        .value_kind:     hidden_global_offset_z
      - .offset:         120
        .size:           2
        .value_kind:     hidden_grid_dims
      - .offset:         176
        .size:           4
        .value_kind:     hidden_dynamic_lds_size
    .group_segment_fixed_size: 0
    .kernarg_segment_align: 8
    .kernarg_segment_size: 312
    .language:       OpenCL C
    .language_version:
      - 2
      - 0
    .max_flat_workgroup_size: 1024
    .name:           _ZN5aiter20topk_softplus_kernelI6__halffDv1_fLb1ELi1EEEvPKT_PKT0_PfPimiiif
    .private_segment_fixed_size: 0
    .sgpr_count:     24
    .sgpr_spill_count: 0
    .symbol:         _ZN5aiter20topk_softplus_kernelI6__halffDv1_fLb1ELi1EEEvPKT_PKT0_PfPimiiif.kd
    .uniform_work_group_size: 1
    .uses_dynamic_stack: false
    .vgpr_count:     11
    .vgpr_spill_count: 0
    .wavefront_size: 32
    .workgroup_processor_mode: 1
  - .args:
      - .actual_access:  read_only
        .address_space:  global
        .offset:         0
        .size:           8
        .value_kind:     global_buffer
      - .actual_access:  read_only
        .address_space:  global
        .offset:         8
        .size:           8
        .value_kind:     global_buffer
      - .actual_access:  write_only
        .address_space:  global
        .offset:         16
        .size:           8
        .value_kind:     global_buffer
      - .actual_access:  write_only
        .address_space:  global
        .offset:         24
        .size:           8
        .value_kind:     global_buffer
      - .offset:         32
        .size:           8
        .value_kind:     by_value
      - .offset:         40
        .size:           4
        .value_kind:     by_value
      - .offset:         44
        .size:           4
        .value_kind:     by_value
      - .offset:         48
        .size:           4
        .value_kind:     by_value
      - .offset:         52
        .size:           4
        .value_kind:     by_value
      - .offset:         56
        .size:           4
        .value_kind:     hidden_block_count_x
      - .offset:         60
        .size:           4
        .value_kind:     hidden_block_count_y
      - .offset:         64
        .size:           4
        .value_kind:     hidden_block_count_z
      - .offset:         68
        .size:           2
        .value_kind:     hidden_group_size_x
      - .offset:         70
        .size:           2
        .value_kind:     hidden_group_size_y
      - .offset:         72
        .size:           2
        .value_kind:     hidden_group_size_z
      - .offset:         74
        .size:           2
        .value_kind:     hidden_remainder_x
      - .offset:         76
        .size:           2
        .value_kind:     hidden_remainder_y
      - .offset:         78
        .size:           2
        .value_kind:     hidden_remainder_z
      - .offset:         96
        .size:           8
        .value_kind:     hidden_global_offset_x
      - .offset:         104
        .size:           8
        .value_kind:     hidden_global_offset_y
      - .offset:         112
        .size:           8
        .value_kind:     hidden_global_offset_z
      - .offset:         120
        .size:           2
        .value_kind:     hidden_grid_dims
      - .offset:         176
        .size:           4
        .value_kind:     hidden_dynamic_lds_size
    .group_segment_fixed_size: 0
    .kernarg_segment_align: 8
    .kernarg_segment_size: 312
    .language:       OpenCL C
    .language_version:
      - 2
      - 0
    .max_flat_workgroup_size: 1024
    .name:           _ZN5aiter20topk_softplus_kernelI6__halffDv1_fLb0ELi1EEEvPKT_PKT0_PfPimiiif
    .private_segment_fixed_size: 0
    .sgpr_count:     24
    .sgpr_spill_count: 0
    .symbol:         _ZN5aiter20topk_softplus_kernelI6__halffDv1_fLb0ELi1EEEvPKT_PKT0_PfPimiiif.kd
    .uniform_work_group_size: 1
    .uses_dynamic_stack: false
    .vgpr_count:     10
    .vgpr_spill_count: 0
    .wavefront_size: 32
    .workgroup_processor_mode: 1
  - .args:
      - .actual_access:  read_only
        .address_space:  global
        .offset:         0
        .size:           8
        .value_kind:     global_buffer
      - .actual_access:  read_only
        .address_space:  global
        .offset:         8
        .size:           8
        .value_kind:     global_buffer
      - .actual_access:  write_only
        .address_space:  global
        .offset:         16
        .size:           8
        .value_kind:     global_buffer
      - .actual_access:  write_only
        .address_space:  global
        .offset:         24
        .size:           8
        .value_kind:     global_buffer
      - .offset:         32
        .size:           8
        .value_kind:     by_value
      - .offset:         40
        .size:           4
        .value_kind:     by_value
      - .offset:         44
        .size:           4
        .value_kind:     by_value
      - .offset:         48
        .size:           4
        .value_kind:     by_value
      - .offset:         52
        .size:           4
        .value_kind:     by_value
      - .offset:         56
        .size:           4
        .value_kind:     hidden_block_count_x
      - .offset:         60
        .size:           4
        .value_kind:     hidden_block_count_y
      - .offset:         64
        .size:           4
        .value_kind:     hidden_block_count_z
      - .offset:         68
        .size:           2
        .value_kind:     hidden_group_size_x
      - .offset:         70
        .size:           2
        .value_kind:     hidden_group_size_y
      - .offset:         72
        .size:           2
        .value_kind:     hidden_group_size_z
      - .offset:         74
        .size:           2
        .value_kind:     hidden_remainder_x
      - .offset:         76
        .size:           2
        .value_kind:     hidden_remainder_y
      - .offset:         78
        .size:           2
        .value_kind:     hidden_remainder_z
      - .offset:         96
        .size:           8
        .value_kind:     hidden_global_offset_x
      - .offset:         104
        .size:           8
        .value_kind:     hidden_global_offset_y
      - .offset:         112
        .size:           8
        .value_kind:     hidden_global_offset_z
      - .offset:         120
        .size:           2
        .value_kind:     hidden_grid_dims
      - .offset:         176
        .size:           4
        .value_kind:     hidden_dynamic_lds_size
    .group_segment_fixed_size: 0
    .kernarg_segment_align: 8
    .kernarg_segment_size: 312
    .language:       OpenCL C
    .language_version:
      - 2
      - 0
    .max_flat_workgroup_size: 1024
    .name:           _ZN5aiter20topk_softplus_kernelI6__halffDv4_fLb1ELi2EEEvPKT_PKT0_PfPimiiif
    .private_segment_fixed_size: 0
    .sgpr_count:     25
    .sgpr_spill_count: 0
    .symbol:         _ZN5aiter20topk_softplus_kernelI6__halffDv4_fLb1ELi2EEEvPKT_PKT0_PfPimiiif.kd
    .uniform_work_group_size: 1
    .uses_dynamic_stack: false
    .vgpr_count:     16
    .vgpr_spill_count: 0
    .wavefront_size: 32
    .workgroup_processor_mode: 1
  - .args:
      - .actual_access:  read_only
        .address_space:  global
        .offset:         0
        .size:           8
        .value_kind:     global_buffer
      - .actual_access:  read_only
        .address_space:  global
        .offset:         8
        .size:           8
        .value_kind:     global_buffer
      - .actual_access:  write_only
        .address_space:  global
        .offset:         16
        .size:           8
        .value_kind:     global_buffer
      - .actual_access:  write_only
        .address_space:  global
        .offset:         24
        .size:           8
        .value_kind:     global_buffer
      - .offset:         32
        .size:           8
        .value_kind:     by_value
      - .offset:         40
        .size:           4
        .value_kind:     by_value
      - .offset:         44
        .size:           4
        .value_kind:     by_value
      - .offset:         48
        .size:           4
        .value_kind:     by_value
      - .offset:         52
        .size:           4
        .value_kind:     by_value
      - .offset:         56
        .size:           4
        .value_kind:     hidden_block_count_x
      - .offset:         60
        .size:           4
        .value_kind:     hidden_block_count_y
      - .offset:         64
        .size:           4
        .value_kind:     hidden_block_count_z
      - .offset:         68
        .size:           2
        .value_kind:     hidden_group_size_x
      - .offset:         70
        .size:           2
        .value_kind:     hidden_group_size_y
      - .offset:         72
        .size:           2
        .value_kind:     hidden_group_size_z
      - .offset:         74
        .size:           2
        .value_kind:     hidden_remainder_x
      - .offset:         76
        .size:           2
        .value_kind:     hidden_remainder_y
      - .offset:         78
        .size:           2
        .value_kind:     hidden_remainder_z
      - .offset:         96
        .size:           8
        .value_kind:     hidden_global_offset_x
      - .offset:         104
        .size:           8
        .value_kind:     hidden_global_offset_y
      - .offset:         112
        .size:           8
        .value_kind:     hidden_global_offset_z
      - .offset:         120
        .size:           2
        .value_kind:     hidden_grid_dims
      - .offset:         176
        .size:           4
        .value_kind:     hidden_dynamic_lds_size
    .group_segment_fixed_size: 0
    .kernarg_segment_align: 8
    .kernarg_segment_size: 312
    .language:       OpenCL C
    .language_version:
      - 2
      - 0
    .max_flat_workgroup_size: 1024
    .name:           _ZN5aiter20topk_softplus_kernelI6__halffDv4_fLb0ELi2EEEvPKT_PKT0_PfPimiiif
    .private_segment_fixed_size: 0
    .sgpr_count:     25
    .sgpr_spill_count: 0
    .symbol:         _ZN5aiter20topk_softplus_kernelI6__halffDv4_fLb0ELi2EEEvPKT_PKT0_PfPimiiif.kd
    .uniform_work_group_size: 1
    .uses_dynamic_stack: false
    .vgpr_count:     15
    .vgpr_spill_count: 0
    .wavefront_size: 32
    .workgroup_processor_mode: 1
  - .args:
      - .actual_access:  read_only
        .address_space:  global
        .offset:         0
        .size:           8
        .value_kind:     global_buffer
      - .actual_access:  read_only
        .address_space:  global
        .offset:         8
        .size:           8
        .value_kind:     global_buffer
      - .actual_access:  write_only
        .address_space:  global
        .offset:         16
        .size:           8
        .value_kind:     global_buffer
      - .actual_access:  write_only
        .address_space:  global
        .offset:         24
        .size:           8
        .value_kind:     global_buffer
      - .offset:         32
        .size:           8
        .value_kind:     by_value
      - .offset:         40
        .size:           4
        .value_kind:     by_value
      - .offset:         44
        .size:           4
        .value_kind:     by_value
      - .offset:         48
        .size:           4
        .value_kind:     by_value
      - .offset:         52
        .size:           4
        .value_kind:     by_value
      - .offset:         56
        .size:           4
        .value_kind:     hidden_block_count_x
      - .offset:         60
        .size:           4
        .value_kind:     hidden_block_count_y
      - .offset:         64
        .size:           4
        .value_kind:     hidden_block_count_z
      - .offset:         68
        .size:           2
        .value_kind:     hidden_group_size_x
      - .offset:         70
        .size:           2
        .value_kind:     hidden_group_size_y
      - .offset:         72
        .size:           2
        .value_kind:     hidden_group_size_z
      - .offset:         74
        .size:           2
        .value_kind:     hidden_remainder_x
      - .offset:         76
        .size:           2
        .value_kind:     hidden_remainder_y
      - .offset:         78
        .size:           2
        .value_kind:     hidden_remainder_z
      - .offset:         96
        .size:           8
        .value_kind:     hidden_global_offset_x
      - .offset:         104
        .size:           8
        .value_kind:     hidden_global_offset_y
      - .offset:         112
        .size:           8
        .value_kind:     hidden_global_offset_z
      - .offset:         120
        .size:           2
        .value_kind:     hidden_grid_dims
      - .offset:         176
        .size:           4
        .value_kind:     hidden_dynamic_lds_size
    .group_segment_fixed_size: 0
    .kernarg_segment_align: 8
    .kernarg_segment_size: 312
    .language:       OpenCL C
    .language_version:
      - 2
      - 0
    .max_flat_workgroup_size: 1024
    .name:           _ZN5aiter20topk_softplus_kernelI6__halffDv2_fLb1ELi2EEEvPKT_PKT0_PfPimiiif
    .private_segment_fixed_size: 0
    .sgpr_count:     25
    .sgpr_spill_count: 0
    .symbol:         _ZN5aiter20topk_softplus_kernelI6__halffDv2_fLb1ELi2EEEvPKT_PKT0_PfPimiiif.kd
    .uniform_work_group_size: 1
    .uses_dynamic_stack: false
    .vgpr_count:     14
    .vgpr_spill_count: 0
    .wavefront_size: 32
    .workgroup_processor_mode: 1
  - .args:
      - .actual_access:  read_only
        .address_space:  global
        .offset:         0
        .size:           8
        .value_kind:     global_buffer
      - .actual_access:  read_only
        .address_space:  global
        .offset:         8
        .size:           8
        .value_kind:     global_buffer
      - .actual_access:  write_only
        .address_space:  global
        .offset:         16
        .size:           8
        .value_kind:     global_buffer
      - .actual_access:  write_only
        .address_space:  global
        .offset:         24
        .size:           8
        .value_kind:     global_buffer
      - .offset:         32
        .size:           8
        .value_kind:     by_value
      - .offset:         40
        .size:           4
        .value_kind:     by_value
      - .offset:         44
        .size:           4
        .value_kind:     by_value
      - .offset:         48
        .size:           4
        .value_kind:     by_value
      - .offset:         52
        .size:           4
        .value_kind:     by_value
      - .offset:         56
        .size:           4
        .value_kind:     hidden_block_count_x
      - .offset:         60
        .size:           4
        .value_kind:     hidden_block_count_y
      - .offset:         64
        .size:           4
        .value_kind:     hidden_block_count_z
      - .offset:         68
        .size:           2
        .value_kind:     hidden_group_size_x
      - .offset:         70
        .size:           2
        .value_kind:     hidden_group_size_y
      - .offset:         72
        .size:           2
        .value_kind:     hidden_group_size_z
      - .offset:         74
        .size:           2
        .value_kind:     hidden_remainder_x
      - .offset:         76
        .size:           2
        .value_kind:     hidden_remainder_y
      - .offset:         78
        .size:           2
        .value_kind:     hidden_remainder_z
      - .offset:         96
        .size:           8
        .value_kind:     hidden_global_offset_x
      - .offset:         104
        .size:           8
        .value_kind:     hidden_global_offset_y
      - .offset:         112
        .size:           8
        .value_kind:     hidden_global_offset_z
      - .offset:         120
        .size:           2
        .value_kind:     hidden_grid_dims
      - .offset:         176
        .size:           4
        .value_kind:     hidden_dynamic_lds_size
    .group_segment_fixed_size: 0
    .kernarg_segment_align: 8
    .kernarg_segment_size: 312
    .language:       OpenCL C
    .language_version:
      - 2
      - 0
    .max_flat_workgroup_size: 1024
    .name:           _ZN5aiter20topk_softplus_kernelI6__halffDv2_fLb0ELi2EEEvPKT_PKT0_PfPimiiif
    .private_segment_fixed_size: 0
    .sgpr_count:     25
    .sgpr_spill_count: 0
    .symbol:         _ZN5aiter20topk_softplus_kernelI6__halffDv2_fLb0ELi2EEEvPKT_PKT0_PfPimiiif.kd
    .uniform_work_group_size: 1
    .uses_dynamic_stack: false
    .vgpr_count:     13
    .vgpr_spill_count: 0
    .wavefront_size: 32
    .workgroup_processor_mode: 1
  - .args:
      - .actual_access:  read_only
        .address_space:  global
        .offset:         0
        .size:           8
        .value_kind:     global_buffer
      - .actual_access:  read_only
        .address_space:  global
        .offset:         8
        .size:           8
        .value_kind:     global_buffer
      - .actual_access:  write_only
        .address_space:  global
        .offset:         16
        .size:           8
        .value_kind:     global_buffer
      - .actual_access:  write_only
        .address_space:  global
        .offset:         24
        .size:           8
        .value_kind:     global_buffer
      - .offset:         32
        .size:           8
        .value_kind:     by_value
      - .offset:         40
        .size:           4
        .value_kind:     by_value
      - .offset:         44
        .size:           4
        .value_kind:     by_value
      - .offset:         48
        .size:           4
        .value_kind:     by_value
      - .offset:         52
        .size:           4
        .value_kind:     by_value
      - .offset:         56
        .size:           4
        .value_kind:     hidden_block_count_x
      - .offset:         60
        .size:           4
        .value_kind:     hidden_block_count_y
      - .offset:         64
        .size:           4
        .value_kind:     hidden_block_count_z
      - .offset:         68
        .size:           2
        .value_kind:     hidden_group_size_x
      - .offset:         70
        .size:           2
        .value_kind:     hidden_group_size_y
      - .offset:         72
        .size:           2
        .value_kind:     hidden_group_size_z
      - .offset:         74
        .size:           2
        .value_kind:     hidden_remainder_x
      - .offset:         76
        .size:           2
        .value_kind:     hidden_remainder_y
      - .offset:         78
        .size:           2
        .value_kind:     hidden_remainder_z
      - .offset:         96
        .size:           8
        .value_kind:     hidden_global_offset_x
      - .offset:         104
        .size:           8
        .value_kind:     hidden_global_offset_y
      - .offset:         112
        .size:           8
        .value_kind:     hidden_global_offset_z
      - .offset:         120
        .size:           2
        .value_kind:     hidden_grid_dims
      - .offset:         176
        .size:           4
        .value_kind:     hidden_dynamic_lds_size
    .group_segment_fixed_size: 0
    .kernarg_segment_align: 8
    .kernarg_segment_size: 312
    .language:       OpenCL C
    .language_version:
      - 2
      - 0
    .max_flat_workgroup_size: 1024
    .name:           _ZN5aiter20topk_softplus_kernelI6__halffDv1_fLb1ELi2EEEvPKT_PKT0_PfPimiiif
    .private_segment_fixed_size: 0
    .sgpr_count:     24
    .sgpr_spill_count: 0
    .symbol:         _ZN5aiter20topk_softplus_kernelI6__halffDv1_fLb1ELi2EEEvPKT_PKT0_PfPimiiif.kd
    .uniform_work_group_size: 1
    .uses_dynamic_stack: false
    .vgpr_count:     11
    .vgpr_spill_count: 0
    .wavefront_size: 32
    .workgroup_processor_mode: 1
  - .args:
      - .actual_access:  read_only
        .address_space:  global
        .offset:         0
        .size:           8
        .value_kind:     global_buffer
      - .actual_access:  read_only
        .address_space:  global
        .offset:         8
        .size:           8
        .value_kind:     global_buffer
      - .actual_access:  write_only
        .address_space:  global
        .offset:         16
        .size:           8
        .value_kind:     global_buffer
      - .actual_access:  write_only
        .address_space:  global
        .offset:         24
        .size:           8
        .value_kind:     global_buffer
      - .offset:         32
        .size:           8
        .value_kind:     by_value
      - .offset:         40
        .size:           4
        .value_kind:     by_value
      - .offset:         44
        .size:           4
        .value_kind:     by_value
      - .offset:         48
        .size:           4
        .value_kind:     by_value
      - .offset:         52
        .size:           4
        .value_kind:     by_value
      - .offset:         56
        .size:           4
        .value_kind:     hidden_block_count_x
      - .offset:         60
        .size:           4
        .value_kind:     hidden_block_count_y
      - .offset:         64
        .size:           4
        .value_kind:     hidden_block_count_z
      - .offset:         68
        .size:           2
        .value_kind:     hidden_group_size_x
      - .offset:         70
        .size:           2
        .value_kind:     hidden_group_size_y
      - .offset:         72
        .size:           2
        .value_kind:     hidden_group_size_z
      - .offset:         74
        .size:           2
        .value_kind:     hidden_remainder_x
      - .offset:         76
        .size:           2
        .value_kind:     hidden_remainder_y
      - .offset:         78
        .size:           2
        .value_kind:     hidden_remainder_z
      - .offset:         96
        .size:           8
        .value_kind:     hidden_global_offset_x
      - .offset:         104
        .size:           8
        .value_kind:     hidden_global_offset_y
      - .offset:         112
        .size:           8
        .value_kind:     hidden_global_offset_z
      - .offset:         120
        .size:           2
        .value_kind:     hidden_grid_dims
      - .offset:         176
        .size:           4
        .value_kind:     hidden_dynamic_lds_size
    .group_segment_fixed_size: 0
    .kernarg_segment_align: 8
    .kernarg_segment_size: 312
    .language:       OpenCL C
    .language_version:
      - 2
      - 0
    .max_flat_workgroup_size: 1024
    .name:           _ZN5aiter20topk_softplus_kernelI6__halffDv1_fLb0ELi2EEEvPKT_PKT0_PfPimiiif
    .private_segment_fixed_size: 0
    .sgpr_count:     24
    .sgpr_spill_count: 0
    .symbol:         _ZN5aiter20topk_softplus_kernelI6__halffDv1_fLb0ELi2EEEvPKT_PKT0_PfPimiiif.kd
    .uniform_work_group_size: 1
    .uses_dynamic_stack: false
    .vgpr_count:     10
    .vgpr_spill_count: 0
    .wavefront_size: 32
    .workgroup_processor_mode: 1
  - .args:
      - .actual_access:  read_only
        .address_space:  global
        .offset:         0
        .size:           8
        .value_kind:     global_buffer
      - .actual_access:  read_only
        .address_space:  global
        .offset:         8
        .size:           8
        .value_kind:     global_buffer
      - .actual_access:  write_only
        .address_space:  global
        .offset:         16
        .size:           8
        .value_kind:     global_buffer
      - .actual_access:  write_only
        .address_space:  global
        .offset:         24
        .size:           8
        .value_kind:     global_buffer
      - .offset:         32
        .size:           8
        .value_kind:     by_value
      - .offset:         40
        .size:           4
        .value_kind:     by_value
      - .offset:         44
        .size:           4
        .value_kind:     by_value
      - .offset:         48
        .size:           4
        .value_kind:     by_value
    .group_segment_fixed_size: 0
    .kernarg_segment_align: 8
    .kernarg_segment_size: 52
    .language:       OpenCL C
    .language_version:
      - 2
      - 0
    .max_flat_workgroup_size: 1024
    .name:           _ZN5aiter24topk_softplus_kernel_optI6__halffLi64ELb1ELi0EEEvPKT_PKT0_PfPimiif
    .private_segment_fixed_size: 0
    .sgpr_count:     18
    .sgpr_spill_count: 0
    .symbol:         _ZN5aiter24topk_softplus_kernel_optI6__halffLi64ELb1ELi0EEEvPKT_PKT0_PfPimiif.kd
    .uniform_work_group_size: 1
    .uses_dynamic_stack: false
    .vgpr_count:     18
    .vgpr_spill_count: 0
    .wavefront_size: 32
    .workgroup_processor_mode: 1
  - .args:
      - .actual_access:  read_only
        .address_space:  global
        .offset:         0
        .size:           8
        .value_kind:     global_buffer
      - .actual_access:  read_only
        .address_space:  global
        .offset:         8
        .size:           8
        .value_kind:     global_buffer
      - .actual_access:  write_only
        .address_space:  global
        .offset:         16
        .size:           8
        .value_kind:     global_buffer
      - .actual_access:  write_only
        .address_space:  global
        .offset:         24
        .size:           8
        .value_kind:     global_buffer
      - .offset:         32
        .size:           8
        .value_kind:     by_value
      - .offset:         40
        .size:           4
        .value_kind:     by_value
      - .offset:         44
        .size:           4
        .value_kind:     by_value
      - .offset:         48
        .size:           4
        .value_kind:     by_value
    .group_segment_fixed_size: 0
    .kernarg_segment_align: 8
    .kernarg_segment_size: 52
    .language:       OpenCL C
    .language_version:
      - 2
      - 0
    .max_flat_workgroup_size: 1024
    .name:           _ZN5aiter24topk_softplus_kernel_optI6__halffLi64ELb0ELi0EEEvPKT_PKT0_PfPimiif
    .private_segment_fixed_size: 0
    .sgpr_count:     18
    .sgpr_spill_count: 0
    .symbol:         _ZN5aiter24topk_softplus_kernel_optI6__halffLi64ELb0ELi0EEEvPKT_PKT0_PfPimiif.kd
    .uniform_work_group_size: 1
    .uses_dynamic_stack: false
    .vgpr_count:     15
    .vgpr_spill_count: 0
    .wavefront_size: 32
    .workgroup_processor_mode: 1
  - .args:
      - .actual_access:  read_only
        .address_space:  global
        .offset:         0
        .size:           8
        .value_kind:     global_buffer
      - .actual_access:  read_only
        .address_space:  global
        .offset:         8
        .size:           8
        .value_kind:     global_buffer
      - .actual_access:  write_only
        .address_space:  global
        .offset:         16
        .size:           8
        .value_kind:     global_buffer
      - .actual_access:  write_only
        .address_space:  global
        .offset:         24
        .size:           8
        .value_kind:     global_buffer
      - .offset:         32
        .size:           8
        .value_kind:     by_value
      - .offset:         40
        .size:           4
        .value_kind:     by_value
      - .offset:         44
        .size:           4
        .value_kind:     by_value
      - .offset:         48
        .size:           4
        .value_kind:     by_value
    .group_segment_fixed_size: 0
    .kernarg_segment_align: 8
    .kernarg_segment_size: 52
    .language:       OpenCL C
    .language_version:
      - 2
      - 0
    .max_flat_workgroup_size: 1024
    .name:           _ZN5aiter24topk_softplus_kernel_optI6__halffLi128ELb1ELi0EEEvPKT_PKT0_PfPimiif
    .private_segment_fixed_size: 0
    .sgpr_count:     18
    .sgpr_spill_count: 0
    .symbol:         _ZN5aiter24topk_softplus_kernel_optI6__halffLi128ELb1ELi0EEEvPKT_PKT0_PfPimiif.kd
    .uniform_work_group_size: 1
    .uses_dynamic_stack: false
    .vgpr_count:     25
    .vgpr_spill_count: 0
    .wavefront_size: 32
    .workgroup_processor_mode: 1
  - .args:
      - .actual_access:  read_only
        .address_space:  global
        .offset:         0
        .size:           8
        .value_kind:     global_buffer
      - .actual_access:  read_only
        .address_space:  global
        .offset:         8
        .size:           8
        .value_kind:     global_buffer
      - .actual_access:  write_only
        .address_space:  global
        .offset:         16
        .size:           8
        .value_kind:     global_buffer
      - .actual_access:  write_only
        .address_space:  global
        .offset:         24
        .size:           8
        .value_kind:     global_buffer
      - .offset:         32
        .size:           8
        .value_kind:     by_value
      - .offset:         40
        .size:           4
        .value_kind:     by_value
      - .offset:         44
        .size:           4
        .value_kind:     by_value
      - .offset:         48
        .size:           4
        .value_kind:     by_value
    .group_segment_fixed_size: 0
    .kernarg_segment_align: 8
    .kernarg_segment_size: 52
    .language:       OpenCL C
    .language_version:
      - 2
      - 0
    .max_flat_workgroup_size: 1024
    .name:           _ZN5aiter24topk_softplus_kernel_optI6__halffLi128ELb0ELi0EEEvPKT_PKT0_PfPimiif
    .private_segment_fixed_size: 0
    .sgpr_count:     18
    .sgpr_spill_count: 0
    .symbol:         _ZN5aiter24topk_softplus_kernel_optI6__halffLi128ELb0ELi0EEEvPKT_PKT0_PfPimiif.kd
    .uniform_work_group_size: 1
    .uses_dynamic_stack: false
    .vgpr_count:     23
    .vgpr_spill_count: 0
    .wavefront_size: 32
    .workgroup_processor_mode: 1
  - .args:
      - .actual_access:  read_only
        .address_space:  global
        .offset:         0
        .size:           8
        .value_kind:     global_buffer
      - .actual_access:  read_only
        .address_space:  global
        .offset:         8
        .size:           8
        .value_kind:     global_buffer
      - .actual_access:  write_only
        .address_space:  global
        .offset:         16
        .size:           8
        .value_kind:     global_buffer
      - .actual_access:  write_only
        .address_space:  global
        .offset:         24
        .size:           8
        .value_kind:     global_buffer
      - .offset:         32
        .size:           8
        .value_kind:     by_value
      - .offset:         40
        .size:           4
        .value_kind:     by_value
      - .offset:         44
        .size:           4
        .value_kind:     by_value
      - .offset:         48
        .size:           4
        .value_kind:     by_value
    .group_segment_fixed_size: 0
    .kernarg_segment_align: 8
    .kernarg_segment_size: 52
    .language:       OpenCL C
    .language_version:
      - 2
      - 0
    .max_flat_workgroup_size: 1024
    .name:           _ZN5aiter24topk_softplus_kernel_optI6__halffLi256ELb1ELi0EEEvPKT_PKT0_PfPimiif
    .private_segment_fixed_size: 0
    .sgpr_count:     18
    .sgpr_spill_count: 0
    .symbol:         _ZN5aiter24topk_softplus_kernel_optI6__halffLi256ELb1ELi0EEEvPKT_PKT0_PfPimiif.kd
    .uniform_work_group_size: 1
    .uses_dynamic_stack: false
    .vgpr_count:     97
    .vgpr_spill_count: 0
    .wavefront_size: 32
    .workgroup_processor_mode: 1
  - .args:
      - .actual_access:  read_only
        .address_space:  global
        .offset:         0
        .size:           8
        .value_kind:     global_buffer
      - .actual_access:  read_only
        .address_space:  global
        .offset:         8
        .size:           8
        .value_kind:     global_buffer
      - .actual_access:  write_only
        .address_space:  global
        .offset:         16
        .size:           8
        .value_kind:     global_buffer
      - .actual_access:  write_only
        .address_space:  global
        .offset:         24
        .size:           8
        .value_kind:     global_buffer
      - .offset:         32
        .size:           8
        .value_kind:     by_value
      - .offset:         40
        .size:           4
        .value_kind:     by_value
      - .offset:         44
        .size:           4
        .value_kind:     by_value
      - .offset:         48
        .size:           4
        .value_kind:     by_value
    .group_segment_fixed_size: 0
    .kernarg_segment_align: 8
    .kernarg_segment_size: 52
    .language:       OpenCL C
    .language_version:
      - 2
      - 0
    .max_flat_workgroup_size: 1024
    .name:           _ZN5aiter24topk_softplus_kernel_optI6__halffLi256ELb0ELi0EEEvPKT_PKT0_PfPimiif
    .private_segment_fixed_size: 0
    .sgpr_count:     18
    .sgpr_spill_count: 0
    .symbol:         _ZN5aiter24topk_softplus_kernel_optI6__halffLi256ELb0ELi0EEEvPKT_PKT0_PfPimiif.kd
    .uniform_work_group_size: 1
    .uses_dynamic_stack: false
    .vgpr_count:     97
    .vgpr_spill_count: 0
    .wavefront_size: 32
    .workgroup_processor_mode: 1
  - .args:
      - .actual_access:  read_only
        .address_space:  global
        .offset:         0
        .size:           8
        .value_kind:     global_buffer
      - .actual_access:  read_only
        .address_space:  global
        .offset:         8
        .size:           8
        .value_kind:     global_buffer
      - .actual_access:  write_only
        .address_space:  global
        .offset:         16
        .size:           8
        .value_kind:     global_buffer
      - .actual_access:  write_only
        .address_space:  global
        .offset:         24
        .size:           8
        .value_kind:     global_buffer
      - .offset:         32
        .size:           8
        .value_kind:     by_value
      - .offset:         40
        .size:           4
        .value_kind:     by_value
      - .offset:         44
        .size:           4
        .value_kind:     by_value
      - .offset:         48
        .size:           4
        .value_kind:     by_value
    .group_segment_fixed_size: 0
    .kernarg_segment_align: 8
    .kernarg_segment_size: 52
    .language:       OpenCL C
    .language_version:
      - 2
      - 0
    .max_flat_workgroup_size: 1024
    .name:           _ZN5aiter24topk_softplus_kernel_optI6__halffLi384ELb1ELi0EEEvPKT_PKT0_PfPimiif
    .private_segment_fixed_size: 196
    .sgpr_count:     18
    .sgpr_spill_count: 0
    .symbol:         _ZN5aiter24topk_softplus_kernel_optI6__halffLi384ELb1ELi0EEEvPKT_PKT0_PfPimiif.kd
    .uniform_work_group_size: 1
    .uses_dynamic_stack: false
    .vgpr_count:     184
    .vgpr_spill_count: 300
    .wavefront_size: 32
    .workgroup_processor_mode: 1
  - .args:
      - .actual_access:  read_only
        .address_space:  global
        .offset:         0
        .size:           8
        .value_kind:     global_buffer
      - .actual_access:  read_only
        .address_space:  global
        .offset:         8
        .size:           8
        .value_kind:     global_buffer
      - .actual_access:  write_only
        .address_space:  global
        .offset:         16
        .size:           8
        .value_kind:     global_buffer
      - .actual_access:  write_only
        .address_space:  global
        .offset:         24
        .size:           8
        .value_kind:     global_buffer
      - .offset:         32
        .size:           8
        .value_kind:     by_value
      - .offset:         40
        .size:           4
        .value_kind:     by_value
      - .offset:         44
        .size:           4
        .value_kind:     by_value
      - .offset:         48
        .size:           4
        .value_kind:     by_value
    .group_segment_fixed_size: 0
    .kernarg_segment_align: 8
    .kernarg_segment_size: 52
    .language:       OpenCL C
    .language_version:
      - 2
      - 0
    .max_flat_workgroup_size: 1024
    .name:           _ZN5aiter24topk_softplus_kernel_optI6__halffLi384ELb0ELi0EEEvPKT_PKT0_PfPimiif
    .private_segment_fixed_size: 196
    .sgpr_count:     18
    .sgpr_spill_count: 0
    .symbol:         _ZN5aiter24topk_softplus_kernel_optI6__halffLi384ELb0ELi0EEEvPKT_PKT0_PfPimiif.kd
    .uniform_work_group_size: 1
    .uses_dynamic_stack: false
    .vgpr_count:     184
    .vgpr_spill_count: 300
    .wavefront_size: 32
    .workgroup_processor_mode: 1
  - .args:
      - .actual_access:  read_only
        .address_space:  global
        .offset:         0
        .size:           8
        .value_kind:     global_buffer
      - .actual_access:  read_only
        .address_space:  global
        .offset:         8
        .size:           8
        .value_kind:     global_buffer
      - .actual_access:  write_only
        .address_space:  global
        .offset:         16
        .size:           8
        .value_kind:     global_buffer
      - .actual_access:  write_only
        .address_space:  global
        .offset:         24
        .size:           8
        .value_kind:     global_buffer
      - .offset:         32
        .size:           8
        .value_kind:     by_value
      - .offset:         40
        .size:           4
        .value_kind:     by_value
      - .offset:         44
        .size:           4
        .value_kind:     by_value
      - .offset:         48
        .size:           4
        .value_kind:     by_value
      - .offset:         52
        .size:           4
        .value_kind:     by_value
      - .offset:         56
        .size:           4
        .value_kind:     hidden_block_count_x
      - .offset:         60
        .size:           4
        .value_kind:     hidden_block_count_y
      - .offset:         64
        .size:           4
        .value_kind:     hidden_block_count_z
      - .offset:         68
        .size:           2
        .value_kind:     hidden_group_size_x
      - .offset:         70
        .size:           2
        .value_kind:     hidden_group_size_y
      - .offset:         72
        .size:           2
        .value_kind:     hidden_group_size_z
      - .offset:         74
        .size:           2
        .value_kind:     hidden_remainder_x
      - .offset:         76
        .size:           2
        .value_kind:     hidden_remainder_y
      - .offset:         78
        .size:           2
        .value_kind:     hidden_remainder_z
      - .offset:         96
        .size:           8
        .value_kind:     hidden_global_offset_x
      - .offset:         104
        .size:           8
        .value_kind:     hidden_global_offset_y
      - .offset:         112
        .size:           8
        .value_kind:     hidden_global_offset_z
      - .offset:         120
        .size:           2
        .value_kind:     hidden_grid_dims
      - .offset:         176
        .size:           4
        .value_kind:     hidden_dynamic_lds_size
    .group_segment_fixed_size: 0
    .kernarg_segment_align: 8
    .kernarg_segment_size: 312
    .language:       OpenCL C
    .language_version:
      - 2
      - 0
    .max_flat_workgroup_size: 1024
    .name:           _ZN5aiter20topk_softplus_kernelI6__halffDv4_fLb1ELi0EEEvPKT_PKT0_PfPimiiif
    .private_segment_fixed_size: 0
    .sgpr_count:     34
    .sgpr_spill_count: 0
    .symbol:         _ZN5aiter20topk_softplus_kernelI6__halffDv4_fLb1ELi0EEEvPKT_PKT0_PfPimiiif.kd
    .uniform_work_group_size: 1
    .uses_dynamic_stack: false
    .vgpr_count:     20
    .vgpr_spill_count: 0
    .wavefront_size: 32
    .workgroup_processor_mode: 1
  - .args:
      - .actual_access:  read_only
        .address_space:  global
        .offset:         0
        .size:           8
        .value_kind:     global_buffer
      - .actual_access:  read_only
        .address_space:  global
        .offset:         8
        .size:           8
        .value_kind:     global_buffer
      - .actual_access:  write_only
        .address_space:  global
        .offset:         16
        .size:           8
        .value_kind:     global_buffer
      - .actual_access:  write_only
        .address_space:  global
        .offset:         24
        .size:           8
        .value_kind:     global_buffer
      - .offset:         32
        .size:           8
        .value_kind:     by_value
      - .offset:         40
        .size:           4
        .value_kind:     by_value
      - .offset:         44
        .size:           4
        .value_kind:     by_value
      - .offset:         48
        .size:           4
        .value_kind:     by_value
      - .offset:         52
        .size:           4
        .value_kind:     by_value
      - .offset:         56
        .size:           4
        .value_kind:     hidden_block_count_x
      - .offset:         60
        .size:           4
        .value_kind:     hidden_block_count_y
      - .offset:         64
        .size:           4
        .value_kind:     hidden_block_count_z
      - .offset:         68
        .size:           2
        .value_kind:     hidden_group_size_x
      - .offset:         70
        .size:           2
        .value_kind:     hidden_group_size_y
      - .offset:         72
        .size:           2
        .value_kind:     hidden_group_size_z
      - .offset:         74
        .size:           2
        .value_kind:     hidden_remainder_x
      - .offset:         76
        .size:           2
        .value_kind:     hidden_remainder_y
      - .offset:         78
        .size:           2
        .value_kind:     hidden_remainder_z
      - .offset:         96
        .size:           8
        .value_kind:     hidden_global_offset_x
      - .offset:         104
        .size:           8
        .value_kind:     hidden_global_offset_y
      - .offset:         112
        .size:           8
        .value_kind:     hidden_global_offset_z
      - .offset:         120
        .size:           2
        .value_kind:     hidden_grid_dims
      - .offset:         176
        .size:           4
        .value_kind:     hidden_dynamic_lds_size
    .group_segment_fixed_size: 0
    .kernarg_segment_align: 8
    .kernarg_segment_size: 312
    .language:       OpenCL C
    .language_version:
      - 2
      - 0
    .max_flat_workgroup_size: 1024
    .name:           _ZN5aiter20topk_softplus_kernelI6__halffDv4_fLb0ELi0EEEvPKT_PKT0_PfPimiiif
    .private_segment_fixed_size: 0
    .sgpr_count:     34
    .sgpr_spill_count: 0
    .symbol:         _ZN5aiter20topk_softplus_kernelI6__halffDv4_fLb0ELi0EEEvPKT_PKT0_PfPimiiif.kd
    .uniform_work_group_size: 1
    .uses_dynamic_stack: false
    .vgpr_count:     20
    .vgpr_spill_count: 0
    .wavefront_size: 32
    .workgroup_processor_mode: 1
  - .args:
      - .actual_access:  read_only
        .address_space:  global
        .offset:         0
        .size:           8
        .value_kind:     global_buffer
      - .actual_access:  read_only
        .address_space:  global
        .offset:         8
        .size:           8
        .value_kind:     global_buffer
      - .actual_access:  write_only
        .address_space:  global
        .offset:         16
        .size:           8
        .value_kind:     global_buffer
      - .actual_access:  write_only
        .address_space:  global
        .offset:         24
        .size:           8
        .value_kind:     global_buffer
      - .offset:         32
        .size:           8
        .value_kind:     by_value
      - .offset:         40
        .size:           4
        .value_kind:     by_value
      - .offset:         44
        .size:           4
        .value_kind:     by_value
      - .offset:         48
        .size:           4
        .value_kind:     by_value
      - .offset:         52
        .size:           4
        .value_kind:     by_value
      - .offset:         56
        .size:           4
        .value_kind:     hidden_block_count_x
      - .offset:         60
        .size:           4
        .value_kind:     hidden_block_count_y
      - .offset:         64
        .size:           4
        .value_kind:     hidden_block_count_z
      - .offset:         68
        .size:           2
        .value_kind:     hidden_group_size_x
      - .offset:         70
        .size:           2
        .value_kind:     hidden_group_size_y
      - .offset:         72
        .size:           2
        .value_kind:     hidden_group_size_z
      - .offset:         74
        .size:           2
        .value_kind:     hidden_remainder_x
      - .offset:         76
        .size:           2
        .value_kind:     hidden_remainder_y
      - .offset:         78
        .size:           2
        .value_kind:     hidden_remainder_z
      - .offset:         96
        .size:           8
        .value_kind:     hidden_global_offset_x
      - .offset:         104
        .size:           8
        .value_kind:     hidden_global_offset_y
      - .offset:         112
        .size:           8
        .value_kind:     hidden_global_offset_z
      - .offset:         120
        .size:           2
        .value_kind:     hidden_grid_dims
      - .offset:         176
        .size:           4
        .value_kind:     hidden_dynamic_lds_size
    .group_segment_fixed_size: 0
    .kernarg_segment_align: 8
    .kernarg_segment_size: 312
    .language:       OpenCL C
    .language_version:
      - 2
      - 0
    .max_flat_workgroup_size: 1024
    .name:           _ZN5aiter20topk_softplus_kernelI6__halffDv2_fLb1ELi0EEEvPKT_PKT0_PfPimiiif
    .private_segment_fixed_size: 0
    .sgpr_count:     27
    .sgpr_spill_count: 0
    .symbol:         _ZN5aiter20topk_softplus_kernelI6__halffDv2_fLb1ELi0EEEvPKT_PKT0_PfPimiiif.kd
    .uniform_work_group_size: 1
    .uses_dynamic_stack: false
    .vgpr_count:     14
    .vgpr_spill_count: 0
    .wavefront_size: 32
    .workgroup_processor_mode: 1
  - .args:
      - .actual_access:  read_only
        .address_space:  global
        .offset:         0
        .size:           8
        .value_kind:     global_buffer
      - .actual_access:  read_only
        .address_space:  global
        .offset:         8
        .size:           8
        .value_kind:     global_buffer
      - .actual_access:  write_only
        .address_space:  global
        .offset:         16
        .size:           8
        .value_kind:     global_buffer
      - .actual_access:  write_only
        .address_space:  global
        .offset:         24
        .size:           8
        .value_kind:     global_buffer
      - .offset:         32
        .size:           8
        .value_kind:     by_value
      - .offset:         40
        .size:           4
        .value_kind:     by_value
      - .offset:         44
        .size:           4
        .value_kind:     by_value
      - .offset:         48
        .size:           4
        .value_kind:     by_value
      - .offset:         52
        .size:           4
        .value_kind:     by_value
      - .offset:         56
        .size:           4
        .value_kind:     hidden_block_count_x
      - .offset:         60
        .size:           4
        .value_kind:     hidden_block_count_y
      - .offset:         64
        .size:           4
        .value_kind:     hidden_block_count_z
      - .offset:         68
        .size:           2
        .value_kind:     hidden_group_size_x
      - .offset:         70
        .size:           2
        .value_kind:     hidden_group_size_y
      - .offset:         72
        .size:           2
        .value_kind:     hidden_group_size_z
      - .offset:         74
        .size:           2
        .value_kind:     hidden_remainder_x
      - .offset:         76
        .size:           2
        .value_kind:     hidden_remainder_y
      - .offset:         78
        .size:           2
        .value_kind:     hidden_remainder_z
      - .offset:         96
        .size:           8
        .value_kind:     hidden_global_offset_x
      - .offset:         104
        .size:           8
        .value_kind:     hidden_global_offset_y
      - .offset:         112
        .size:           8
        .value_kind:     hidden_global_offset_z
      - .offset:         120
        .size:           2
        .value_kind:     hidden_grid_dims
      - .offset:         176
        .size:           4
        .value_kind:     hidden_dynamic_lds_size
    .group_segment_fixed_size: 0
    .kernarg_segment_align: 8
    .kernarg_segment_size: 312
    .language:       OpenCL C
    .language_version:
      - 2
      - 0
    .max_flat_workgroup_size: 1024
    .name:           _ZN5aiter20topk_softplus_kernelI6__halffDv2_fLb0ELi0EEEvPKT_PKT0_PfPimiiif
    .private_segment_fixed_size: 0
    .sgpr_count:     27
    .sgpr_spill_count: 0
    .symbol:         _ZN5aiter20topk_softplus_kernelI6__halffDv2_fLb0ELi0EEEvPKT_PKT0_PfPimiiif.kd
    .uniform_work_group_size: 1
    .uses_dynamic_stack: false
    .vgpr_count:     14
    .vgpr_spill_count: 0
    .wavefront_size: 32
    .workgroup_processor_mode: 1
  - .args:
      - .actual_access:  read_only
        .address_space:  global
        .offset:         0
        .size:           8
        .value_kind:     global_buffer
      - .actual_access:  read_only
        .address_space:  global
        .offset:         8
        .size:           8
        .value_kind:     global_buffer
      - .actual_access:  write_only
        .address_space:  global
        .offset:         16
        .size:           8
        .value_kind:     global_buffer
      - .actual_access:  write_only
        .address_space:  global
        .offset:         24
        .size:           8
        .value_kind:     global_buffer
      - .offset:         32
        .size:           8
        .value_kind:     by_value
      - .offset:         40
        .size:           4
        .value_kind:     by_value
      - .offset:         44
        .size:           4
        .value_kind:     by_value
      - .offset:         48
        .size:           4
        .value_kind:     by_value
      - .offset:         52
        .size:           4
        .value_kind:     by_value
      - .offset:         56
        .size:           4
        .value_kind:     hidden_block_count_x
      - .offset:         60
        .size:           4
        .value_kind:     hidden_block_count_y
      - .offset:         64
        .size:           4
        .value_kind:     hidden_block_count_z
      - .offset:         68
        .size:           2
        .value_kind:     hidden_group_size_x
      - .offset:         70
        .size:           2
        .value_kind:     hidden_group_size_y
      - .offset:         72
        .size:           2
        .value_kind:     hidden_group_size_z
      - .offset:         74
        .size:           2
        .value_kind:     hidden_remainder_x
      - .offset:         76
        .size:           2
        .value_kind:     hidden_remainder_y
      - .offset:         78
        .size:           2
        .value_kind:     hidden_remainder_z
      - .offset:         96
        .size:           8
        .value_kind:     hidden_global_offset_x
      - .offset:         104
        .size:           8
        .value_kind:     hidden_global_offset_y
      - .offset:         112
        .size:           8
        .value_kind:     hidden_global_offset_z
      - .offset:         120
        .size:           2
        .value_kind:     hidden_grid_dims
      - .offset:         176
        .size:           4
        .value_kind:     hidden_dynamic_lds_size
    .group_segment_fixed_size: 0
    .kernarg_segment_align: 8
    .kernarg_segment_size: 312
    .language:       OpenCL C
    .language_version:
      - 2
      - 0
    .max_flat_workgroup_size: 1024
    .name:           _ZN5aiter20topk_softplus_kernelI6__halffDv1_fLb1ELi0EEEvPKT_PKT0_PfPimiiif
    .private_segment_fixed_size: 0
    .sgpr_count:     24
    .sgpr_spill_count: 0
    .symbol:         _ZN5aiter20topk_softplus_kernelI6__halffDv1_fLb1ELi0EEEvPKT_PKT0_PfPimiiif.kd
    .uniform_work_group_size: 1
    .uses_dynamic_stack: false
    .vgpr_count:     11
    .vgpr_spill_count: 0
    .wavefront_size: 32
    .workgroup_processor_mode: 1
  - .args:
      - .actual_access:  read_only
        .address_space:  global
        .offset:         0
        .size:           8
        .value_kind:     global_buffer
      - .actual_access:  read_only
        .address_space:  global
        .offset:         8
        .size:           8
        .value_kind:     global_buffer
      - .actual_access:  write_only
        .address_space:  global
        .offset:         16
        .size:           8
        .value_kind:     global_buffer
      - .actual_access:  write_only
        .address_space:  global
        .offset:         24
        .size:           8
        .value_kind:     global_buffer
      - .offset:         32
        .size:           8
        .value_kind:     by_value
      - .offset:         40
        .size:           4
        .value_kind:     by_value
      - .offset:         44
        .size:           4
        .value_kind:     by_value
      - .offset:         48
        .size:           4
        .value_kind:     by_value
      - .offset:         52
        .size:           4
        .value_kind:     by_value
      - .offset:         56
        .size:           4
        .value_kind:     hidden_block_count_x
      - .offset:         60
        .size:           4
        .value_kind:     hidden_block_count_y
      - .offset:         64
        .size:           4
        .value_kind:     hidden_block_count_z
      - .offset:         68
        .size:           2
        .value_kind:     hidden_group_size_x
      - .offset:         70
        .size:           2
        .value_kind:     hidden_group_size_y
      - .offset:         72
        .size:           2
        .value_kind:     hidden_group_size_z
      - .offset:         74
        .size:           2
        .value_kind:     hidden_remainder_x
      - .offset:         76
        .size:           2
        .value_kind:     hidden_remainder_y
      - .offset:         78
        .size:           2
        .value_kind:     hidden_remainder_z
      - .offset:         96
        .size:           8
        .value_kind:     hidden_global_offset_x
      - .offset:         104
        .size:           8
        .value_kind:     hidden_global_offset_y
      - .offset:         112
        .size:           8
        .value_kind:     hidden_global_offset_z
      - .offset:         120
        .size:           2
        .value_kind:     hidden_grid_dims
      - .offset:         176
        .size:           4
        .value_kind:     hidden_dynamic_lds_size
    .group_segment_fixed_size: 0
    .kernarg_segment_align: 8
    .kernarg_segment_size: 312
    .language:       OpenCL C
    .language_version:
      - 2
      - 0
    .max_flat_workgroup_size: 1024
    .name:           _ZN5aiter20topk_softplus_kernelI6__halffDv1_fLb0ELi0EEEvPKT_PKT0_PfPimiiif
    .private_segment_fixed_size: 0
    .sgpr_count:     24
    .sgpr_spill_count: 0
    .symbol:         _ZN5aiter20topk_softplus_kernelI6__halffDv1_fLb0ELi0EEEvPKT_PKT0_PfPimiiif.kd
    .uniform_work_group_size: 1
    .uses_dynamic_stack: false
    .vgpr_count:     11
    .vgpr_spill_count: 0
    .wavefront_size: 32
    .workgroup_processor_mode: 1
  - .args:
      - .actual_access:  read_only
        .address_space:  global
        .offset:         0
        .size:           8
        .value_kind:     global_buffer
      - .actual_access:  read_only
        .address_space:  global
        .offset:         8
        .size:           8
        .value_kind:     global_buffer
      - .actual_access:  write_only
        .address_space:  global
        .offset:         16
        .size:           8
        .value_kind:     global_buffer
      - .actual_access:  write_only
        .address_space:  global
        .offset:         24
        .size:           8
        .value_kind:     global_buffer
      - .offset:         32
        .size:           8
        .value_kind:     by_value
      - .offset:         40
        .size:           4
        .value_kind:     by_value
      - .offset:         44
        .size:           4
        .value_kind:     by_value
      - .offset:         48
        .size:           4
        .value_kind:     by_value
    .group_segment_fixed_size: 0
    .kernarg_segment_align: 8
    .kernarg_segment_size: 52
    .language:       OpenCL C
    .language_version:
      - 2
      - 0
    .max_flat_workgroup_size: 1024
    .name:           _ZN5aiter24topk_softplus_kernel_optI6__halfS1_Li64ELb1ELi1EEEvPKT_PKT0_PfPimiif
    .private_segment_fixed_size: 0
    .sgpr_count:     18
    .sgpr_spill_count: 0
    .symbol:         _ZN5aiter24topk_softplus_kernel_optI6__halfS1_Li64ELb1ELi1EEEvPKT_PKT0_PfPimiif.kd
    .uniform_work_group_size: 1
    .uses_dynamic_stack: false
    .vgpr_count:     17
    .vgpr_spill_count: 0
    .wavefront_size: 32
    .workgroup_processor_mode: 1
  - .args:
      - .actual_access:  read_only
        .address_space:  global
        .offset:         0
        .size:           8
        .value_kind:     global_buffer
      - .actual_access:  read_only
        .address_space:  global
        .offset:         8
        .size:           8
        .value_kind:     global_buffer
      - .actual_access:  write_only
        .address_space:  global
        .offset:         16
        .size:           8
        .value_kind:     global_buffer
      - .actual_access:  write_only
        .address_space:  global
        .offset:         24
        .size:           8
        .value_kind:     global_buffer
      - .offset:         32
        .size:           8
        .value_kind:     by_value
      - .offset:         40
        .size:           4
        .value_kind:     by_value
      - .offset:         44
        .size:           4
        .value_kind:     by_value
      - .offset:         48
        .size:           4
        .value_kind:     by_value
    .group_segment_fixed_size: 0
    .kernarg_segment_align: 8
    .kernarg_segment_size: 52
    .language:       OpenCL C
    .language_version:
      - 2
      - 0
    .max_flat_workgroup_size: 1024
    .name:           _ZN5aiter24topk_softplus_kernel_optI6__halfS1_Li64ELb0ELi1EEEvPKT_PKT0_PfPimiif
    .private_segment_fixed_size: 0
    .sgpr_count:     18
    .sgpr_spill_count: 0
    .symbol:         _ZN5aiter24topk_softplus_kernel_optI6__halfS1_Li64ELb0ELi1EEEvPKT_PKT0_PfPimiif.kd
    .uniform_work_group_size: 1
    .uses_dynamic_stack: false
    .vgpr_count:     14
    .vgpr_spill_count: 0
    .wavefront_size: 32
    .workgroup_processor_mode: 1
  - .args:
      - .actual_access:  read_only
        .address_space:  global
        .offset:         0
        .size:           8
        .value_kind:     global_buffer
      - .actual_access:  read_only
        .address_space:  global
        .offset:         8
        .size:           8
        .value_kind:     global_buffer
      - .actual_access:  write_only
        .address_space:  global
        .offset:         16
        .size:           8
        .value_kind:     global_buffer
      - .actual_access:  write_only
        .address_space:  global
        .offset:         24
        .size:           8
        .value_kind:     global_buffer
      - .offset:         32
        .size:           8
        .value_kind:     by_value
      - .offset:         40
        .size:           4
        .value_kind:     by_value
      - .offset:         44
        .size:           4
        .value_kind:     by_value
      - .offset:         48
        .size:           4
        .value_kind:     by_value
    .group_segment_fixed_size: 0
    .kernarg_segment_align: 8
    .kernarg_segment_size: 52
    .language:       OpenCL C
    .language_version:
      - 2
      - 0
    .max_flat_workgroup_size: 1024
    .name:           _ZN5aiter24topk_softplus_kernel_optI6__halfS1_Li128ELb1ELi1EEEvPKT_PKT0_PfPimiif
    .private_segment_fixed_size: 0
    .sgpr_count:     18
    .sgpr_spill_count: 0
    .symbol:         _ZN5aiter24topk_softplus_kernel_optI6__halfS1_Li128ELb1ELi1EEEvPKT_PKT0_PfPimiif.kd
    .uniform_work_group_size: 1
    .uses_dynamic_stack: false
    .vgpr_count:     24
    .vgpr_spill_count: 0
    .wavefront_size: 32
    .workgroup_processor_mode: 1
  - .args:
      - .actual_access:  read_only
        .address_space:  global
        .offset:         0
        .size:           8
        .value_kind:     global_buffer
      - .actual_access:  read_only
        .address_space:  global
        .offset:         8
        .size:           8
        .value_kind:     global_buffer
      - .actual_access:  write_only
        .address_space:  global
        .offset:         16
        .size:           8
        .value_kind:     global_buffer
      - .actual_access:  write_only
        .address_space:  global
        .offset:         24
        .size:           8
        .value_kind:     global_buffer
      - .offset:         32
        .size:           8
        .value_kind:     by_value
      - .offset:         40
        .size:           4
        .value_kind:     by_value
      - .offset:         44
        .size:           4
        .value_kind:     by_value
      - .offset:         48
        .size:           4
        .value_kind:     by_value
    .group_segment_fixed_size: 0
    .kernarg_segment_align: 8
    .kernarg_segment_size: 52
    .language:       OpenCL C
    .language_version:
      - 2
      - 0
    .max_flat_workgroup_size: 1024
    .name:           _ZN5aiter24topk_softplus_kernel_optI6__halfS1_Li128ELb0ELi1EEEvPKT_PKT0_PfPimiif
    .private_segment_fixed_size: 0
    .sgpr_count:     18
    .sgpr_spill_count: 0
    .symbol:         _ZN5aiter24topk_softplus_kernel_optI6__halfS1_Li128ELb0ELi1EEEvPKT_PKT0_PfPimiif.kd
    .uniform_work_group_size: 1
    .uses_dynamic_stack: false
    .vgpr_count:     22
    .vgpr_spill_count: 0
    .wavefront_size: 32
    .workgroup_processor_mode: 1
  - .args:
      - .actual_access:  read_only
        .address_space:  global
        .offset:         0
        .size:           8
        .value_kind:     global_buffer
      - .actual_access:  read_only
        .address_space:  global
        .offset:         8
        .size:           8
        .value_kind:     global_buffer
      - .actual_access:  write_only
        .address_space:  global
        .offset:         16
        .size:           8
        .value_kind:     global_buffer
      - .actual_access:  write_only
        .address_space:  global
        .offset:         24
        .size:           8
        .value_kind:     global_buffer
      - .offset:         32
        .size:           8
        .value_kind:     by_value
      - .offset:         40
        .size:           4
        .value_kind:     by_value
      - .offset:         44
        .size:           4
        .value_kind:     by_value
      - .offset:         48
        .size:           4
        .value_kind:     by_value
    .group_segment_fixed_size: 0
    .kernarg_segment_align: 8
    .kernarg_segment_size: 52
    .language:       OpenCL C
    .language_version:
      - 2
      - 0
    .max_flat_workgroup_size: 1024
    .name:           _ZN5aiter24topk_softplus_kernel_optI6__halfS1_Li256ELb1ELi1EEEvPKT_PKT0_PfPimiif
    .private_segment_fixed_size: 0
    .sgpr_count:     18
    .sgpr_spill_count: 0
    .symbol:         _ZN5aiter24topk_softplus_kernel_optI6__halfS1_Li256ELb1ELi1EEEvPKT_PKT0_PfPimiif.kd
    .uniform_work_group_size: 1
    .uses_dynamic_stack: false
    .vgpr_count:     103
    .vgpr_spill_count: 0
    .wavefront_size: 32
    .workgroup_processor_mode: 1
  - .args:
      - .actual_access:  read_only
        .address_space:  global
        .offset:         0
        .size:           8
        .value_kind:     global_buffer
      - .actual_access:  read_only
        .address_space:  global
        .offset:         8
        .size:           8
        .value_kind:     global_buffer
      - .actual_access:  write_only
        .address_space:  global
        .offset:         16
        .size:           8
        .value_kind:     global_buffer
      - .actual_access:  write_only
        .address_space:  global
        .offset:         24
        .size:           8
        .value_kind:     global_buffer
      - .offset:         32
        .size:           8
        .value_kind:     by_value
      - .offset:         40
        .size:           4
        .value_kind:     by_value
      - .offset:         44
        .size:           4
        .value_kind:     by_value
      - .offset:         48
        .size:           4
        .value_kind:     by_value
    .group_segment_fixed_size: 0
    .kernarg_segment_align: 8
    .kernarg_segment_size: 52
    .language:       OpenCL C
    .language_version:
      - 2
      - 0
    .max_flat_workgroup_size: 1024
    .name:           _ZN5aiter24topk_softplus_kernel_optI6__halfS1_Li256ELb0ELi1EEEvPKT_PKT0_PfPimiif
    .private_segment_fixed_size: 0
    .sgpr_count:     18
    .sgpr_spill_count: 0
    .symbol:         _ZN5aiter24topk_softplus_kernel_optI6__halfS1_Li256ELb0ELi1EEEvPKT_PKT0_PfPimiif.kd
    .uniform_work_group_size: 1
    .uses_dynamic_stack: false
    .vgpr_count:     103
    .vgpr_spill_count: 0
    .wavefront_size: 32
    .workgroup_processor_mode: 1
  - .args:
      - .actual_access:  read_only
        .address_space:  global
        .offset:         0
        .size:           8
        .value_kind:     global_buffer
      - .actual_access:  read_only
        .address_space:  global
        .offset:         8
        .size:           8
        .value_kind:     global_buffer
      - .actual_access:  write_only
        .address_space:  global
        .offset:         16
        .size:           8
        .value_kind:     global_buffer
      - .actual_access:  write_only
        .address_space:  global
        .offset:         24
        .size:           8
        .value_kind:     global_buffer
      - .offset:         32
        .size:           8
        .value_kind:     by_value
      - .offset:         40
        .size:           4
        .value_kind:     by_value
      - .offset:         44
        .size:           4
        .value_kind:     by_value
      - .offset:         48
        .size:           4
        .value_kind:     by_value
    .group_segment_fixed_size: 0
    .kernarg_segment_align: 8
    .kernarg_segment_size: 52
    .language:       OpenCL C
    .language_version:
      - 2
      - 0
    .max_flat_workgroup_size: 1024
    .name:           _ZN5aiter24topk_softplus_kernel_optI6__halfS1_Li384ELb1ELi1EEEvPKT_PKT0_PfPimiif
    .private_segment_fixed_size: 196
    .sgpr_count:     18
    .sgpr_spill_count: 0
    .symbol:         _ZN5aiter24topk_softplus_kernel_optI6__halfS1_Li384ELb1ELi1EEEvPKT_PKT0_PfPimiif.kd
    .uniform_work_group_size: 1
    .uses_dynamic_stack: false
    .vgpr_count:     183
    .vgpr_spill_count: 300
    .wavefront_size: 32
    .workgroup_processor_mode: 1
  - .args:
      - .actual_access:  read_only
        .address_space:  global
        .offset:         0
        .size:           8
        .value_kind:     global_buffer
      - .actual_access:  read_only
        .address_space:  global
        .offset:         8
        .size:           8
        .value_kind:     global_buffer
      - .actual_access:  write_only
        .address_space:  global
        .offset:         16
        .size:           8
        .value_kind:     global_buffer
      - .actual_access:  write_only
        .address_space:  global
        .offset:         24
        .size:           8
        .value_kind:     global_buffer
      - .offset:         32
        .size:           8
        .value_kind:     by_value
      - .offset:         40
        .size:           4
        .value_kind:     by_value
      - .offset:         44
        .size:           4
        .value_kind:     by_value
      - .offset:         48
        .size:           4
        .value_kind:     by_value
    .group_segment_fixed_size: 0
    .kernarg_segment_align: 8
    .kernarg_segment_size: 52
    .language:       OpenCL C
    .language_version:
      - 2
      - 0
    .max_flat_workgroup_size: 1024
    .name:           _ZN5aiter24topk_softplus_kernel_optI6__halfS1_Li384ELb0ELi1EEEvPKT_PKT0_PfPimiif
    .private_segment_fixed_size: 196
    .sgpr_count:     18
    .sgpr_spill_count: 0
    .symbol:         _ZN5aiter24topk_softplus_kernel_optI6__halfS1_Li384ELb0ELi1EEEvPKT_PKT0_PfPimiif.kd
    .uniform_work_group_size: 1
    .uses_dynamic_stack: false
    .vgpr_count:     183
    .vgpr_spill_count: 300
    .wavefront_size: 32
    .workgroup_processor_mode: 1
  - .args:
      - .actual_access:  read_only
        .address_space:  global
        .offset:         0
        .size:           8
        .value_kind:     global_buffer
      - .actual_access:  read_only
        .address_space:  global
        .offset:         8
        .size:           8
        .value_kind:     global_buffer
      - .actual_access:  write_only
        .address_space:  global
        .offset:         16
        .size:           8
        .value_kind:     global_buffer
      - .actual_access:  write_only
        .address_space:  global
        .offset:         24
        .size:           8
        .value_kind:     global_buffer
      - .offset:         32
        .size:           8
        .value_kind:     by_value
      - .offset:         40
        .size:           4
        .value_kind:     by_value
      - .offset:         44
        .size:           4
        .value_kind:     by_value
      - .offset:         48
        .size:           4
        .value_kind:     by_value
      - .offset:         52
        .size:           4
        .value_kind:     by_value
      - .offset:         56
        .size:           4
        .value_kind:     hidden_block_count_x
      - .offset:         60
        .size:           4
        .value_kind:     hidden_block_count_y
      - .offset:         64
        .size:           4
        .value_kind:     hidden_block_count_z
      - .offset:         68
        .size:           2
        .value_kind:     hidden_group_size_x
      - .offset:         70
        .size:           2
        .value_kind:     hidden_group_size_y
      - .offset:         72
        .size:           2
        .value_kind:     hidden_group_size_z
      - .offset:         74
        .size:           2
        .value_kind:     hidden_remainder_x
      - .offset:         76
        .size:           2
        .value_kind:     hidden_remainder_y
      - .offset:         78
        .size:           2
        .value_kind:     hidden_remainder_z
      - .offset:         96
        .size:           8
        .value_kind:     hidden_global_offset_x
      - .offset:         104
        .size:           8
        .value_kind:     hidden_global_offset_y
      - .offset:         112
        .size:           8
        .value_kind:     hidden_global_offset_z
      - .offset:         120
        .size:           2
        .value_kind:     hidden_grid_dims
      - .offset:         176
        .size:           4
        .value_kind:     hidden_dynamic_lds_size
    .group_segment_fixed_size: 0
    .kernarg_segment_align: 8
    .kernarg_segment_size: 312
    .language:       OpenCL C
    .language_version:
      - 2
      - 0
    .max_flat_workgroup_size: 1024
    .name:           _ZN5aiter20topk_softplus_kernelI6__halfS1_Dv4_fLb1ELi1EEEvPKT_PKT0_PfPimiiif
    .private_segment_fixed_size: 0
    .sgpr_count:     34
    .sgpr_spill_count: 0
    .symbol:         _ZN5aiter20topk_softplus_kernelI6__halfS1_Dv4_fLb1ELi1EEEvPKT_PKT0_PfPimiiif.kd
    .uniform_work_group_size: 1
    .uses_dynamic_stack: false
    .vgpr_count:     17
    .vgpr_spill_count: 0
    .wavefront_size: 32
    .workgroup_processor_mode: 1
  - .args:
      - .actual_access:  read_only
        .address_space:  global
        .offset:         0
        .size:           8
        .value_kind:     global_buffer
      - .actual_access:  read_only
        .address_space:  global
        .offset:         8
        .size:           8
        .value_kind:     global_buffer
      - .actual_access:  write_only
        .address_space:  global
        .offset:         16
        .size:           8
        .value_kind:     global_buffer
      - .actual_access:  write_only
        .address_space:  global
        .offset:         24
        .size:           8
        .value_kind:     global_buffer
      - .offset:         32
        .size:           8
        .value_kind:     by_value
      - .offset:         40
        .size:           4
        .value_kind:     by_value
      - .offset:         44
        .size:           4
        .value_kind:     by_value
      - .offset:         48
        .size:           4
        .value_kind:     by_value
      - .offset:         52
        .size:           4
        .value_kind:     by_value
      - .offset:         56
        .size:           4
        .value_kind:     hidden_block_count_x
      - .offset:         60
        .size:           4
        .value_kind:     hidden_block_count_y
      - .offset:         64
        .size:           4
        .value_kind:     hidden_block_count_z
      - .offset:         68
        .size:           2
        .value_kind:     hidden_group_size_x
      - .offset:         70
        .size:           2
        .value_kind:     hidden_group_size_y
      - .offset:         72
        .size:           2
        .value_kind:     hidden_group_size_z
      - .offset:         74
        .size:           2
        .value_kind:     hidden_remainder_x
      - .offset:         76
        .size:           2
        .value_kind:     hidden_remainder_y
      - .offset:         78
        .size:           2
        .value_kind:     hidden_remainder_z
      - .offset:         96
        .size:           8
        .value_kind:     hidden_global_offset_x
      - .offset:         104
        .size:           8
        .value_kind:     hidden_global_offset_y
      - .offset:         112
        .size:           8
        .value_kind:     hidden_global_offset_z
      - .offset:         120
        .size:           2
        .value_kind:     hidden_grid_dims
      - .offset:         176
        .size:           4
        .value_kind:     hidden_dynamic_lds_size
    .group_segment_fixed_size: 0
    .kernarg_segment_align: 8
    .kernarg_segment_size: 312
    .language:       OpenCL C
    .language_version:
      - 2
      - 0
    .max_flat_workgroup_size: 1024
    .name:           _ZN5aiter20topk_softplus_kernelI6__halfS1_Dv4_fLb0ELi1EEEvPKT_PKT0_PfPimiiif
    .private_segment_fixed_size: 0
    .sgpr_count:     34
    .sgpr_spill_count: 0
    .symbol:         _ZN5aiter20topk_softplus_kernelI6__halfS1_Dv4_fLb0ELi1EEEvPKT_PKT0_PfPimiiif.kd
    .uniform_work_group_size: 1
    .uses_dynamic_stack: false
    .vgpr_count:     17
    .vgpr_spill_count: 0
    .wavefront_size: 32
    .workgroup_processor_mode: 1
  - .args:
      - .actual_access:  read_only
        .address_space:  global
        .offset:         0
        .size:           8
        .value_kind:     global_buffer
      - .actual_access:  read_only
        .address_space:  global
        .offset:         8
        .size:           8
        .value_kind:     global_buffer
      - .actual_access:  write_only
        .address_space:  global
        .offset:         16
        .size:           8
        .value_kind:     global_buffer
      - .actual_access:  write_only
        .address_space:  global
        .offset:         24
        .size:           8
        .value_kind:     global_buffer
      - .offset:         32
        .size:           8
        .value_kind:     by_value
      - .offset:         40
        .size:           4
        .value_kind:     by_value
      - .offset:         44
        .size:           4
        .value_kind:     by_value
      - .offset:         48
        .size:           4
        .value_kind:     by_value
      - .offset:         52
        .size:           4
        .value_kind:     by_value
      - .offset:         56
        .size:           4
        .value_kind:     hidden_block_count_x
      - .offset:         60
        .size:           4
        .value_kind:     hidden_block_count_y
      - .offset:         64
        .size:           4
        .value_kind:     hidden_block_count_z
      - .offset:         68
        .size:           2
        .value_kind:     hidden_group_size_x
      - .offset:         70
        .size:           2
        .value_kind:     hidden_group_size_y
      - .offset:         72
        .size:           2
        .value_kind:     hidden_group_size_z
      - .offset:         74
        .size:           2
        .value_kind:     hidden_remainder_x
      - .offset:         76
        .size:           2
        .value_kind:     hidden_remainder_y
      - .offset:         78
        .size:           2
        .value_kind:     hidden_remainder_z
      - .offset:         96
        .size:           8
        .value_kind:     hidden_global_offset_x
      - .offset:         104
        .size:           8
        .value_kind:     hidden_global_offset_y
      - .offset:         112
        .size:           8
        .value_kind:     hidden_global_offset_z
      - .offset:         120
        .size:           2
        .value_kind:     hidden_grid_dims
      - .offset:         176
        .size:           4
        .value_kind:     hidden_dynamic_lds_size
    .group_segment_fixed_size: 0
    .kernarg_segment_align: 8
    .kernarg_segment_size: 312
    .language:       OpenCL C
    .language_version:
      - 2
      - 0
    .max_flat_workgroup_size: 1024
    .name:           _ZN5aiter20topk_softplus_kernelI6__halfS1_Dv2_fLb1ELi1EEEvPKT_PKT0_PfPimiiif
    .private_segment_fixed_size: 0
    .sgpr_count:     25
    .sgpr_spill_count: 0
    .symbol:         _ZN5aiter20topk_softplus_kernelI6__halfS1_Dv2_fLb1ELi1EEEvPKT_PKT0_PfPimiiif.kd
    .uniform_work_group_size: 1
    .uses_dynamic_stack: false
    .vgpr_count:     15
    .vgpr_spill_count: 0
    .wavefront_size: 32
    .workgroup_processor_mode: 1
  - .args:
      - .actual_access:  read_only
        .address_space:  global
        .offset:         0
        .size:           8
        .value_kind:     global_buffer
      - .actual_access:  read_only
        .address_space:  global
        .offset:         8
        .size:           8
        .value_kind:     global_buffer
      - .actual_access:  write_only
        .address_space:  global
        .offset:         16
        .size:           8
        .value_kind:     global_buffer
      - .actual_access:  write_only
        .address_space:  global
        .offset:         24
        .size:           8
        .value_kind:     global_buffer
      - .offset:         32
        .size:           8
        .value_kind:     by_value
      - .offset:         40
        .size:           4
        .value_kind:     by_value
      - .offset:         44
        .size:           4
        .value_kind:     by_value
      - .offset:         48
        .size:           4
        .value_kind:     by_value
      - .offset:         52
        .size:           4
        .value_kind:     by_value
      - .offset:         56
        .size:           4
        .value_kind:     hidden_block_count_x
      - .offset:         60
        .size:           4
        .value_kind:     hidden_block_count_y
      - .offset:         64
        .size:           4
        .value_kind:     hidden_block_count_z
      - .offset:         68
        .size:           2
        .value_kind:     hidden_group_size_x
      - .offset:         70
        .size:           2
        .value_kind:     hidden_group_size_y
      - .offset:         72
        .size:           2
        .value_kind:     hidden_group_size_z
      - .offset:         74
        .size:           2
        .value_kind:     hidden_remainder_x
      - .offset:         76
        .size:           2
        .value_kind:     hidden_remainder_y
      - .offset:         78
        .size:           2
        .value_kind:     hidden_remainder_z
      - .offset:         96
        .size:           8
        .value_kind:     hidden_global_offset_x
      - .offset:         104
        .size:           8
        .value_kind:     hidden_global_offset_y
      - .offset:         112
        .size:           8
        .value_kind:     hidden_global_offset_z
      - .offset:         120
        .size:           2
        .value_kind:     hidden_grid_dims
      - .offset:         176
        .size:           4
        .value_kind:     hidden_dynamic_lds_size
    .group_segment_fixed_size: 0
    .kernarg_segment_align: 8
    .kernarg_segment_size: 312
    .language:       OpenCL C
    .language_version:
      - 2
      - 0
    .max_flat_workgroup_size: 1024
    .name:           _ZN5aiter20topk_softplus_kernelI6__halfS1_Dv2_fLb0ELi1EEEvPKT_PKT0_PfPimiiif
    .private_segment_fixed_size: 0
    .sgpr_count:     25
    .sgpr_spill_count: 0
    .symbol:         _ZN5aiter20topk_softplus_kernelI6__halfS1_Dv2_fLb0ELi1EEEvPKT_PKT0_PfPimiiif.kd
    .uniform_work_group_size: 1
    .uses_dynamic_stack: false
    .vgpr_count:     14
    .vgpr_spill_count: 0
    .wavefront_size: 32
    .workgroup_processor_mode: 1
  - .args:
      - .actual_access:  read_only
        .address_space:  global
        .offset:         0
        .size:           8
        .value_kind:     global_buffer
      - .actual_access:  read_only
        .address_space:  global
        .offset:         8
        .size:           8
        .value_kind:     global_buffer
      - .actual_access:  write_only
        .address_space:  global
        .offset:         16
        .size:           8
        .value_kind:     global_buffer
      - .actual_access:  write_only
        .address_space:  global
        .offset:         24
        .size:           8
        .value_kind:     global_buffer
      - .offset:         32
        .size:           8
        .value_kind:     by_value
      - .offset:         40
        .size:           4
        .value_kind:     by_value
      - .offset:         44
        .size:           4
        .value_kind:     by_value
      - .offset:         48
        .size:           4
        .value_kind:     by_value
      - .offset:         52
        .size:           4
        .value_kind:     by_value
      - .offset:         56
        .size:           4
        .value_kind:     hidden_block_count_x
      - .offset:         60
        .size:           4
        .value_kind:     hidden_block_count_y
      - .offset:         64
        .size:           4
        .value_kind:     hidden_block_count_z
      - .offset:         68
        .size:           2
        .value_kind:     hidden_group_size_x
      - .offset:         70
        .size:           2
        .value_kind:     hidden_group_size_y
      - .offset:         72
        .size:           2
        .value_kind:     hidden_group_size_z
      - .offset:         74
        .size:           2
        .value_kind:     hidden_remainder_x
      - .offset:         76
        .size:           2
        .value_kind:     hidden_remainder_y
      - .offset:         78
        .size:           2
        .value_kind:     hidden_remainder_z
      - .offset:         96
        .size:           8
        .value_kind:     hidden_global_offset_x
      - .offset:         104
        .size:           8
        .value_kind:     hidden_global_offset_y
      - .offset:         112
        .size:           8
        .value_kind:     hidden_global_offset_z
      - .offset:         120
        .size:           2
        .value_kind:     hidden_grid_dims
      - .offset:         176
        .size:           4
        .value_kind:     hidden_dynamic_lds_size
    .group_segment_fixed_size: 0
    .kernarg_segment_align: 8
    .kernarg_segment_size: 312
    .language:       OpenCL C
    .language_version:
      - 2
      - 0
    .max_flat_workgroup_size: 1024
    .name:           _ZN5aiter20topk_softplus_kernelI6__halfS1_Dv1_fLb1ELi1EEEvPKT_PKT0_PfPimiiif
    .private_segment_fixed_size: 0
    .sgpr_count:     24
    .sgpr_spill_count: 0
    .symbol:         _ZN5aiter20topk_softplus_kernelI6__halfS1_Dv1_fLb1ELi1EEEvPKT_PKT0_PfPimiiif.kd
    .uniform_work_group_size: 1
    .uses_dynamic_stack: false
    .vgpr_count:     12
    .vgpr_spill_count: 0
    .wavefront_size: 32
    .workgroup_processor_mode: 1
  - .args:
      - .actual_access:  read_only
        .address_space:  global
        .offset:         0
        .size:           8
        .value_kind:     global_buffer
      - .actual_access:  read_only
        .address_space:  global
        .offset:         8
        .size:           8
        .value_kind:     global_buffer
      - .actual_access:  write_only
        .address_space:  global
        .offset:         16
        .size:           8
        .value_kind:     global_buffer
      - .actual_access:  write_only
        .address_space:  global
        .offset:         24
        .size:           8
        .value_kind:     global_buffer
      - .offset:         32
        .size:           8
        .value_kind:     by_value
      - .offset:         40
        .size:           4
        .value_kind:     by_value
      - .offset:         44
        .size:           4
        .value_kind:     by_value
      - .offset:         48
        .size:           4
        .value_kind:     by_value
      - .offset:         52
        .size:           4
        .value_kind:     by_value
      - .offset:         56
        .size:           4
        .value_kind:     hidden_block_count_x
      - .offset:         60
        .size:           4
        .value_kind:     hidden_block_count_y
      - .offset:         64
        .size:           4
        .value_kind:     hidden_block_count_z
      - .offset:         68
        .size:           2
        .value_kind:     hidden_group_size_x
      - .offset:         70
        .size:           2
        .value_kind:     hidden_group_size_y
      - .offset:         72
        .size:           2
        .value_kind:     hidden_group_size_z
      - .offset:         74
        .size:           2
        .value_kind:     hidden_remainder_x
      - .offset:         76
        .size:           2
        .value_kind:     hidden_remainder_y
      - .offset:         78
        .size:           2
        .value_kind:     hidden_remainder_z
      - .offset:         96
        .size:           8
        .value_kind:     hidden_global_offset_x
      - .offset:         104
        .size:           8
        .value_kind:     hidden_global_offset_y
      - .offset:         112
        .size:           8
        .value_kind:     hidden_global_offset_z
      - .offset:         120
        .size:           2
        .value_kind:     hidden_grid_dims
      - .offset:         176
        .size:           4
        .value_kind:     hidden_dynamic_lds_size
    .group_segment_fixed_size: 0
    .kernarg_segment_align: 8
    .kernarg_segment_size: 312
    .language:       OpenCL C
    .language_version:
      - 2
      - 0
    .max_flat_workgroup_size: 1024
    .name:           _ZN5aiter20topk_softplus_kernelI6__halfS1_Dv1_fLb0ELi1EEEvPKT_PKT0_PfPimiiif
    .private_segment_fixed_size: 0
    .sgpr_count:     24
    .sgpr_spill_count: 0
    .symbol:         _ZN5aiter20topk_softplus_kernelI6__halfS1_Dv1_fLb0ELi1EEEvPKT_PKT0_PfPimiiif.kd
    .uniform_work_group_size: 1
    .uses_dynamic_stack: false
    .vgpr_count:     11
    .vgpr_spill_count: 0
    .wavefront_size: 32
    .workgroup_processor_mode: 1
  - .args:
      - .actual_access:  read_only
        .address_space:  global
        .offset:         0
        .size:           8
        .value_kind:     global_buffer
      - .actual_access:  read_only
        .address_space:  global
        .offset:         8
        .size:           8
        .value_kind:     global_buffer
      - .actual_access:  write_only
        .address_space:  global
        .offset:         16
        .size:           8
        .value_kind:     global_buffer
      - .actual_access:  write_only
        .address_space:  global
        .offset:         24
        .size:           8
        .value_kind:     global_buffer
      - .offset:         32
        .size:           8
        .value_kind:     by_value
      - .offset:         40
        .size:           4
        .value_kind:     by_value
      - .offset:         44
        .size:           4
        .value_kind:     by_value
      - .offset:         48
        .size:           4
        .value_kind:     by_value
      - .offset:         52
        .size:           4
        .value_kind:     by_value
      - .offset:         56
        .size:           4
        .value_kind:     hidden_block_count_x
      - .offset:         60
        .size:           4
        .value_kind:     hidden_block_count_y
      - .offset:         64
        .size:           4
        .value_kind:     hidden_block_count_z
      - .offset:         68
        .size:           2
        .value_kind:     hidden_group_size_x
      - .offset:         70
        .size:           2
        .value_kind:     hidden_group_size_y
      - .offset:         72
        .size:           2
        .value_kind:     hidden_group_size_z
      - .offset:         74
        .size:           2
        .value_kind:     hidden_remainder_x
      - .offset:         76
        .size:           2
        .value_kind:     hidden_remainder_y
      - .offset:         78
        .size:           2
        .value_kind:     hidden_remainder_z
      - .offset:         96
        .size:           8
        .value_kind:     hidden_global_offset_x
      - .offset:         104
        .size:           8
        .value_kind:     hidden_global_offset_y
      - .offset:         112
        .size:           8
        .value_kind:     hidden_global_offset_z
      - .offset:         120
        .size:           2
        .value_kind:     hidden_grid_dims
      - .offset:         176
        .size:           4
        .value_kind:     hidden_dynamic_lds_size
    .group_segment_fixed_size: 0
    .kernarg_segment_align: 8
    .kernarg_segment_size: 312
    .language:       OpenCL C
    .language_version:
      - 2
      - 0
    .max_flat_workgroup_size: 1024
    .name:           _ZN5aiter20topk_softplus_kernelI6__halfS1_Dv4_fLb1ELi2EEEvPKT_PKT0_PfPimiiif
    .private_segment_fixed_size: 0
    .sgpr_count:     25
    .sgpr_spill_count: 0
    .symbol:         _ZN5aiter20topk_softplus_kernelI6__halfS1_Dv4_fLb1ELi2EEEvPKT_PKT0_PfPimiiif.kd
    .uniform_work_group_size: 1
    .uses_dynamic_stack: false
    .vgpr_count:     17
    .vgpr_spill_count: 0
    .wavefront_size: 32
    .workgroup_processor_mode: 1
  - .args:
      - .actual_access:  read_only
        .address_space:  global
        .offset:         0
        .size:           8
        .value_kind:     global_buffer
      - .actual_access:  read_only
        .address_space:  global
        .offset:         8
        .size:           8
        .value_kind:     global_buffer
      - .actual_access:  write_only
        .address_space:  global
        .offset:         16
        .size:           8
        .value_kind:     global_buffer
      - .actual_access:  write_only
        .address_space:  global
        .offset:         24
        .size:           8
        .value_kind:     global_buffer
      - .offset:         32
        .size:           8
        .value_kind:     by_value
      - .offset:         40
        .size:           4
        .value_kind:     by_value
      - .offset:         44
        .size:           4
        .value_kind:     by_value
      - .offset:         48
        .size:           4
        .value_kind:     by_value
      - .offset:         52
        .size:           4
        .value_kind:     by_value
      - .offset:         56
        .size:           4
        .value_kind:     hidden_block_count_x
      - .offset:         60
        .size:           4
        .value_kind:     hidden_block_count_y
      - .offset:         64
        .size:           4
        .value_kind:     hidden_block_count_z
      - .offset:         68
        .size:           2
        .value_kind:     hidden_group_size_x
      - .offset:         70
        .size:           2
        .value_kind:     hidden_group_size_y
      - .offset:         72
        .size:           2
        .value_kind:     hidden_group_size_z
      - .offset:         74
        .size:           2
        .value_kind:     hidden_remainder_x
      - .offset:         76
        .size:           2
        .value_kind:     hidden_remainder_y
      - .offset:         78
        .size:           2
        .value_kind:     hidden_remainder_z
      - .offset:         96
        .size:           8
        .value_kind:     hidden_global_offset_x
      - .offset:         104
        .size:           8
        .value_kind:     hidden_global_offset_y
      - .offset:         112
        .size:           8
        .value_kind:     hidden_global_offset_z
      - .offset:         120
        .size:           2
        .value_kind:     hidden_grid_dims
      - .offset:         176
        .size:           4
        .value_kind:     hidden_dynamic_lds_size
    .group_segment_fixed_size: 0
    .kernarg_segment_align: 8
    .kernarg_segment_size: 312
    .language:       OpenCL C
    .language_version:
      - 2
      - 0
    .max_flat_workgroup_size: 1024
    .name:           _ZN5aiter20topk_softplus_kernelI6__halfS1_Dv4_fLb0ELi2EEEvPKT_PKT0_PfPimiiif
    .private_segment_fixed_size: 0
    .sgpr_count:     25
    .sgpr_spill_count: 0
    .symbol:         _ZN5aiter20topk_softplus_kernelI6__halfS1_Dv4_fLb0ELi2EEEvPKT_PKT0_PfPimiiif.kd
    .uniform_work_group_size: 1
    .uses_dynamic_stack: false
    .vgpr_count:     16
    .vgpr_spill_count: 0
    .wavefront_size: 32
    .workgroup_processor_mode: 1
  - .args:
      - .actual_access:  read_only
        .address_space:  global
        .offset:         0
        .size:           8
        .value_kind:     global_buffer
      - .actual_access:  read_only
        .address_space:  global
        .offset:         8
        .size:           8
        .value_kind:     global_buffer
      - .actual_access:  write_only
        .address_space:  global
        .offset:         16
        .size:           8
        .value_kind:     global_buffer
      - .actual_access:  write_only
        .address_space:  global
        .offset:         24
        .size:           8
        .value_kind:     global_buffer
      - .offset:         32
        .size:           8
        .value_kind:     by_value
      - .offset:         40
        .size:           4
        .value_kind:     by_value
      - .offset:         44
        .size:           4
        .value_kind:     by_value
      - .offset:         48
        .size:           4
        .value_kind:     by_value
      - .offset:         52
        .size:           4
        .value_kind:     by_value
      - .offset:         56
        .size:           4
        .value_kind:     hidden_block_count_x
      - .offset:         60
        .size:           4
        .value_kind:     hidden_block_count_y
      - .offset:         64
        .size:           4
        .value_kind:     hidden_block_count_z
      - .offset:         68
        .size:           2
        .value_kind:     hidden_group_size_x
      - .offset:         70
        .size:           2
        .value_kind:     hidden_group_size_y
      - .offset:         72
        .size:           2
        .value_kind:     hidden_group_size_z
      - .offset:         74
        .size:           2
        .value_kind:     hidden_remainder_x
      - .offset:         76
        .size:           2
        .value_kind:     hidden_remainder_y
      - .offset:         78
        .size:           2
        .value_kind:     hidden_remainder_z
      - .offset:         96
        .size:           8
        .value_kind:     hidden_global_offset_x
      - .offset:         104
        .size:           8
        .value_kind:     hidden_global_offset_y
      - .offset:         112
        .size:           8
        .value_kind:     hidden_global_offset_z
      - .offset:         120
        .size:           2
        .value_kind:     hidden_grid_dims
      - .offset:         176
        .size:           4
        .value_kind:     hidden_dynamic_lds_size
    .group_segment_fixed_size: 0
    .kernarg_segment_align: 8
    .kernarg_segment_size: 312
    .language:       OpenCL C
    .language_version:
      - 2
      - 0
    .max_flat_workgroup_size: 1024
    .name:           _ZN5aiter20topk_softplus_kernelI6__halfS1_Dv2_fLb1ELi2EEEvPKT_PKT0_PfPimiiif
    .private_segment_fixed_size: 0
    .sgpr_count:     25
    .sgpr_spill_count: 0
    .symbol:         _ZN5aiter20topk_softplus_kernelI6__halfS1_Dv2_fLb1ELi2EEEvPKT_PKT0_PfPimiiif.kd
    .uniform_work_group_size: 1
    .uses_dynamic_stack: false
    .vgpr_count:     15
    .vgpr_spill_count: 0
    .wavefront_size: 32
    .workgroup_processor_mode: 1
  - .args:
      - .actual_access:  read_only
        .address_space:  global
        .offset:         0
        .size:           8
        .value_kind:     global_buffer
      - .actual_access:  read_only
        .address_space:  global
        .offset:         8
        .size:           8
        .value_kind:     global_buffer
      - .actual_access:  write_only
        .address_space:  global
        .offset:         16
        .size:           8
        .value_kind:     global_buffer
      - .actual_access:  write_only
        .address_space:  global
        .offset:         24
        .size:           8
        .value_kind:     global_buffer
      - .offset:         32
        .size:           8
        .value_kind:     by_value
      - .offset:         40
        .size:           4
        .value_kind:     by_value
      - .offset:         44
        .size:           4
        .value_kind:     by_value
      - .offset:         48
        .size:           4
        .value_kind:     by_value
      - .offset:         52
        .size:           4
        .value_kind:     by_value
      - .offset:         56
        .size:           4
        .value_kind:     hidden_block_count_x
      - .offset:         60
        .size:           4
        .value_kind:     hidden_block_count_y
      - .offset:         64
        .size:           4
        .value_kind:     hidden_block_count_z
      - .offset:         68
        .size:           2
        .value_kind:     hidden_group_size_x
      - .offset:         70
        .size:           2
        .value_kind:     hidden_group_size_y
      - .offset:         72
        .size:           2
        .value_kind:     hidden_group_size_z
      - .offset:         74
        .size:           2
        .value_kind:     hidden_remainder_x
      - .offset:         76
        .size:           2
        .value_kind:     hidden_remainder_y
      - .offset:         78
        .size:           2
        .value_kind:     hidden_remainder_z
      - .offset:         96
        .size:           8
        .value_kind:     hidden_global_offset_x
      - .offset:         104
        .size:           8
        .value_kind:     hidden_global_offset_y
      - .offset:         112
        .size:           8
        .value_kind:     hidden_global_offset_z
      - .offset:         120
        .size:           2
        .value_kind:     hidden_grid_dims
      - .offset:         176
        .size:           4
        .value_kind:     hidden_dynamic_lds_size
    .group_segment_fixed_size: 0
    .kernarg_segment_align: 8
    .kernarg_segment_size: 312
    .language:       OpenCL C
    .language_version:
      - 2
      - 0
    .max_flat_workgroup_size: 1024
    .name:           _ZN5aiter20topk_softplus_kernelI6__halfS1_Dv2_fLb0ELi2EEEvPKT_PKT0_PfPimiiif
    .private_segment_fixed_size: 0
    .sgpr_count:     25
    .sgpr_spill_count: 0
    .symbol:         _ZN5aiter20topk_softplus_kernelI6__halfS1_Dv2_fLb0ELi2EEEvPKT_PKT0_PfPimiiif.kd
    .uniform_work_group_size: 1
    .uses_dynamic_stack: false
    .vgpr_count:     14
    .vgpr_spill_count: 0
    .wavefront_size: 32
    .workgroup_processor_mode: 1
  - .args:
      - .actual_access:  read_only
        .address_space:  global
        .offset:         0
        .size:           8
        .value_kind:     global_buffer
      - .actual_access:  read_only
        .address_space:  global
        .offset:         8
        .size:           8
        .value_kind:     global_buffer
      - .actual_access:  write_only
        .address_space:  global
        .offset:         16
        .size:           8
        .value_kind:     global_buffer
      - .actual_access:  write_only
        .address_space:  global
        .offset:         24
        .size:           8
        .value_kind:     global_buffer
      - .offset:         32
        .size:           8
        .value_kind:     by_value
      - .offset:         40
        .size:           4
        .value_kind:     by_value
      - .offset:         44
        .size:           4
        .value_kind:     by_value
      - .offset:         48
        .size:           4
        .value_kind:     by_value
      - .offset:         52
        .size:           4
        .value_kind:     by_value
      - .offset:         56
        .size:           4
        .value_kind:     hidden_block_count_x
      - .offset:         60
        .size:           4
        .value_kind:     hidden_block_count_y
      - .offset:         64
        .size:           4
        .value_kind:     hidden_block_count_z
      - .offset:         68
        .size:           2
        .value_kind:     hidden_group_size_x
      - .offset:         70
        .size:           2
        .value_kind:     hidden_group_size_y
      - .offset:         72
        .size:           2
        .value_kind:     hidden_group_size_z
      - .offset:         74
        .size:           2
        .value_kind:     hidden_remainder_x
      - .offset:         76
        .size:           2
        .value_kind:     hidden_remainder_y
      - .offset:         78
        .size:           2
        .value_kind:     hidden_remainder_z
      - .offset:         96
        .size:           8
        .value_kind:     hidden_global_offset_x
      - .offset:         104
        .size:           8
        .value_kind:     hidden_global_offset_y
      - .offset:         112
        .size:           8
        .value_kind:     hidden_global_offset_z
      - .offset:         120
        .size:           2
        .value_kind:     hidden_grid_dims
      - .offset:         176
        .size:           4
        .value_kind:     hidden_dynamic_lds_size
    .group_segment_fixed_size: 0
    .kernarg_segment_align: 8
    .kernarg_segment_size: 312
    .language:       OpenCL C
    .language_version:
      - 2
      - 0
    .max_flat_workgroup_size: 1024
    .name:           _ZN5aiter20topk_softplus_kernelI6__halfS1_Dv1_fLb1ELi2EEEvPKT_PKT0_PfPimiiif
    .private_segment_fixed_size: 0
    .sgpr_count:     24
    .sgpr_spill_count: 0
    .symbol:         _ZN5aiter20topk_softplus_kernelI6__halfS1_Dv1_fLb1ELi2EEEvPKT_PKT0_PfPimiiif.kd
    .uniform_work_group_size: 1
    .uses_dynamic_stack: false
    .vgpr_count:     12
    .vgpr_spill_count: 0
    .wavefront_size: 32
    .workgroup_processor_mode: 1
  - .args:
      - .actual_access:  read_only
        .address_space:  global
        .offset:         0
        .size:           8
        .value_kind:     global_buffer
      - .actual_access:  read_only
        .address_space:  global
        .offset:         8
        .size:           8
        .value_kind:     global_buffer
      - .actual_access:  write_only
        .address_space:  global
        .offset:         16
        .size:           8
        .value_kind:     global_buffer
      - .actual_access:  write_only
        .address_space:  global
        .offset:         24
        .size:           8
        .value_kind:     global_buffer
      - .offset:         32
        .size:           8
        .value_kind:     by_value
      - .offset:         40
        .size:           4
        .value_kind:     by_value
      - .offset:         44
        .size:           4
        .value_kind:     by_value
      - .offset:         48
        .size:           4
        .value_kind:     by_value
      - .offset:         52
        .size:           4
        .value_kind:     by_value
      - .offset:         56
        .size:           4
        .value_kind:     hidden_block_count_x
      - .offset:         60
        .size:           4
        .value_kind:     hidden_block_count_y
      - .offset:         64
        .size:           4
        .value_kind:     hidden_block_count_z
      - .offset:         68
        .size:           2
        .value_kind:     hidden_group_size_x
      - .offset:         70
        .size:           2
        .value_kind:     hidden_group_size_y
      - .offset:         72
        .size:           2
        .value_kind:     hidden_group_size_z
      - .offset:         74
        .size:           2
        .value_kind:     hidden_remainder_x
      - .offset:         76
        .size:           2
        .value_kind:     hidden_remainder_y
      - .offset:         78
        .size:           2
        .value_kind:     hidden_remainder_z
      - .offset:         96
        .size:           8
        .value_kind:     hidden_global_offset_x
      - .offset:         104
        .size:           8
        .value_kind:     hidden_global_offset_y
      - .offset:         112
        .size:           8
        .value_kind:     hidden_global_offset_z
      - .offset:         120
        .size:           2
        .value_kind:     hidden_grid_dims
      - .offset:         176
        .size:           4
        .value_kind:     hidden_dynamic_lds_size
    .group_segment_fixed_size: 0
    .kernarg_segment_align: 8
    .kernarg_segment_size: 312
    .language:       OpenCL C
    .language_version:
      - 2
      - 0
    .max_flat_workgroup_size: 1024
    .name:           _ZN5aiter20topk_softplus_kernelI6__halfS1_Dv1_fLb0ELi2EEEvPKT_PKT0_PfPimiiif
    .private_segment_fixed_size: 0
    .sgpr_count:     24
    .sgpr_spill_count: 0
    .symbol:         _ZN5aiter20topk_softplus_kernelI6__halfS1_Dv1_fLb0ELi2EEEvPKT_PKT0_PfPimiiif.kd
    .uniform_work_group_size: 1
    .uses_dynamic_stack: false
    .vgpr_count:     11
    .vgpr_spill_count: 0
    .wavefront_size: 32
    .workgroup_processor_mode: 1
  - .args:
      - .actual_access:  read_only
        .address_space:  global
        .offset:         0
        .size:           8
        .value_kind:     global_buffer
      - .actual_access:  read_only
        .address_space:  global
        .offset:         8
        .size:           8
        .value_kind:     global_buffer
      - .actual_access:  write_only
        .address_space:  global
        .offset:         16
        .size:           8
        .value_kind:     global_buffer
      - .actual_access:  write_only
        .address_space:  global
        .offset:         24
        .size:           8
        .value_kind:     global_buffer
      - .offset:         32
        .size:           8
        .value_kind:     by_value
      - .offset:         40
        .size:           4
        .value_kind:     by_value
      - .offset:         44
        .size:           4
        .value_kind:     by_value
      - .offset:         48
        .size:           4
        .value_kind:     by_value
    .group_segment_fixed_size: 0
    .kernarg_segment_align: 8
    .kernarg_segment_size: 52
    .language:       OpenCL C
    .language_version:
      - 2
      - 0
    .max_flat_workgroup_size: 1024
    .name:           _ZN5aiter24topk_softplus_kernel_optI6__halfS1_Li64ELb1ELi0EEEvPKT_PKT0_PfPimiif
    .private_segment_fixed_size: 0
    .sgpr_count:     18
    .sgpr_spill_count: 0
    .symbol:         _ZN5aiter24topk_softplus_kernel_optI6__halfS1_Li64ELb1ELi0EEEvPKT_PKT0_PfPimiif.kd
    .uniform_work_group_size: 1
    .uses_dynamic_stack: false
    .vgpr_count:     17
    .vgpr_spill_count: 0
    .wavefront_size: 32
    .workgroup_processor_mode: 1
  - .args:
      - .actual_access:  read_only
        .address_space:  global
        .offset:         0
        .size:           8
        .value_kind:     global_buffer
      - .actual_access:  read_only
        .address_space:  global
        .offset:         8
        .size:           8
        .value_kind:     global_buffer
      - .actual_access:  write_only
        .address_space:  global
        .offset:         16
        .size:           8
        .value_kind:     global_buffer
      - .actual_access:  write_only
        .address_space:  global
        .offset:         24
        .size:           8
        .value_kind:     global_buffer
      - .offset:         32
        .size:           8
        .value_kind:     by_value
      - .offset:         40
        .size:           4
        .value_kind:     by_value
      - .offset:         44
        .size:           4
        .value_kind:     by_value
      - .offset:         48
        .size:           4
        .value_kind:     by_value
    .group_segment_fixed_size: 0
    .kernarg_segment_align: 8
    .kernarg_segment_size: 52
    .language:       OpenCL C
    .language_version:
      - 2
      - 0
    .max_flat_workgroup_size: 1024
    .name:           _ZN5aiter24topk_softplus_kernel_optI6__halfS1_Li64ELb0ELi0EEEvPKT_PKT0_PfPimiif
    .private_segment_fixed_size: 0
    .sgpr_count:     18
    .sgpr_spill_count: 0
    .symbol:         _ZN5aiter24topk_softplus_kernel_optI6__halfS1_Li64ELb0ELi0EEEvPKT_PKT0_PfPimiif.kd
    .uniform_work_group_size: 1
    .uses_dynamic_stack: false
    .vgpr_count:     14
    .vgpr_spill_count: 0
    .wavefront_size: 32
    .workgroup_processor_mode: 1
  - .args:
      - .actual_access:  read_only
        .address_space:  global
        .offset:         0
        .size:           8
        .value_kind:     global_buffer
      - .actual_access:  read_only
        .address_space:  global
        .offset:         8
        .size:           8
        .value_kind:     global_buffer
      - .actual_access:  write_only
        .address_space:  global
        .offset:         16
        .size:           8
        .value_kind:     global_buffer
      - .actual_access:  write_only
        .address_space:  global
        .offset:         24
        .size:           8
        .value_kind:     global_buffer
      - .offset:         32
        .size:           8
        .value_kind:     by_value
      - .offset:         40
        .size:           4
        .value_kind:     by_value
      - .offset:         44
        .size:           4
        .value_kind:     by_value
      - .offset:         48
        .size:           4
        .value_kind:     by_value
    .group_segment_fixed_size: 0
    .kernarg_segment_align: 8
    .kernarg_segment_size: 52
    .language:       OpenCL C
    .language_version:
      - 2
      - 0
    .max_flat_workgroup_size: 1024
    .name:           _ZN5aiter24topk_softplus_kernel_optI6__halfS1_Li128ELb1ELi0EEEvPKT_PKT0_PfPimiif
    .private_segment_fixed_size: 0
    .sgpr_count:     18
    .sgpr_spill_count: 0
    .symbol:         _ZN5aiter24topk_softplus_kernel_optI6__halfS1_Li128ELb1ELi0EEEvPKT_PKT0_PfPimiif.kd
    .uniform_work_group_size: 1
    .uses_dynamic_stack: false
    .vgpr_count:     24
    .vgpr_spill_count: 0
    .wavefront_size: 32
    .workgroup_processor_mode: 1
  - .args:
      - .actual_access:  read_only
        .address_space:  global
        .offset:         0
        .size:           8
        .value_kind:     global_buffer
      - .actual_access:  read_only
        .address_space:  global
        .offset:         8
        .size:           8
        .value_kind:     global_buffer
      - .actual_access:  write_only
        .address_space:  global
        .offset:         16
        .size:           8
        .value_kind:     global_buffer
      - .actual_access:  write_only
        .address_space:  global
        .offset:         24
        .size:           8
        .value_kind:     global_buffer
      - .offset:         32
        .size:           8
        .value_kind:     by_value
      - .offset:         40
        .size:           4
        .value_kind:     by_value
      - .offset:         44
        .size:           4
        .value_kind:     by_value
      - .offset:         48
        .size:           4
        .value_kind:     by_value
    .group_segment_fixed_size: 0
    .kernarg_segment_align: 8
    .kernarg_segment_size: 52
    .language:       OpenCL C
    .language_version:
      - 2
      - 0
    .max_flat_workgroup_size: 1024
    .name:           _ZN5aiter24topk_softplus_kernel_optI6__halfS1_Li128ELb0ELi0EEEvPKT_PKT0_PfPimiif
    .private_segment_fixed_size: 0
    .sgpr_count:     18
    .sgpr_spill_count: 0
    .symbol:         _ZN5aiter24topk_softplus_kernel_optI6__halfS1_Li128ELb0ELi0EEEvPKT_PKT0_PfPimiif.kd
    .uniform_work_group_size: 1
    .uses_dynamic_stack: false
    .vgpr_count:     22
    .vgpr_spill_count: 0
    .wavefront_size: 32
    .workgroup_processor_mode: 1
  - .args:
      - .actual_access:  read_only
        .address_space:  global
        .offset:         0
        .size:           8
        .value_kind:     global_buffer
      - .actual_access:  read_only
        .address_space:  global
        .offset:         8
        .size:           8
        .value_kind:     global_buffer
      - .actual_access:  write_only
        .address_space:  global
        .offset:         16
        .size:           8
        .value_kind:     global_buffer
      - .actual_access:  write_only
        .address_space:  global
        .offset:         24
        .size:           8
        .value_kind:     global_buffer
      - .offset:         32
        .size:           8
        .value_kind:     by_value
      - .offset:         40
        .size:           4
        .value_kind:     by_value
      - .offset:         44
        .size:           4
        .value_kind:     by_value
      - .offset:         48
        .size:           4
        .value_kind:     by_value
    .group_segment_fixed_size: 0
    .kernarg_segment_align: 8
    .kernarg_segment_size: 52
    .language:       OpenCL C
    .language_version:
      - 2
      - 0
    .max_flat_workgroup_size: 1024
    .name:           _ZN5aiter24topk_softplus_kernel_optI6__halfS1_Li256ELb1ELi0EEEvPKT_PKT0_PfPimiif
    .private_segment_fixed_size: 0
    .sgpr_count:     18
    .sgpr_spill_count: 0
    .symbol:         _ZN5aiter24topk_softplus_kernel_optI6__halfS1_Li256ELb1ELi0EEEvPKT_PKT0_PfPimiif.kd
    .uniform_work_group_size: 1
    .uses_dynamic_stack: false
    .vgpr_count:     96
    .vgpr_spill_count: 0
    .wavefront_size: 32
    .workgroup_processor_mode: 1
  - .args:
      - .actual_access:  read_only
        .address_space:  global
        .offset:         0
        .size:           8
        .value_kind:     global_buffer
      - .actual_access:  read_only
        .address_space:  global
        .offset:         8
        .size:           8
        .value_kind:     global_buffer
      - .actual_access:  write_only
        .address_space:  global
        .offset:         16
        .size:           8
        .value_kind:     global_buffer
      - .actual_access:  write_only
        .address_space:  global
        .offset:         24
        .size:           8
        .value_kind:     global_buffer
      - .offset:         32
        .size:           8
        .value_kind:     by_value
      - .offset:         40
        .size:           4
        .value_kind:     by_value
      - .offset:         44
        .size:           4
        .value_kind:     by_value
      - .offset:         48
        .size:           4
        .value_kind:     by_value
    .group_segment_fixed_size: 0
    .kernarg_segment_align: 8
    .kernarg_segment_size: 52
    .language:       OpenCL C
    .language_version:
      - 2
      - 0
    .max_flat_workgroup_size: 1024
    .name:           _ZN5aiter24topk_softplus_kernel_optI6__halfS1_Li256ELb0ELi0EEEvPKT_PKT0_PfPimiif
    .private_segment_fixed_size: 0
    .sgpr_count:     18
    .sgpr_spill_count: 0
    .symbol:         _ZN5aiter24topk_softplus_kernel_optI6__halfS1_Li256ELb0ELi0EEEvPKT_PKT0_PfPimiif.kd
    .uniform_work_group_size: 1
    .uses_dynamic_stack: false
    .vgpr_count:     96
    .vgpr_spill_count: 0
    .wavefront_size: 32
    .workgroup_processor_mode: 1
  - .args:
      - .actual_access:  read_only
        .address_space:  global
        .offset:         0
        .size:           8
        .value_kind:     global_buffer
      - .actual_access:  read_only
        .address_space:  global
        .offset:         8
        .size:           8
        .value_kind:     global_buffer
      - .actual_access:  write_only
        .address_space:  global
        .offset:         16
        .size:           8
        .value_kind:     global_buffer
      - .actual_access:  write_only
        .address_space:  global
        .offset:         24
        .size:           8
        .value_kind:     global_buffer
      - .offset:         32
        .size:           8
        .value_kind:     by_value
      - .offset:         40
        .size:           4
        .value_kind:     by_value
      - .offset:         44
        .size:           4
        .value_kind:     by_value
      - .offset:         48
        .size:           4
        .value_kind:     by_value
    .group_segment_fixed_size: 0
    .kernarg_segment_align: 8
    .kernarg_segment_size: 52
    .language:       OpenCL C
    .language_version:
      - 2
      - 0
    .max_flat_workgroup_size: 1024
    .name:           _ZN5aiter24topk_softplus_kernel_optI6__halfS1_Li384ELb1ELi0EEEvPKT_PKT0_PfPimiif
    .private_segment_fixed_size: 196
    .sgpr_count:     18
    .sgpr_spill_count: 0
    .symbol:         _ZN5aiter24topk_softplus_kernel_optI6__halfS1_Li384ELb1ELi0EEEvPKT_PKT0_PfPimiif.kd
    .uniform_work_group_size: 1
    .uses_dynamic_stack: false
    .vgpr_count:     183
    .vgpr_spill_count: 300
    .wavefront_size: 32
    .workgroup_processor_mode: 1
  - .args:
      - .actual_access:  read_only
        .address_space:  global
        .offset:         0
        .size:           8
        .value_kind:     global_buffer
      - .actual_access:  read_only
        .address_space:  global
        .offset:         8
        .size:           8
        .value_kind:     global_buffer
      - .actual_access:  write_only
        .address_space:  global
        .offset:         16
        .size:           8
        .value_kind:     global_buffer
      - .actual_access:  write_only
        .address_space:  global
        .offset:         24
        .size:           8
        .value_kind:     global_buffer
      - .offset:         32
        .size:           8
        .value_kind:     by_value
      - .offset:         40
        .size:           4
        .value_kind:     by_value
      - .offset:         44
        .size:           4
        .value_kind:     by_value
      - .offset:         48
        .size:           4
        .value_kind:     by_value
    .group_segment_fixed_size: 0
    .kernarg_segment_align: 8
    .kernarg_segment_size: 52
    .language:       OpenCL C
    .language_version:
      - 2
      - 0
    .max_flat_workgroup_size: 1024
    .name:           _ZN5aiter24topk_softplus_kernel_optI6__halfS1_Li384ELb0ELi0EEEvPKT_PKT0_PfPimiif
    .private_segment_fixed_size: 196
    .sgpr_count:     18
    .sgpr_spill_count: 0
    .symbol:         _ZN5aiter24topk_softplus_kernel_optI6__halfS1_Li384ELb0ELi0EEEvPKT_PKT0_PfPimiif.kd
    .uniform_work_group_size: 1
    .uses_dynamic_stack: false
    .vgpr_count:     183
    .vgpr_spill_count: 300
    .wavefront_size: 32
    .workgroup_processor_mode: 1
  - .args:
      - .actual_access:  read_only
        .address_space:  global
        .offset:         0
        .size:           8
        .value_kind:     global_buffer
      - .actual_access:  read_only
        .address_space:  global
        .offset:         8
        .size:           8
        .value_kind:     global_buffer
      - .actual_access:  write_only
        .address_space:  global
        .offset:         16
        .size:           8
        .value_kind:     global_buffer
      - .actual_access:  write_only
        .address_space:  global
        .offset:         24
        .size:           8
        .value_kind:     global_buffer
      - .offset:         32
        .size:           8
        .value_kind:     by_value
      - .offset:         40
        .size:           4
        .value_kind:     by_value
      - .offset:         44
        .size:           4
        .value_kind:     by_value
      - .offset:         48
        .size:           4
        .value_kind:     by_value
      - .offset:         52
        .size:           4
        .value_kind:     by_value
      - .offset:         56
        .size:           4
        .value_kind:     hidden_block_count_x
      - .offset:         60
        .size:           4
        .value_kind:     hidden_block_count_y
      - .offset:         64
        .size:           4
        .value_kind:     hidden_block_count_z
      - .offset:         68
        .size:           2
        .value_kind:     hidden_group_size_x
      - .offset:         70
        .size:           2
        .value_kind:     hidden_group_size_y
      - .offset:         72
        .size:           2
        .value_kind:     hidden_group_size_z
      - .offset:         74
        .size:           2
        .value_kind:     hidden_remainder_x
      - .offset:         76
        .size:           2
        .value_kind:     hidden_remainder_y
      - .offset:         78
        .size:           2
        .value_kind:     hidden_remainder_z
      - .offset:         96
        .size:           8
        .value_kind:     hidden_global_offset_x
      - .offset:         104
        .size:           8
        .value_kind:     hidden_global_offset_y
      - .offset:         112
        .size:           8
        .value_kind:     hidden_global_offset_z
      - .offset:         120
        .size:           2
        .value_kind:     hidden_grid_dims
      - .offset:         176
        .size:           4
        .value_kind:     hidden_dynamic_lds_size
    .group_segment_fixed_size: 0
    .kernarg_segment_align: 8
    .kernarg_segment_size: 312
    .language:       OpenCL C
    .language_version:
      - 2
      - 0
    .max_flat_workgroup_size: 1024
    .name:           _ZN5aiter20topk_softplus_kernelI6__halfS1_Dv4_fLb1ELi0EEEvPKT_PKT0_PfPimiiif
    .private_segment_fixed_size: 0
    .sgpr_count:     34
    .sgpr_spill_count: 0
    .symbol:         _ZN5aiter20topk_softplus_kernelI6__halfS1_Dv4_fLb1ELi0EEEvPKT_PKT0_PfPimiiif.kd
    .uniform_work_group_size: 1
    .uses_dynamic_stack: false
    .vgpr_count:     20
    .vgpr_spill_count: 0
    .wavefront_size: 32
    .workgroup_processor_mode: 1
  - .args:
      - .actual_access:  read_only
        .address_space:  global
        .offset:         0
        .size:           8
        .value_kind:     global_buffer
      - .actual_access:  read_only
        .address_space:  global
        .offset:         8
        .size:           8
        .value_kind:     global_buffer
      - .actual_access:  write_only
        .address_space:  global
        .offset:         16
        .size:           8
        .value_kind:     global_buffer
      - .actual_access:  write_only
        .address_space:  global
        .offset:         24
        .size:           8
        .value_kind:     global_buffer
      - .offset:         32
        .size:           8
        .value_kind:     by_value
      - .offset:         40
        .size:           4
        .value_kind:     by_value
      - .offset:         44
        .size:           4
        .value_kind:     by_value
      - .offset:         48
        .size:           4
        .value_kind:     by_value
      - .offset:         52
        .size:           4
        .value_kind:     by_value
      - .offset:         56
        .size:           4
        .value_kind:     hidden_block_count_x
      - .offset:         60
        .size:           4
        .value_kind:     hidden_block_count_y
      - .offset:         64
        .size:           4
        .value_kind:     hidden_block_count_z
      - .offset:         68
        .size:           2
        .value_kind:     hidden_group_size_x
      - .offset:         70
        .size:           2
        .value_kind:     hidden_group_size_y
      - .offset:         72
        .size:           2
        .value_kind:     hidden_group_size_z
      - .offset:         74
        .size:           2
        .value_kind:     hidden_remainder_x
      - .offset:         76
        .size:           2
        .value_kind:     hidden_remainder_y
      - .offset:         78
        .size:           2
        .value_kind:     hidden_remainder_z
      - .offset:         96
        .size:           8
        .value_kind:     hidden_global_offset_x
      - .offset:         104
        .size:           8
        .value_kind:     hidden_global_offset_y
      - .offset:         112
        .size:           8
        .value_kind:     hidden_global_offset_z
      - .offset:         120
        .size:           2
        .value_kind:     hidden_grid_dims
      - .offset:         176
        .size:           4
        .value_kind:     hidden_dynamic_lds_size
    .group_segment_fixed_size: 0
    .kernarg_segment_align: 8
    .kernarg_segment_size: 312
    .language:       OpenCL C
    .language_version:
      - 2
      - 0
    .max_flat_workgroup_size: 1024
    .name:           _ZN5aiter20topk_softplus_kernelI6__halfS1_Dv4_fLb0ELi0EEEvPKT_PKT0_PfPimiiif
    .private_segment_fixed_size: 0
    .sgpr_count:     34
    .sgpr_spill_count: 0
    .symbol:         _ZN5aiter20topk_softplus_kernelI6__halfS1_Dv4_fLb0ELi0EEEvPKT_PKT0_PfPimiiif.kd
    .uniform_work_group_size: 1
    .uses_dynamic_stack: false
    .vgpr_count:     20
    .vgpr_spill_count: 0
    .wavefront_size: 32
    .workgroup_processor_mode: 1
  - .args:
      - .actual_access:  read_only
        .address_space:  global
        .offset:         0
        .size:           8
        .value_kind:     global_buffer
      - .actual_access:  read_only
        .address_space:  global
        .offset:         8
        .size:           8
        .value_kind:     global_buffer
      - .actual_access:  write_only
        .address_space:  global
        .offset:         16
        .size:           8
        .value_kind:     global_buffer
      - .actual_access:  write_only
        .address_space:  global
        .offset:         24
        .size:           8
        .value_kind:     global_buffer
      - .offset:         32
        .size:           8
        .value_kind:     by_value
      - .offset:         40
        .size:           4
        .value_kind:     by_value
      - .offset:         44
        .size:           4
        .value_kind:     by_value
      - .offset:         48
        .size:           4
        .value_kind:     by_value
      - .offset:         52
        .size:           4
        .value_kind:     by_value
      - .offset:         56
        .size:           4
        .value_kind:     hidden_block_count_x
      - .offset:         60
        .size:           4
        .value_kind:     hidden_block_count_y
      - .offset:         64
        .size:           4
        .value_kind:     hidden_block_count_z
      - .offset:         68
        .size:           2
        .value_kind:     hidden_group_size_x
      - .offset:         70
        .size:           2
        .value_kind:     hidden_group_size_y
      - .offset:         72
        .size:           2
        .value_kind:     hidden_group_size_z
      - .offset:         74
        .size:           2
        .value_kind:     hidden_remainder_x
      - .offset:         76
        .size:           2
        .value_kind:     hidden_remainder_y
      - .offset:         78
        .size:           2
        .value_kind:     hidden_remainder_z
      - .offset:         96
        .size:           8
        .value_kind:     hidden_global_offset_x
      - .offset:         104
        .size:           8
        .value_kind:     hidden_global_offset_y
      - .offset:         112
        .size:           8
        .value_kind:     hidden_global_offset_z
      - .offset:         120
        .size:           2
        .value_kind:     hidden_grid_dims
      - .offset:         176
        .size:           4
        .value_kind:     hidden_dynamic_lds_size
    .group_segment_fixed_size: 0
    .kernarg_segment_align: 8
    .kernarg_segment_size: 312
    .language:       OpenCL C
    .language_version:
      - 2
      - 0
    .max_flat_workgroup_size: 1024
    .name:           _ZN5aiter20topk_softplus_kernelI6__halfS1_Dv2_fLb1ELi0EEEvPKT_PKT0_PfPimiiif
    .private_segment_fixed_size: 0
    .sgpr_count:     25
    .sgpr_spill_count: 0
    .symbol:         _ZN5aiter20topk_softplus_kernelI6__halfS1_Dv2_fLb1ELi0EEEvPKT_PKT0_PfPimiiif.kd
    .uniform_work_group_size: 1
    .uses_dynamic_stack: false
    .vgpr_count:     15
    .vgpr_spill_count: 0
    .wavefront_size: 32
    .workgroup_processor_mode: 1
  - .args:
      - .actual_access:  read_only
        .address_space:  global
        .offset:         0
        .size:           8
        .value_kind:     global_buffer
      - .actual_access:  read_only
        .address_space:  global
        .offset:         8
        .size:           8
        .value_kind:     global_buffer
      - .actual_access:  write_only
        .address_space:  global
        .offset:         16
        .size:           8
        .value_kind:     global_buffer
      - .actual_access:  write_only
        .address_space:  global
        .offset:         24
        .size:           8
        .value_kind:     global_buffer
      - .offset:         32
        .size:           8
        .value_kind:     by_value
      - .offset:         40
        .size:           4
        .value_kind:     by_value
      - .offset:         44
        .size:           4
        .value_kind:     by_value
      - .offset:         48
        .size:           4
        .value_kind:     by_value
      - .offset:         52
        .size:           4
        .value_kind:     by_value
      - .offset:         56
        .size:           4
        .value_kind:     hidden_block_count_x
      - .offset:         60
        .size:           4
        .value_kind:     hidden_block_count_y
      - .offset:         64
        .size:           4
        .value_kind:     hidden_block_count_z
      - .offset:         68
        .size:           2
        .value_kind:     hidden_group_size_x
      - .offset:         70
        .size:           2
        .value_kind:     hidden_group_size_y
      - .offset:         72
        .size:           2
        .value_kind:     hidden_group_size_z
      - .offset:         74
        .size:           2
        .value_kind:     hidden_remainder_x
      - .offset:         76
        .size:           2
        .value_kind:     hidden_remainder_y
      - .offset:         78
        .size:           2
        .value_kind:     hidden_remainder_z
      - .offset:         96
        .size:           8
        .value_kind:     hidden_global_offset_x
      - .offset:         104
        .size:           8
        .value_kind:     hidden_global_offset_y
      - .offset:         112
        .size:           8
        .value_kind:     hidden_global_offset_z
      - .offset:         120
        .size:           2
        .value_kind:     hidden_grid_dims
      - .offset:         176
        .size:           4
        .value_kind:     hidden_dynamic_lds_size
    .group_segment_fixed_size: 0
    .kernarg_segment_align: 8
    .kernarg_segment_size: 312
    .language:       OpenCL C
    .language_version:
      - 2
      - 0
    .max_flat_workgroup_size: 1024
    .name:           _ZN5aiter20topk_softplus_kernelI6__halfS1_Dv2_fLb0ELi0EEEvPKT_PKT0_PfPimiiif
    .private_segment_fixed_size: 0
    .sgpr_count:     25
    .sgpr_spill_count: 0
    .symbol:         _ZN5aiter20topk_softplus_kernelI6__halfS1_Dv2_fLb0ELi0EEEvPKT_PKT0_PfPimiiif.kd
    .uniform_work_group_size: 1
    .uses_dynamic_stack: false
    .vgpr_count:     14
    .vgpr_spill_count: 0
    .wavefront_size: 32
    .workgroup_processor_mode: 1
  - .args:
      - .actual_access:  read_only
        .address_space:  global
        .offset:         0
        .size:           8
        .value_kind:     global_buffer
      - .actual_access:  read_only
        .address_space:  global
        .offset:         8
        .size:           8
        .value_kind:     global_buffer
      - .actual_access:  write_only
        .address_space:  global
        .offset:         16
        .size:           8
        .value_kind:     global_buffer
      - .actual_access:  write_only
        .address_space:  global
        .offset:         24
        .size:           8
        .value_kind:     global_buffer
      - .offset:         32
        .size:           8
        .value_kind:     by_value
      - .offset:         40
        .size:           4
        .value_kind:     by_value
      - .offset:         44
        .size:           4
        .value_kind:     by_value
      - .offset:         48
        .size:           4
        .value_kind:     by_value
      - .offset:         52
        .size:           4
        .value_kind:     by_value
      - .offset:         56
        .size:           4
        .value_kind:     hidden_block_count_x
      - .offset:         60
        .size:           4
        .value_kind:     hidden_block_count_y
      - .offset:         64
        .size:           4
        .value_kind:     hidden_block_count_z
      - .offset:         68
        .size:           2
        .value_kind:     hidden_group_size_x
      - .offset:         70
        .size:           2
        .value_kind:     hidden_group_size_y
      - .offset:         72
        .size:           2
        .value_kind:     hidden_group_size_z
      - .offset:         74
        .size:           2
        .value_kind:     hidden_remainder_x
      - .offset:         76
        .size:           2
        .value_kind:     hidden_remainder_y
      - .offset:         78
        .size:           2
        .value_kind:     hidden_remainder_z
      - .offset:         96
        .size:           8
        .value_kind:     hidden_global_offset_x
      - .offset:         104
        .size:           8
        .value_kind:     hidden_global_offset_y
      - .offset:         112
        .size:           8
        .value_kind:     hidden_global_offset_z
      - .offset:         120
        .size:           2
        .value_kind:     hidden_grid_dims
      - .offset:         176
        .size:           4
        .value_kind:     hidden_dynamic_lds_size
    .group_segment_fixed_size: 0
    .kernarg_segment_align: 8
    .kernarg_segment_size: 312
    .language:       OpenCL C
    .language_version:
      - 2
      - 0
    .max_flat_workgroup_size: 1024
    .name:           _ZN5aiter20topk_softplus_kernelI6__halfS1_Dv1_fLb1ELi0EEEvPKT_PKT0_PfPimiiif
    .private_segment_fixed_size: 0
    .sgpr_count:     24
    .sgpr_spill_count: 0
    .symbol:         _ZN5aiter20topk_softplus_kernelI6__halfS1_Dv1_fLb1ELi0EEEvPKT_PKT0_PfPimiiif.kd
    .uniform_work_group_size: 1
    .uses_dynamic_stack: false
    .vgpr_count:     12
    .vgpr_spill_count: 0
    .wavefront_size: 32
    .workgroup_processor_mode: 1
  - .args:
      - .actual_access:  read_only
        .address_space:  global
        .offset:         0
        .size:           8
        .value_kind:     global_buffer
      - .actual_access:  read_only
        .address_space:  global
        .offset:         8
        .size:           8
        .value_kind:     global_buffer
      - .actual_access:  write_only
        .address_space:  global
        .offset:         16
        .size:           8
        .value_kind:     global_buffer
      - .actual_access:  write_only
        .address_space:  global
        .offset:         24
        .size:           8
        .value_kind:     global_buffer
      - .offset:         32
        .size:           8
        .value_kind:     by_value
      - .offset:         40
        .size:           4
        .value_kind:     by_value
      - .offset:         44
        .size:           4
        .value_kind:     by_value
      - .offset:         48
        .size:           4
        .value_kind:     by_value
      - .offset:         52
        .size:           4
        .value_kind:     by_value
      - .offset:         56
        .size:           4
        .value_kind:     hidden_block_count_x
      - .offset:         60
        .size:           4
        .value_kind:     hidden_block_count_y
      - .offset:         64
        .size:           4
        .value_kind:     hidden_block_count_z
      - .offset:         68
        .size:           2
        .value_kind:     hidden_group_size_x
      - .offset:         70
        .size:           2
        .value_kind:     hidden_group_size_y
      - .offset:         72
        .size:           2
        .value_kind:     hidden_group_size_z
      - .offset:         74
        .size:           2
        .value_kind:     hidden_remainder_x
      - .offset:         76
        .size:           2
        .value_kind:     hidden_remainder_y
      - .offset:         78
        .size:           2
        .value_kind:     hidden_remainder_z
      - .offset:         96
        .size:           8
        .value_kind:     hidden_global_offset_x
      - .offset:         104
        .size:           8
        .value_kind:     hidden_global_offset_y
      - .offset:         112
        .size:           8
        .value_kind:     hidden_global_offset_z
      - .offset:         120
        .size:           2
        .value_kind:     hidden_grid_dims
      - .offset:         176
        .size:           4
        .value_kind:     hidden_dynamic_lds_size
    .group_segment_fixed_size: 0
    .kernarg_segment_align: 8
    .kernarg_segment_size: 312
    .language:       OpenCL C
    .language_version:
      - 2
      - 0
    .max_flat_workgroup_size: 1024
    .name:           _ZN5aiter20topk_softplus_kernelI6__halfS1_Dv1_fLb0ELi0EEEvPKT_PKT0_PfPimiiif
    .private_segment_fixed_size: 0
    .sgpr_count:     24
    .sgpr_spill_count: 0
    .symbol:         _ZN5aiter20topk_softplus_kernelI6__halfS1_Dv1_fLb0ELi0EEEvPKT_PKT0_PfPimiiif.kd
    .uniform_work_group_size: 1
    .uses_dynamic_stack: false
    .vgpr_count:     12
    .vgpr_spill_count: 0
    .wavefront_size: 32
    .workgroup_processor_mode: 1
  - .args:
      - .actual_access:  read_only
        .address_space:  global
        .offset:         0
        .size:           8
        .value_kind:     global_buffer
      - .actual_access:  read_only
        .address_space:  global
        .offset:         8
        .size:           8
        .value_kind:     global_buffer
      - .actual_access:  write_only
        .address_space:  global
        .offset:         16
        .size:           8
        .value_kind:     global_buffer
      - .actual_access:  write_only
        .address_space:  global
        .offset:         24
        .size:           8
        .value_kind:     global_buffer
      - .offset:         32
        .size:           8
        .value_kind:     by_value
      - .offset:         40
        .size:           4
        .value_kind:     by_value
      - .offset:         44
        .size:           4
        .value_kind:     by_value
      - .offset:         48
        .size:           4
        .value_kind:     by_value
    .group_segment_fixed_size: 0
    .kernarg_segment_align: 8
    .kernarg_segment_size: 52
    .language:       OpenCL C
    .language_version:
      - 2
      - 0
    .max_flat_workgroup_size: 1024
    .name:           _ZN5aiter24topk_softplus_kernel_optI6__half12hip_bfloat16Li64ELb1ELi1EEEvPKT_PKT0_PfPimiif
    .private_segment_fixed_size: 0
    .sgpr_count:     18
    .sgpr_spill_count: 0
    .symbol:         _ZN5aiter24topk_softplus_kernel_optI6__half12hip_bfloat16Li64ELb1ELi1EEEvPKT_PKT0_PfPimiif.kd
    .uniform_work_group_size: 1
    .uses_dynamic_stack: false
    .vgpr_count:     17
    .vgpr_spill_count: 0
    .wavefront_size: 32
    .workgroup_processor_mode: 1
  - .args:
      - .actual_access:  read_only
        .address_space:  global
        .offset:         0
        .size:           8
        .value_kind:     global_buffer
      - .actual_access:  read_only
        .address_space:  global
        .offset:         8
        .size:           8
        .value_kind:     global_buffer
      - .actual_access:  write_only
        .address_space:  global
        .offset:         16
        .size:           8
        .value_kind:     global_buffer
      - .actual_access:  write_only
        .address_space:  global
        .offset:         24
        .size:           8
        .value_kind:     global_buffer
      - .offset:         32
        .size:           8
        .value_kind:     by_value
      - .offset:         40
        .size:           4
        .value_kind:     by_value
      - .offset:         44
        .size:           4
        .value_kind:     by_value
      - .offset:         48
        .size:           4
        .value_kind:     by_value
    .group_segment_fixed_size: 0
    .kernarg_segment_align: 8
    .kernarg_segment_size: 52
    .language:       OpenCL C
    .language_version:
      - 2
      - 0
    .max_flat_workgroup_size: 1024
    .name:           _ZN5aiter24topk_softplus_kernel_optI6__half12hip_bfloat16Li64ELb0ELi1EEEvPKT_PKT0_PfPimiif
    .private_segment_fixed_size: 0
    .sgpr_count:     18
    .sgpr_spill_count: 0
    .symbol:         _ZN5aiter24topk_softplus_kernel_optI6__half12hip_bfloat16Li64ELb0ELi1EEEvPKT_PKT0_PfPimiif.kd
    .uniform_work_group_size: 1
    .uses_dynamic_stack: false
    .vgpr_count:     14
    .vgpr_spill_count: 0
    .wavefront_size: 32
    .workgroup_processor_mode: 1
  - .args:
      - .actual_access:  read_only
        .address_space:  global
        .offset:         0
        .size:           8
        .value_kind:     global_buffer
      - .actual_access:  read_only
        .address_space:  global
        .offset:         8
        .size:           8
        .value_kind:     global_buffer
      - .actual_access:  write_only
        .address_space:  global
        .offset:         16
        .size:           8
        .value_kind:     global_buffer
      - .actual_access:  write_only
        .address_space:  global
        .offset:         24
        .size:           8
        .value_kind:     global_buffer
      - .offset:         32
        .size:           8
        .value_kind:     by_value
      - .offset:         40
        .size:           4
        .value_kind:     by_value
      - .offset:         44
        .size:           4
        .value_kind:     by_value
      - .offset:         48
        .size:           4
        .value_kind:     by_value
    .group_segment_fixed_size: 0
    .kernarg_segment_align: 8
    .kernarg_segment_size: 52
    .language:       OpenCL C
    .language_version:
      - 2
      - 0
    .max_flat_workgroup_size: 1024
    .name:           _ZN5aiter24topk_softplus_kernel_optI6__half12hip_bfloat16Li128ELb1ELi1EEEvPKT_PKT0_PfPimiif
    .private_segment_fixed_size: 0
    .sgpr_count:     18
    .sgpr_spill_count: 0
    .symbol:         _ZN5aiter24topk_softplus_kernel_optI6__half12hip_bfloat16Li128ELb1ELi1EEEvPKT_PKT0_PfPimiif.kd
    .uniform_work_group_size: 1
    .uses_dynamic_stack: false
    .vgpr_count:     24
    .vgpr_spill_count: 0
    .wavefront_size: 32
    .workgroup_processor_mode: 1
  - .args:
      - .actual_access:  read_only
        .address_space:  global
        .offset:         0
        .size:           8
        .value_kind:     global_buffer
      - .actual_access:  read_only
        .address_space:  global
        .offset:         8
        .size:           8
        .value_kind:     global_buffer
      - .actual_access:  write_only
        .address_space:  global
        .offset:         16
        .size:           8
        .value_kind:     global_buffer
      - .actual_access:  write_only
        .address_space:  global
        .offset:         24
        .size:           8
        .value_kind:     global_buffer
      - .offset:         32
        .size:           8
        .value_kind:     by_value
      - .offset:         40
        .size:           4
        .value_kind:     by_value
      - .offset:         44
        .size:           4
        .value_kind:     by_value
      - .offset:         48
        .size:           4
        .value_kind:     by_value
    .group_segment_fixed_size: 0
    .kernarg_segment_align: 8
    .kernarg_segment_size: 52
    .language:       OpenCL C
    .language_version:
      - 2
      - 0
    .max_flat_workgroup_size: 1024
    .name:           _ZN5aiter24topk_softplus_kernel_optI6__half12hip_bfloat16Li128ELb0ELi1EEEvPKT_PKT0_PfPimiif
    .private_segment_fixed_size: 0
    .sgpr_count:     18
    .sgpr_spill_count: 0
    .symbol:         _ZN5aiter24topk_softplus_kernel_optI6__half12hip_bfloat16Li128ELb0ELi1EEEvPKT_PKT0_PfPimiif.kd
    .uniform_work_group_size: 1
    .uses_dynamic_stack: false
    .vgpr_count:     22
    .vgpr_spill_count: 0
    .wavefront_size: 32
    .workgroup_processor_mode: 1
  - .args:
      - .actual_access:  read_only
        .address_space:  global
        .offset:         0
        .size:           8
        .value_kind:     global_buffer
      - .actual_access:  read_only
        .address_space:  global
        .offset:         8
        .size:           8
        .value_kind:     global_buffer
      - .actual_access:  write_only
        .address_space:  global
        .offset:         16
        .size:           8
        .value_kind:     global_buffer
      - .actual_access:  write_only
        .address_space:  global
        .offset:         24
        .size:           8
        .value_kind:     global_buffer
      - .offset:         32
        .size:           8
        .value_kind:     by_value
      - .offset:         40
        .size:           4
        .value_kind:     by_value
      - .offset:         44
        .size:           4
        .value_kind:     by_value
      - .offset:         48
        .size:           4
        .value_kind:     by_value
    .group_segment_fixed_size: 0
    .kernarg_segment_align: 8
    .kernarg_segment_size: 52
    .language:       OpenCL C
    .language_version:
      - 2
      - 0
    .max_flat_workgroup_size: 1024
    .name:           _ZN5aiter24topk_softplus_kernel_optI6__half12hip_bfloat16Li256ELb1ELi1EEEvPKT_PKT0_PfPimiif
    .private_segment_fixed_size: 0
    .sgpr_count:     18
    .sgpr_spill_count: 0
    .symbol:         _ZN5aiter24topk_softplus_kernel_optI6__half12hip_bfloat16Li256ELb1ELi1EEEvPKT_PKT0_PfPimiif.kd
    .uniform_work_group_size: 1
    .uses_dynamic_stack: false
    .vgpr_count:     103
    .vgpr_spill_count: 0
    .wavefront_size: 32
    .workgroup_processor_mode: 1
  - .args:
      - .actual_access:  read_only
        .address_space:  global
        .offset:         0
        .size:           8
        .value_kind:     global_buffer
      - .actual_access:  read_only
        .address_space:  global
        .offset:         8
        .size:           8
        .value_kind:     global_buffer
      - .actual_access:  write_only
        .address_space:  global
        .offset:         16
        .size:           8
        .value_kind:     global_buffer
      - .actual_access:  write_only
        .address_space:  global
        .offset:         24
        .size:           8
        .value_kind:     global_buffer
      - .offset:         32
        .size:           8
        .value_kind:     by_value
      - .offset:         40
        .size:           4
        .value_kind:     by_value
      - .offset:         44
        .size:           4
        .value_kind:     by_value
      - .offset:         48
        .size:           4
        .value_kind:     by_value
    .group_segment_fixed_size: 0
    .kernarg_segment_align: 8
    .kernarg_segment_size: 52
    .language:       OpenCL C
    .language_version:
      - 2
      - 0
    .max_flat_workgroup_size: 1024
    .name:           _ZN5aiter24topk_softplus_kernel_optI6__half12hip_bfloat16Li256ELb0ELi1EEEvPKT_PKT0_PfPimiif
    .private_segment_fixed_size: 0
    .sgpr_count:     18
    .sgpr_spill_count: 0
    .symbol:         _ZN5aiter24topk_softplus_kernel_optI6__half12hip_bfloat16Li256ELb0ELi1EEEvPKT_PKT0_PfPimiif.kd
    .uniform_work_group_size: 1
    .uses_dynamic_stack: false
    .vgpr_count:     103
    .vgpr_spill_count: 0
    .wavefront_size: 32
    .workgroup_processor_mode: 1
  - .args:
      - .actual_access:  read_only
        .address_space:  global
        .offset:         0
        .size:           8
        .value_kind:     global_buffer
      - .actual_access:  read_only
        .address_space:  global
        .offset:         8
        .size:           8
        .value_kind:     global_buffer
      - .actual_access:  write_only
        .address_space:  global
        .offset:         16
        .size:           8
        .value_kind:     global_buffer
      - .actual_access:  write_only
        .address_space:  global
        .offset:         24
        .size:           8
        .value_kind:     global_buffer
      - .offset:         32
        .size:           8
        .value_kind:     by_value
      - .offset:         40
        .size:           4
        .value_kind:     by_value
      - .offset:         44
        .size:           4
        .value_kind:     by_value
      - .offset:         48
        .size:           4
        .value_kind:     by_value
    .group_segment_fixed_size: 0
    .kernarg_segment_align: 8
    .kernarg_segment_size: 52
    .language:       OpenCL C
    .language_version:
      - 2
      - 0
    .max_flat_workgroup_size: 1024
    .name:           _ZN5aiter24topk_softplus_kernel_optI6__half12hip_bfloat16Li384ELb1ELi1EEEvPKT_PKT0_PfPimiif
    .private_segment_fixed_size: 196
    .sgpr_count:     18
    .sgpr_spill_count: 0
    .symbol:         _ZN5aiter24topk_softplus_kernel_optI6__half12hip_bfloat16Li384ELb1ELi1EEEvPKT_PKT0_PfPimiif.kd
    .uniform_work_group_size: 1
    .uses_dynamic_stack: false
    .vgpr_count:     183
    .vgpr_spill_count: 300
    .wavefront_size: 32
    .workgroup_processor_mode: 1
  - .args:
      - .actual_access:  read_only
        .address_space:  global
        .offset:         0
        .size:           8
        .value_kind:     global_buffer
      - .actual_access:  read_only
        .address_space:  global
        .offset:         8
        .size:           8
        .value_kind:     global_buffer
      - .actual_access:  write_only
        .address_space:  global
        .offset:         16
        .size:           8
        .value_kind:     global_buffer
      - .actual_access:  write_only
        .address_space:  global
        .offset:         24
        .size:           8
        .value_kind:     global_buffer
      - .offset:         32
        .size:           8
        .value_kind:     by_value
      - .offset:         40
        .size:           4
        .value_kind:     by_value
      - .offset:         44
        .size:           4
        .value_kind:     by_value
      - .offset:         48
        .size:           4
        .value_kind:     by_value
    .group_segment_fixed_size: 0
    .kernarg_segment_align: 8
    .kernarg_segment_size: 52
    .language:       OpenCL C
    .language_version:
      - 2
      - 0
    .max_flat_workgroup_size: 1024
    .name:           _ZN5aiter24topk_softplus_kernel_optI6__half12hip_bfloat16Li384ELb0ELi1EEEvPKT_PKT0_PfPimiif
    .private_segment_fixed_size: 196
    .sgpr_count:     18
    .sgpr_spill_count: 0
    .symbol:         _ZN5aiter24topk_softplus_kernel_optI6__half12hip_bfloat16Li384ELb0ELi1EEEvPKT_PKT0_PfPimiif.kd
    .uniform_work_group_size: 1
    .uses_dynamic_stack: false
    .vgpr_count:     183
    .vgpr_spill_count: 300
    .wavefront_size: 32
    .workgroup_processor_mode: 1
  - .args:
      - .actual_access:  read_only
        .address_space:  global
        .offset:         0
        .size:           8
        .value_kind:     global_buffer
      - .actual_access:  read_only
        .address_space:  global
        .offset:         8
        .size:           8
        .value_kind:     global_buffer
      - .actual_access:  write_only
        .address_space:  global
        .offset:         16
        .size:           8
        .value_kind:     global_buffer
      - .actual_access:  write_only
        .address_space:  global
        .offset:         24
        .size:           8
        .value_kind:     global_buffer
      - .offset:         32
        .size:           8
        .value_kind:     by_value
      - .offset:         40
        .size:           4
        .value_kind:     by_value
      - .offset:         44
        .size:           4
        .value_kind:     by_value
      - .offset:         48
        .size:           4
        .value_kind:     by_value
      - .offset:         52
        .size:           4
        .value_kind:     by_value
      - .offset:         56
        .size:           4
        .value_kind:     hidden_block_count_x
      - .offset:         60
        .size:           4
        .value_kind:     hidden_block_count_y
      - .offset:         64
        .size:           4
        .value_kind:     hidden_block_count_z
      - .offset:         68
        .size:           2
        .value_kind:     hidden_group_size_x
      - .offset:         70
        .size:           2
        .value_kind:     hidden_group_size_y
      - .offset:         72
        .size:           2
        .value_kind:     hidden_group_size_z
      - .offset:         74
        .size:           2
        .value_kind:     hidden_remainder_x
      - .offset:         76
        .size:           2
        .value_kind:     hidden_remainder_y
      - .offset:         78
        .size:           2
        .value_kind:     hidden_remainder_z
      - .offset:         96
        .size:           8
        .value_kind:     hidden_global_offset_x
      - .offset:         104
        .size:           8
        .value_kind:     hidden_global_offset_y
      - .offset:         112
        .size:           8
        .value_kind:     hidden_global_offset_z
      - .offset:         120
        .size:           2
        .value_kind:     hidden_grid_dims
      - .offset:         176
        .size:           4
        .value_kind:     hidden_dynamic_lds_size
    .group_segment_fixed_size: 0
    .kernarg_segment_align: 8
    .kernarg_segment_size: 312
    .language:       OpenCL C
    .language_version:
      - 2
      - 0
    .max_flat_workgroup_size: 1024
    .name:           _ZN5aiter20topk_softplus_kernelI6__half12hip_bfloat16Dv4_fLb1ELi1EEEvPKT_PKT0_PfPimiiif
    .private_segment_fixed_size: 0
    .sgpr_count:     34
    .sgpr_spill_count: 0
    .symbol:         _ZN5aiter20topk_softplus_kernelI6__half12hip_bfloat16Dv4_fLb1ELi1EEEvPKT_PKT0_PfPimiiif.kd
    .uniform_work_group_size: 1
    .uses_dynamic_stack: false
    .vgpr_count:     17
    .vgpr_spill_count: 0
    .wavefront_size: 32
    .workgroup_processor_mode: 1
  - .args:
      - .actual_access:  read_only
        .address_space:  global
        .offset:         0
        .size:           8
        .value_kind:     global_buffer
      - .actual_access:  read_only
        .address_space:  global
        .offset:         8
        .size:           8
        .value_kind:     global_buffer
      - .actual_access:  write_only
        .address_space:  global
        .offset:         16
        .size:           8
        .value_kind:     global_buffer
      - .actual_access:  write_only
        .address_space:  global
        .offset:         24
        .size:           8
        .value_kind:     global_buffer
      - .offset:         32
        .size:           8
        .value_kind:     by_value
      - .offset:         40
        .size:           4
        .value_kind:     by_value
      - .offset:         44
        .size:           4
        .value_kind:     by_value
      - .offset:         48
        .size:           4
        .value_kind:     by_value
      - .offset:         52
        .size:           4
        .value_kind:     by_value
      - .offset:         56
        .size:           4
        .value_kind:     hidden_block_count_x
      - .offset:         60
        .size:           4
        .value_kind:     hidden_block_count_y
      - .offset:         64
        .size:           4
        .value_kind:     hidden_block_count_z
      - .offset:         68
        .size:           2
        .value_kind:     hidden_group_size_x
      - .offset:         70
        .size:           2
        .value_kind:     hidden_group_size_y
      - .offset:         72
        .size:           2
        .value_kind:     hidden_group_size_z
      - .offset:         74
        .size:           2
        .value_kind:     hidden_remainder_x
      - .offset:         76
        .size:           2
        .value_kind:     hidden_remainder_y
      - .offset:         78
        .size:           2
        .value_kind:     hidden_remainder_z
      - .offset:         96
        .size:           8
        .value_kind:     hidden_global_offset_x
      - .offset:         104
        .size:           8
        .value_kind:     hidden_global_offset_y
      - .offset:         112
        .size:           8
        .value_kind:     hidden_global_offset_z
      - .offset:         120
        .size:           2
        .value_kind:     hidden_grid_dims
      - .offset:         176
        .size:           4
        .value_kind:     hidden_dynamic_lds_size
    .group_segment_fixed_size: 0
    .kernarg_segment_align: 8
    .kernarg_segment_size: 312
    .language:       OpenCL C
    .language_version:
      - 2
      - 0
    .max_flat_workgroup_size: 1024
    .name:           _ZN5aiter20topk_softplus_kernelI6__half12hip_bfloat16Dv4_fLb0ELi1EEEvPKT_PKT0_PfPimiiif
    .private_segment_fixed_size: 0
    .sgpr_count:     34
    .sgpr_spill_count: 0
    .symbol:         _ZN5aiter20topk_softplus_kernelI6__half12hip_bfloat16Dv4_fLb0ELi1EEEvPKT_PKT0_PfPimiiif.kd
    .uniform_work_group_size: 1
    .uses_dynamic_stack: false
    .vgpr_count:     17
    .vgpr_spill_count: 0
    .wavefront_size: 32
    .workgroup_processor_mode: 1
  - .args:
      - .actual_access:  read_only
        .address_space:  global
        .offset:         0
        .size:           8
        .value_kind:     global_buffer
      - .actual_access:  read_only
        .address_space:  global
        .offset:         8
        .size:           8
        .value_kind:     global_buffer
      - .actual_access:  write_only
        .address_space:  global
        .offset:         16
        .size:           8
        .value_kind:     global_buffer
      - .actual_access:  write_only
        .address_space:  global
        .offset:         24
        .size:           8
        .value_kind:     global_buffer
      - .offset:         32
        .size:           8
        .value_kind:     by_value
      - .offset:         40
        .size:           4
        .value_kind:     by_value
      - .offset:         44
        .size:           4
        .value_kind:     by_value
      - .offset:         48
        .size:           4
        .value_kind:     by_value
      - .offset:         52
        .size:           4
        .value_kind:     by_value
      - .offset:         56
        .size:           4
        .value_kind:     hidden_block_count_x
      - .offset:         60
        .size:           4
        .value_kind:     hidden_block_count_y
      - .offset:         64
        .size:           4
        .value_kind:     hidden_block_count_z
      - .offset:         68
        .size:           2
        .value_kind:     hidden_group_size_x
      - .offset:         70
        .size:           2
        .value_kind:     hidden_group_size_y
      - .offset:         72
        .size:           2
        .value_kind:     hidden_group_size_z
      - .offset:         74
        .size:           2
        .value_kind:     hidden_remainder_x
      - .offset:         76
        .size:           2
        .value_kind:     hidden_remainder_y
      - .offset:         78
        .size:           2
        .value_kind:     hidden_remainder_z
      - .offset:         96
        .size:           8
        .value_kind:     hidden_global_offset_x
      - .offset:         104
        .size:           8
        .value_kind:     hidden_global_offset_y
      - .offset:         112
        .size:           8
        .value_kind:     hidden_global_offset_z
      - .offset:         120
        .size:           2
        .value_kind:     hidden_grid_dims
      - .offset:         176
        .size:           4
        .value_kind:     hidden_dynamic_lds_size
    .group_segment_fixed_size: 0
    .kernarg_segment_align: 8
    .kernarg_segment_size: 312
    .language:       OpenCL C
    .language_version:
      - 2
      - 0
    .max_flat_workgroup_size: 1024
    .name:           _ZN5aiter20topk_softplus_kernelI6__half12hip_bfloat16Dv2_fLb1ELi1EEEvPKT_PKT0_PfPimiiif
    .private_segment_fixed_size: 0
    .sgpr_count:     25
    .sgpr_spill_count: 0
    .symbol:         _ZN5aiter20topk_softplus_kernelI6__half12hip_bfloat16Dv2_fLb1ELi1EEEvPKT_PKT0_PfPimiiif.kd
    .uniform_work_group_size: 1
    .uses_dynamic_stack: false
    .vgpr_count:     15
    .vgpr_spill_count: 0
    .wavefront_size: 32
    .workgroup_processor_mode: 1
  - .args:
      - .actual_access:  read_only
        .address_space:  global
        .offset:         0
        .size:           8
        .value_kind:     global_buffer
      - .actual_access:  read_only
        .address_space:  global
        .offset:         8
        .size:           8
        .value_kind:     global_buffer
      - .actual_access:  write_only
        .address_space:  global
        .offset:         16
        .size:           8
        .value_kind:     global_buffer
      - .actual_access:  write_only
        .address_space:  global
        .offset:         24
        .size:           8
        .value_kind:     global_buffer
      - .offset:         32
        .size:           8
        .value_kind:     by_value
      - .offset:         40
        .size:           4
        .value_kind:     by_value
      - .offset:         44
        .size:           4
        .value_kind:     by_value
      - .offset:         48
        .size:           4
        .value_kind:     by_value
      - .offset:         52
        .size:           4
        .value_kind:     by_value
      - .offset:         56
        .size:           4
        .value_kind:     hidden_block_count_x
      - .offset:         60
        .size:           4
        .value_kind:     hidden_block_count_y
      - .offset:         64
        .size:           4
        .value_kind:     hidden_block_count_z
      - .offset:         68
        .size:           2
        .value_kind:     hidden_group_size_x
      - .offset:         70
        .size:           2
        .value_kind:     hidden_group_size_y
      - .offset:         72
        .size:           2
        .value_kind:     hidden_group_size_z
      - .offset:         74
        .size:           2
        .value_kind:     hidden_remainder_x
      - .offset:         76
        .size:           2
        .value_kind:     hidden_remainder_y
      - .offset:         78
        .size:           2
        .value_kind:     hidden_remainder_z
      - .offset:         96
        .size:           8
        .value_kind:     hidden_global_offset_x
      - .offset:         104
        .size:           8
        .value_kind:     hidden_global_offset_y
      - .offset:         112
        .size:           8
        .value_kind:     hidden_global_offset_z
      - .offset:         120
        .size:           2
        .value_kind:     hidden_grid_dims
      - .offset:         176
        .size:           4
        .value_kind:     hidden_dynamic_lds_size
    .group_segment_fixed_size: 0
    .kernarg_segment_align: 8
    .kernarg_segment_size: 312
    .language:       OpenCL C
    .language_version:
      - 2
      - 0
    .max_flat_workgroup_size: 1024
    .name:           _ZN5aiter20topk_softplus_kernelI6__half12hip_bfloat16Dv2_fLb0ELi1EEEvPKT_PKT0_PfPimiiif
    .private_segment_fixed_size: 0
    .sgpr_count:     25
    .sgpr_spill_count: 0
    .symbol:         _ZN5aiter20topk_softplus_kernelI6__half12hip_bfloat16Dv2_fLb0ELi1EEEvPKT_PKT0_PfPimiiif.kd
    .uniform_work_group_size: 1
    .uses_dynamic_stack: false
    .vgpr_count:     14
    .vgpr_spill_count: 0
    .wavefront_size: 32
    .workgroup_processor_mode: 1
  - .args:
      - .actual_access:  read_only
        .address_space:  global
        .offset:         0
        .size:           8
        .value_kind:     global_buffer
      - .actual_access:  read_only
        .address_space:  global
        .offset:         8
        .size:           8
        .value_kind:     global_buffer
      - .actual_access:  write_only
        .address_space:  global
        .offset:         16
        .size:           8
        .value_kind:     global_buffer
      - .actual_access:  write_only
        .address_space:  global
        .offset:         24
        .size:           8
        .value_kind:     global_buffer
      - .offset:         32
        .size:           8
        .value_kind:     by_value
      - .offset:         40
        .size:           4
        .value_kind:     by_value
      - .offset:         44
        .size:           4
        .value_kind:     by_value
      - .offset:         48
        .size:           4
        .value_kind:     by_value
      - .offset:         52
        .size:           4
        .value_kind:     by_value
      - .offset:         56
        .size:           4
        .value_kind:     hidden_block_count_x
      - .offset:         60
        .size:           4
        .value_kind:     hidden_block_count_y
      - .offset:         64
        .size:           4
        .value_kind:     hidden_block_count_z
      - .offset:         68
        .size:           2
        .value_kind:     hidden_group_size_x
      - .offset:         70
        .size:           2
        .value_kind:     hidden_group_size_y
      - .offset:         72
        .size:           2
        .value_kind:     hidden_group_size_z
      - .offset:         74
        .size:           2
        .value_kind:     hidden_remainder_x
      - .offset:         76
        .size:           2
        .value_kind:     hidden_remainder_y
      - .offset:         78
        .size:           2
        .value_kind:     hidden_remainder_z
      - .offset:         96
        .size:           8
        .value_kind:     hidden_global_offset_x
      - .offset:         104
        .size:           8
        .value_kind:     hidden_global_offset_y
      - .offset:         112
        .size:           8
        .value_kind:     hidden_global_offset_z
      - .offset:         120
        .size:           2
        .value_kind:     hidden_grid_dims
      - .offset:         176
        .size:           4
        .value_kind:     hidden_dynamic_lds_size
    .group_segment_fixed_size: 0
    .kernarg_segment_align: 8
    .kernarg_segment_size: 312
    .language:       OpenCL C
    .language_version:
      - 2
      - 0
    .max_flat_workgroup_size: 1024
    .name:           _ZN5aiter20topk_softplus_kernelI6__half12hip_bfloat16Dv1_fLb1ELi1EEEvPKT_PKT0_PfPimiiif
    .private_segment_fixed_size: 0
    .sgpr_count:     24
    .sgpr_spill_count: 0
    .symbol:         _ZN5aiter20topk_softplus_kernelI6__half12hip_bfloat16Dv1_fLb1ELi1EEEvPKT_PKT0_PfPimiiif.kd
    .uniform_work_group_size: 1
    .uses_dynamic_stack: false
    .vgpr_count:     12
    .vgpr_spill_count: 0
    .wavefront_size: 32
    .workgroup_processor_mode: 1
  - .args:
      - .actual_access:  read_only
        .address_space:  global
        .offset:         0
        .size:           8
        .value_kind:     global_buffer
      - .actual_access:  read_only
        .address_space:  global
        .offset:         8
        .size:           8
        .value_kind:     global_buffer
      - .actual_access:  write_only
        .address_space:  global
        .offset:         16
        .size:           8
        .value_kind:     global_buffer
      - .actual_access:  write_only
        .address_space:  global
        .offset:         24
        .size:           8
        .value_kind:     global_buffer
      - .offset:         32
        .size:           8
        .value_kind:     by_value
      - .offset:         40
        .size:           4
        .value_kind:     by_value
      - .offset:         44
        .size:           4
        .value_kind:     by_value
      - .offset:         48
        .size:           4
        .value_kind:     by_value
      - .offset:         52
        .size:           4
        .value_kind:     by_value
      - .offset:         56
        .size:           4
        .value_kind:     hidden_block_count_x
      - .offset:         60
        .size:           4
        .value_kind:     hidden_block_count_y
      - .offset:         64
        .size:           4
        .value_kind:     hidden_block_count_z
      - .offset:         68
        .size:           2
        .value_kind:     hidden_group_size_x
      - .offset:         70
        .size:           2
        .value_kind:     hidden_group_size_y
      - .offset:         72
        .size:           2
        .value_kind:     hidden_group_size_z
      - .offset:         74
        .size:           2
        .value_kind:     hidden_remainder_x
      - .offset:         76
        .size:           2
        .value_kind:     hidden_remainder_y
      - .offset:         78
        .size:           2
        .value_kind:     hidden_remainder_z
      - .offset:         96
        .size:           8
        .value_kind:     hidden_global_offset_x
      - .offset:         104
        .size:           8
        .value_kind:     hidden_global_offset_y
      - .offset:         112
        .size:           8
        .value_kind:     hidden_global_offset_z
      - .offset:         120
        .size:           2
        .value_kind:     hidden_grid_dims
      - .offset:         176
        .size:           4
        .value_kind:     hidden_dynamic_lds_size
    .group_segment_fixed_size: 0
    .kernarg_segment_align: 8
    .kernarg_segment_size: 312
    .language:       OpenCL C
    .language_version:
      - 2
      - 0
    .max_flat_workgroup_size: 1024
    .name:           _ZN5aiter20topk_softplus_kernelI6__half12hip_bfloat16Dv1_fLb0ELi1EEEvPKT_PKT0_PfPimiiif
    .private_segment_fixed_size: 0
    .sgpr_count:     24
    .sgpr_spill_count: 0
    .symbol:         _ZN5aiter20topk_softplus_kernelI6__half12hip_bfloat16Dv1_fLb0ELi1EEEvPKT_PKT0_PfPimiiif.kd
    .uniform_work_group_size: 1
    .uses_dynamic_stack: false
    .vgpr_count:     11
    .vgpr_spill_count: 0
    .wavefront_size: 32
    .workgroup_processor_mode: 1
  - .args:
      - .actual_access:  read_only
        .address_space:  global
        .offset:         0
        .size:           8
        .value_kind:     global_buffer
      - .actual_access:  read_only
        .address_space:  global
        .offset:         8
        .size:           8
        .value_kind:     global_buffer
      - .actual_access:  write_only
        .address_space:  global
        .offset:         16
        .size:           8
        .value_kind:     global_buffer
      - .actual_access:  write_only
        .address_space:  global
        .offset:         24
        .size:           8
        .value_kind:     global_buffer
      - .offset:         32
        .size:           8
        .value_kind:     by_value
      - .offset:         40
        .size:           4
        .value_kind:     by_value
      - .offset:         44
        .size:           4
        .value_kind:     by_value
      - .offset:         48
        .size:           4
        .value_kind:     by_value
      - .offset:         52
        .size:           4
        .value_kind:     by_value
      - .offset:         56
        .size:           4
        .value_kind:     hidden_block_count_x
      - .offset:         60
        .size:           4
        .value_kind:     hidden_block_count_y
      - .offset:         64
        .size:           4
        .value_kind:     hidden_block_count_z
      - .offset:         68
        .size:           2
        .value_kind:     hidden_group_size_x
      - .offset:         70
        .size:           2
        .value_kind:     hidden_group_size_y
      - .offset:         72
        .size:           2
        .value_kind:     hidden_group_size_z
      - .offset:         74
        .size:           2
        .value_kind:     hidden_remainder_x
      - .offset:         76
        .size:           2
        .value_kind:     hidden_remainder_y
      - .offset:         78
        .size:           2
        .value_kind:     hidden_remainder_z
      - .offset:         96
        .size:           8
        .value_kind:     hidden_global_offset_x
      - .offset:         104
        .size:           8
        .value_kind:     hidden_global_offset_y
      - .offset:         112
        .size:           8
        .value_kind:     hidden_global_offset_z
      - .offset:         120
        .size:           2
        .value_kind:     hidden_grid_dims
      - .offset:         176
        .size:           4
        .value_kind:     hidden_dynamic_lds_size
    .group_segment_fixed_size: 0
    .kernarg_segment_align: 8
    .kernarg_segment_size: 312
    .language:       OpenCL C
    .language_version:
      - 2
      - 0
    .max_flat_workgroup_size: 1024
    .name:           _ZN5aiter20topk_softplus_kernelI6__half12hip_bfloat16Dv4_fLb1ELi2EEEvPKT_PKT0_PfPimiiif
    .private_segment_fixed_size: 0
    .sgpr_count:     25
    .sgpr_spill_count: 0
    .symbol:         _ZN5aiter20topk_softplus_kernelI6__half12hip_bfloat16Dv4_fLb1ELi2EEEvPKT_PKT0_PfPimiiif.kd
    .uniform_work_group_size: 1
    .uses_dynamic_stack: false
    .vgpr_count:     17
    .vgpr_spill_count: 0
    .wavefront_size: 32
    .workgroup_processor_mode: 1
  - .args:
      - .actual_access:  read_only
        .address_space:  global
        .offset:         0
        .size:           8
        .value_kind:     global_buffer
      - .actual_access:  read_only
        .address_space:  global
        .offset:         8
        .size:           8
        .value_kind:     global_buffer
      - .actual_access:  write_only
        .address_space:  global
        .offset:         16
        .size:           8
        .value_kind:     global_buffer
      - .actual_access:  write_only
        .address_space:  global
        .offset:         24
        .size:           8
        .value_kind:     global_buffer
      - .offset:         32
        .size:           8
        .value_kind:     by_value
      - .offset:         40
        .size:           4
        .value_kind:     by_value
      - .offset:         44
        .size:           4
        .value_kind:     by_value
      - .offset:         48
        .size:           4
        .value_kind:     by_value
      - .offset:         52
        .size:           4
        .value_kind:     by_value
      - .offset:         56
        .size:           4
        .value_kind:     hidden_block_count_x
      - .offset:         60
        .size:           4
        .value_kind:     hidden_block_count_y
      - .offset:         64
        .size:           4
        .value_kind:     hidden_block_count_z
      - .offset:         68
        .size:           2
        .value_kind:     hidden_group_size_x
      - .offset:         70
        .size:           2
        .value_kind:     hidden_group_size_y
      - .offset:         72
        .size:           2
        .value_kind:     hidden_group_size_z
      - .offset:         74
        .size:           2
        .value_kind:     hidden_remainder_x
      - .offset:         76
        .size:           2
        .value_kind:     hidden_remainder_y
      - .offset:         78
        .size:           2
        .value_kind:     hidden_remainder_z
      - .offset:         96
        .size:           8
        .value_kind:     hidden_global_offset_x
      - .offset:         104
        .size:           8
        .value_kind:     hidden_global_offset_y
      - .offset:         112
        .size:           8
        .value_kind:     hidden_global_offset_z
      - .offset:         120
        .size:           2
        .value_kind:     hidden_grid_dims
      - .offset:         176
        .size:           4
        .value_kind:     hidden_dynamic_lds_size
    .group_segment_fixed_size: 0
    .kernarg_segment_align: 8
    .kernarg_segment_size: 312
    .language:       OpenCL C
    .language_version:
      - 2
      - 0
    .max_flat_workgroup_size: 1024
    .name:           _ZN5aiter20topk_softplus_kernelI6__half12hip_bfloat16Dv4_fLb0ELi2EEEvPKT_PKT0_PfPimiiif
    .private_segment_fixed_size: 0
    .sgpr_count:     25
    .sgpr_spill_count: 0
    .symbol:         _ZN5aiter20topk_softplus_kernelI6__half12hip_bfloat16Dv4_fLb0ELi2EEEvPKT_PKT0_PfPimiiif.kd
    .uniform_work_group_size: 1
    .uses_dynamic_stack: false
    .vgpr_count:     16
    .vgpr_spill_count: 0
    .wavefront_size: 32
    .workgroup_processor_mode: 1
  - .args:
      - .actual_access:  read_only
        .address_space:  global
        .offset:         0
        .size:           8
        .value_kind:     global_buffer
      - .actual_access:  read_only
        .address_space:  global
        .offset:         8
        .size:           8
        .value_kind:     global_buffer
      - .actual_access:  write_only
        .address_space:  global
        .offset:         16
        .size:           8
        .value_kind:     global_buffer
      - .actual_access:  write_only
        .address_space:  global
        .offset:         24
        .size:           8
        .value_kind:     global_buffer
      - .offset:         32
        .size:           8
        .value_kind:     by_value
      - .offset:         40
        .size:           4
        .value_kind:     by_value
      - .offset:         44
        .size:           4
        .value_kind:     by_value
      - .offset:         48
        .size:           4
        .value_kind:     by_value
      - .offset:         52
        .size:           4
        .value_kind:     by_value
      - .offset:         56
        .size:           4
        .value_kind:     hidden_block_count_x
      - .offset:         60
        .size:           4
        .value_kind:     hidden_block_count_y
      - .offset:         64
        .size:           4
        .value_kind:     hidden_block_count_z
      - .offset:         68
        .size:           2
        .value_kind:     hidden_group_size_x
      - .offset:         70
        .size:           2
        .value_kind:     hidden_group_size_y
      - .offset:         72
        .size:           2
        .value_kind:     hidden_group_size_z
      - .offset:         74
        .size:           2
        .value_kind:     hidden_remainder_x
      - .offset:         76
        .size:           2
        .value_kind:     hidden_remainder_y
      - .offset:         78
        .size:           2
        .value_kind:     hidden_remainder_z
      - .offset:         96
        .size:           8
        .value_kind:     hidden_global_offset_x
      - .offset:         104
        .size:           8
        .value_kind:     hidden_global_offset_y
      - .offset:         112
        .size:           8
        .value_kind:     hidden_global_offset_z
      - .offset:         120
        .size:           2
        .value_kind:     hidden_grid_dims
      - .offset:         176
        .size:           4
        .value_kind:     hidden_dynamic_lds_size
    .group_segment_fixed_size: 0
    .kernarg_segment_align: 8
    .kernarg_segment_size: 312
    .language:       OpenCL C
    .language_version:
      - 2
      - 0
    .max_flat_workgroup_size: 1024
    .name:           _ZN5aiter20topk_softplus_kernelI6__half12hip_bfloat16Dv2_fLb1ELi2EEEvPKT_PKT0_PfPimiiif
    .private_segment_fixed_size: 0
    .sgpr_count:     25
    .sgpr_spill_count: 0
    .symbol:         _ZN5aiter20topk_softplus_kernelI6__half12hip_bfloat16Dv2_fLb1ELi2EEEvPKT_PKT0_PfPimiiif.kd
    .uniform_work_group_size: 1
    .uses_dynamic_stack: false
    .vgpr_count:     15
    .vgpr_spill_count: 0
    .wavefront_size: 32
    .workgroup_processor_mode: 1
  - .args:
      - .actual_access:  read_only
        .address_space:  global
        .offset:         0
        .size:           8
        .value_kind:     global_buffer
      - .actual_access:  read_only
        .address_space:  global
        .offset:         8
        .size:           8
        .value_kind:     global_buffer
      - .actual_access:  write_only
        .address_space:  global
        .offset:         16
        .size:           8
        .value_kind:     global_buffer
      - .actual_access:  write_only
        .address_space:  global
        .offset:         24
        .size:           8
        .value_kind:     global_buffer
      - .offset:         32
        .size:           8
        .value_kind:     by_value
      - .offset:         40
        .size:           4
        .value_kind:     by_value
      - .offset:         44
        .size:           4
        .value_kind:     by_value
      - .offset:         48
        .size:           4
        .value_kind:     by_value
      - .offset:         52
        .size:           4
        .value_kind:     by_value
      - .offset:         56
        .size:           4
        .value_kind:     hidden_block_count_x
      - .offset:         60
        .size:           4
        .value_kind:     hidden_block_count_y
      - .offset:         64
        .size:           4
        .value_kind:     hidden_block_count_z
      - .offset:         68
        .size:           2
        .value_kind:     hidden_group_size_x
      - .offset:         70
        .size:           2
        .value_kind:     hidden_group_size_y
      - .offset:         72
        .size:           2
        .value_kind:     hidden_group_size_z
      - .offset:         74
        .size:           2
        .value_kind:     hidden_remainder_x
      - .offset:         76
        .size:           2
        .value_kind:     hidden_remainder_y
      - .offset:         78
        .size:           2
        .value_kind:     hidden_remainder_z
      - .offset:         96
        .size:           8
        .value_kind:     hidden_global_offset_x
      - .offset:         104
        .size:           8
        .value_kind:     hidden_global_offset_y
      - .offset:         112
        .size:           8
        .value_kind:     hidden_global_offset_z
      - .offset:         120
        .size:           2
        .value_kind:     hidden_grid_dims
      - .offset:         176
        .size:           4
        .value_kind:     hidden_dynamic_lds_size
    .group_segment_fixed_size: 0
    .kernarg_segment_align: 8
    .kernarg_segment_size: 312
    .language:       OpenCL C
    .language_version:
      - 2
      - 0
    .max_flat_workgroup_size: 1024
    .name:           _ZN5aiter20topk_softplus_kernelI6__half12hip_bfloat16Dv2_fLb0ELi2EEEvPKT_PKT0_PfPimiiif
    .private_segment_fixed_size: 0
    .sgpr_count:     25
    .sgpr_spill_count: 0
    .symbol:         _ZN5aiter20topk_softplus_kernelI6__half12hip_bfloat16Dv2_fLb0ELi2EEEvPKT_PKT0_PfPimiiif.kd
    .uniform_work_group_size: 1
    .uses_dynamic_stack: false
    .vgpr_count:     14
    .vgpr_spill_count: 0
    .wavefront_size: 32
    .workgroup_processor_mode: 1
  - .args:
      - .actual_access:  read_only
        .address_space:  global
        .offset:         0
        .size:           8
        .value_kind:     global_buffer
      - .actual_access:  read_only
        .address_space:  global
        .offset:         8
        .size:           8
        .value_kind:     global_buffer
      - .actual_access:  write_only
        .address_space:  global
        .offset:         16
        .size:           8
        .value_kind:     global_buffer
      - .actual_access:  write_only
        .address_space:  global
        .offset:         24
        .size:           8
        .value_kind:     global_buffer
      - .offset:         32
        .size:           8
        .value_kind:     by_value
      - .offset:         40
        .size:           4
        .value_kind:     by_value
      - .offset:         44
        .size:           4
        .value_kind:     by_value
      - .offset:         48
        .size:           4
        .value_kind:     by_value
      - .offset:         52
        .size:           4
        .value_kind:     by_value
      - .offset:         56
        .size:           4
        .value_kind:     hidden_block_count_x
      - .offset:         60
        .size:           4
        .value_kind:     hidden_block_count_y
      - .offset:         64
        .size:           4
        .value_kind:     hidden_block_count_z
      - .offset:         68
        .size:           2
        .value_kind:     hidden_group_size_x
      - .offset:         70
        .size:           2
        .value_kind:     hidden_group_size_y
      - .offset:         72
        .size:           2
        .value_kind:     hidden_group_size_z
      - .offset:         74
        .size:           2
        .value_kind:     hidden_remainder_x
      - .offset:         76
        .size:           2
        .value_kind:     hidden_remainder_y
      - .offset:         78
        .size:           2
        .value_kind:     hidden_remainder_z
      - .offset:         96
        .size:           8
        .value_kind:     hidden_global_offset_x
      - .offset:         104
        .size:           8
        .value_kind:     hidden_global_offset_y
      - .offset:         112
        .size:           8
        .value_kind:     hidden_global_offset_z
      - .offset:         120
        .size:           2
        .value_kind:     hidden_grid_dims
      - .offset:         176
        .size:           4
        .value_kind:     hidden_dynamic_lds_size
    .group_segment_fixed_size: 0
    .kernarg_segment_align: 8
    .kernarg_segment_size: 312
    .language:       OpenCL C
    .language_version:
      - 2
      - 0
    .max_flat_workgroup_size: 1024
    .name:           _ZN5aiter20topk_softplus_kernelI6__half12hip_bfloat16Dv1_fLb1ELi2EEEvPKT_PKT0_PfPimiiif
    .private_segment_fixed_size: 0
    .sgpr_count:     24
    .sgpr_spill_count: 0
    .symbol:         _ZN5aiter20topk_softplus_kernelI6__half12hip_bfloat16Dv1_fLb1ELi2EEEvPKT_PKT0_PfPimiiif.kd
    .uniform_work_group_size: 1
    .uses_dynamic_stack: false
    .vgpr_count:     12
    .vgpr_spill_count: 0
    .wavefront_size: 32
    .workgroup_processor_mode: 1
  - .args:
      - .actual_access:  read_only
        .address_space:  global
        .offset:         0
        .size:           8
        .value_kind:     global_buffer
      - .actual_access:  read_only
        .address_space:  global
        .offset:         8
        .size:           8
        .value_kind:     global_buffer
      - .actual_access:  write_only
        .address_space:  global
        .offset:         16
        .size:           8
        .value_kind:     global_buffer
      - .actual_access:  write_only
        .address_space:  global
        .offset:         24
        .size:           8
        .value_kind:     global_buffer
      - .offset:         32
        .size:           8
        .value_kind:     by_value
      - .offset:         40
        .size:           4
        .value_kind:     by_value
      - .offset:         44
        .size:           4
        .value_kind:     by_value
      - .offset:         48
        .size:           4
        .value_kind:     by_value
      - .offset:         52
        .size:           4
        .value_kind:     by_value
      - .offset:         56
        .size:           4
        .value_kind:     hidden_block_count_x
      - .offset:         60
        .size:           4
        .value_kind:     hidden_block_count_y
      - .offset:         64
        .size:           4
        .value_kind:     hidden_block_count_z
      - .offset:         68
        .size:           2
        .value_kind:     hidden_group_size_x
      - .offset:         70
        .size:           2
        .value_kind:     hidden_group_size_y
      - .offset:         72
        .size:           2
        .value_kind:     hidden_group_size_z
      - .offset:         74
        .size:           2
        .value_kind:     hidden_remainder_x
      - .offset:         76
        .size:           2
        .value_kind:     hidden_remainder_y
      - .offset:         78
        .size:           2
        .value_kind:     hidden_remainder_z
      - .offset:         96
        .size:           8
        .value_kind:     hidden_global_offset_x
      - .offset:         104
        .size:           8
        .value_kind:     hidden_global_offset_y
      - .offset:         112
        .size:           8
        .value_kind:     hidden_global_offset_z
      - .offset:         120
        .size:           2
        .value_kind:     hidden_grid_dims
      - .offset:         176
        .size:           4
        .value_kind:     hidden_dynamic_lds_size
    .group_segment_fixed_size: 0
    .kernarg_segment_align: 8
    .kernarg_segment_size: 312
    .language:       OpenCL C
    .language_version:
      - 2
      - 0
    .max_flat_workgroup_size: 1024
    .name:           _ZN5aiter20topk_softplus_kernelI6__half12hip_bfloat16Dv1_fLb0ELi2EEEvPKT_PKT0_PfPimiiif
    .private_segment_fixed_size: 0
    .sgpr_count:     24
    .sgpr_spill_count: 0
    .symbol:         _ZN5aiter20topk_softplus_kernelI6__half12hip_bfloat16Dv1_fLb0ELi2EEEvPKT_PKT0_PfPimiiif.kd
    .uniform_work_group_size: 1
    .uses_dynamic_stack: false
    .vgpr_count:     11
    .vgpr_spill_count: 0
    .wavefront_size: 32
    .workgroup_processor_mode: 1
  - .args:
      - .actual_access:  read_only
        .address_space:  global
        .offset:         0
        .size:           8
        .value_kind:     global_buffer
      - .actual_access:  read_only
        .address_space:  global
        .offset:         8
        .size:           8
        .value_kind:     global_buffer
      - .actual_access:  write_only
        .address_space:  global
        .offset:         16
        .size:           8
        .value_kind:     global_buffer
      - .actual_access:  write_only
        .address_space:  global
        .offset:         24
        .size:           8
        .value_kind:     global_buffer
      - .offset:         32
        .size:           8
        .value_kind:     by_value
      - .offset:         40
        .size:           4
        .value_kind:     by_value
      - .offset:         44
        .size:           4
        .value_kind:     by_value
      - .offset:         48
        .size:           4
        .value_kind:     by_value
    .group_segment_fixed_size: 0
    .kernarg_segment_align: 8
    .kernarg_segment_size: 52
    .language:       OpenCL C
    .language_version:
      - 2
      - 0
    .max_flat_workgroup_size: 1024
    .name:           _ZN5aiter24topk_softplus_kernel_optI6__half12hip_bfloat16Li64ELb1ELi0EEEvPKT_PKT0_PfPimiif
    .private_segment_fixed_size: 0
    .sgpr_count:     18
    .sgpr_spill_count: 0
    .symbol:         _ZN5aiter24topk_softplus_kernel_optI6__half12hip_bfloat16Li64ELb1ELi0EEEvPKT_PKT0_PfPimiif.kd
    .uniform_work_group_size: 1
    .uses_dynamic_stack: false
    .vgpr_count:     17
    .vgpr_spill_count: 0
    .wavefront_size: 32
    .workgroup_processor_mode: 1
  - .args:
      - .actual_access:  read_only
        .address_space:  global
        .offset:         0
        .size:           8
        .value_kind:     global_buffer
      - .actual_access:  read_only
        .address_space:  global
        .offset:         8
        .size:           8
        .value_kind:     global_buffer
      - .actual_access:  write_only
        .address_space:  global
        .offset:         16
        .size:           8
        .value_kind:     global_buffer
      - .actual_access:  write_only
        .address_space:  global
        .offset:         24
        .size:           8
        .value_kind:     global_buffer
      - .offset:         32
        .size:           8
        .value_kind:     by_value
      - .offset:         40
        .size:           4
        .value_kind:     by_value
      - .offset:         44
        .size:           4
        .value_kind:     by_value
      - .offset:         48
        .size:           4
        .value_kind:     by_value
    .group_segment_fixed_size: 0
    .kernarg_segment_align: 8
    .kernarg_segment_size: 52
    .language:       OpenCL C
    .language_version:
      - 2
      - 0
    .max_flat_workgroup_size: 1024
    .name:           _ZN5aiter24topk_softplus_kernel_optI6__half12hip_bfloat16Li64ELb0ELi0EEEvPKT_PKT0_PfPimiif
    .private_segment_fixed_size: 0
    .sgpr_count:     18
    .sgpr_spill_count: 0
    .symbol:         _ZN5aiter24topk_softplus_kernel_optI6__half12hip_bfloat16Li64ELb0ELi0EEEvPKT_PKT0_PfPimiif.kd
    .uniform_work_group_size: 1
    .uses_dynamic_stack: false
    .vgpr_count:     14
    .vgpr_spill_count: 0
    .wavefront_size: 32
    .workgroup_processor_mode: 1
  - .args:
      - .actual_access:  read_only
        .address_space:  global
        .offset:         0
        .size:           8
        .value_kind:     global_buffer
      - .actual_access:  read_only
        .address_space:  global
        .offset:         8
        .size:           8
        .value_kind:     global_buffer
      - .actual_access:  write_only
        .address_space:  global
        .offset:         16
        .size:           8
        .value_kind:     global_buffer
      - .actual_access:  write_only
        .address_space:  global
        .offset:         24
        .size:           8
        .value_kind:     global_buffer
      - .offset:         32
        .size:           8
        .value_kind:     by_value
      - .offset:         40
        .size:           4
        .value_kind:     by_value
      - .offset:         44
        .size:           4
        .value_kind:     by_value
      - .offset:         48
        .size:           4
        .value_kind:     by_value
    .group_segment_fixed_size: 0
    .kernarg_segment_align: 8
    .kernarg_segment_size: 52
    .language:       OpenCL C
    .language_version:
      - 2
      - 0
    .max_flat_workgroup_size: 1024
    .name:           _ZN5aiter24topk_softplus_kernel_optI6__half12hip_bfloat16Li128ELb1ELi0EEEvPKT_PKT0_PfPimiif
    .private_segment_fixed_size: 0
    .sgpr_count:     18
    .sgpr_spill_count: 0
    .symbol:         _ZN5aiter24topk_softplus_kernel_optI6__half12hip_bfloat16Li128ELb1ELi0EEEvPKT_PKT0_PfPimiif.kd
    .uniform_work_group_size: 1
    .uses_dynamic_stack: false
    .vgpr_count:     24
    .vgpr_spill_count: 0
    .wavefront_size: 32
    .workgroup_processor_mode: 1
  - .args:
      - .actual_access:  read_only
        .address_space:  global
        .offset:         0
        .size:           8
        .value_kind:     global_buffer
      - .actual_access:  read_only
        .address_space:  global
        .offset:         8
        .size:           8
        .value_kind:     global_buffer
      - .actual_access:  write_only
        .address_space:  global
        .offset:         16
        .size:           8
        .value_kind:     global_buffer
      - .actual_access:  write_only
        .address_space:  global
        .offset:         24
        .size:           8
        .value_kind:     global_buffer
      - .offset:         32
        .size:           8
        .value_kind:     by_value
      - .offset:         40
        .size:           4
        .value_kind:     by_value
      - .offset:         44
        .size:           4
        .value_kind:     by_value
      - .offset:         48
        .size:           4
        .value_kind:     by_value
    .group_segment_fixed_size: 0
    .kernarg_segment_align: 8
    .kernarg_segment_size: 52
    .language:       OpenCL C
    .language_version:
      - 2
      - 0
    .max_flat_workgroup_size: 1024
    .name:           _ZN5aiter24topk_softplus_kernel_optI6__half12hip_bfloat16Li128ELb0ELi0EEEvPKT_PKT0_PfPimiif
    .private_segment_fixed_size: 0
    .sgpr_count:     18
    .sgpr_spill_count: 0
    .symbol:         _ZN5aiter24topk_softplus_kernel_optI6__half12hip_bfloat16Li128ELb0ELi0EEEvPKT_PKT0_PfPimiif.kd
    .uniform_work_group_size: 1
    .uses_dynamic_stack: false
    .vgpr_count:     22
    .vgpr_spill_count: 0
    .wavefront_size: 32
    .workgroup_processor_mode: 1
  - .args:
      - .actual_access:  read_only
        .address_space:  global
        .offset:         0
        .size:           8
        .value_kind:     global_buffer
      - .actual_access:  read_only
        .address_space:  global
        .offset:         8
        .size:           8
        .value_kind:     global_buffer
      - .actual_access:  write_only
        .address_space:  global
        .offset:         16
        .size:           8
        .value_kind:     global_buffer
      - .actual_access:  write_only
        .address_space:  global
        .offset:         24
        .size:           8
        .value_kind:     global_buffer
      - .offset:         32
        .size:           8
        .value_kind:     by_value
      - .offset:         40
        .size:           4
        .value_kind:     by_value
      - .offset:         44
        .size:           4
        .value_kind:     by_value
      - .offset:         48
        .size:           4
        .value_kind:     by_value
    .group_segment_fixed_size: 0
    .kernarg_segment_align: 8
    .kernarg_segment_size: 52
    .language:       OpenCL C
    .language_version:
      - 2
      - 0
    .max_flat_workgroup_size: 1024
    .name:           _ZN5aiter24topk_softplus_kernel_optI6__half12hip_bfloat16Li256ELb1ELi0EEEvPKT_PKT0_PfPimiif
    .private_segment_fixed_size: 0
    .sgpr_count:     18
    .sgpr_spill_count: 0
    .symbol:         _ZN5aiter24topk_softplus_kernel_optI6__half12hip_bfloat16Li256ELb1ELi0EEEvPKT_PKT0_PfPimiif.kd
    .uniform_work_group_size: 1
    .uses_dynamic_stack: false
    .vgpr_count:     96
    .vgpr_spill_count: 0
    .wavefront_size: 32
    .workgroup_processor_mode: 1
  - .args:
      - .actual_access:  read_only
        .address_space:  global
        .offset:         0
        .size:           8
        .value_kind:     global_buffer
      - .actual_access:  read_only
        .address_space:  global
        .offset:         8
        .size:           8
        .value_kind:     global_buffer
      - .actual_access:  write_only
        .address_space:  global
        .offset:         16
        .size:           8
        .value_kind:     global_buffer
      - .actual_access:  write_only
        .address_space:  global
        .offset:         24
        .size:           8
        .value_kind:     global_buffer
      - .offset:         32
        .size:           8
        .value_kind:     by_value
      - .offset:         40
        .size:           4
        .value_kind:     by_value
      - .offset:         44
        .size:           4
        .value_kind:     by_value
      - .offset:         48
        .size:           4
        .value_kind:     by_value
    .group_segment_fixed_size: 0
    .kernarg_segment_align: 8
    .kernarg_segment_size: 52
    .language:       OpenCL C
    .language_version:
      - 2
      - 0
    .max_flat_workgroup_size: 1024
    .name:           _ZN5aiter24topk_softplus_kernel_optI6__half12hip_bfloat16Li256ELb0ELi0EEEvPKT_PKT0_PfPimiif
    .private_segment_fixed_size: 0
    .sgpr_count:     18
    .sgpr_spill_count: 0
    .symbol:         _ZN5aiter24topk_softplus_kernel_optI6__half12hip_bfloat16Li256ELb0ELi0EEEvPKT_PKT0_PfPimiif.kd
    .uniform_work_group_size: 1
    .uses_dynamic_stack: false
    .vgpr_count:     96
    .vgpr_spill_count: 0
    .wavefront_size: 32
    .workgroup_processor_mode: 1
  - .args:
      - .actual_access:  read_only
        .address_space:  global
        .offset:         0
        .size:           8
        .value_kind:     global_buffer
      - .actual_access:  read_only
        .address_space:  global
        .offset:         8
        .size:           8
        .value_kind:     global_buffer
      - .actual_access:  write_only
        .address_space:  global
        .offset:         16
        .size:           8
        .value_kind:     global_buffer
      - .actual_access:  write_only
        .address_space:  global
        .offset:         24
        .size:           8
        .value_kind:     global_buffer
      - .offset:         32
        .size:           8
        .value_kind:     by_value
      - .offset:         40
        .size:           4
        .value_kind:     by_value
      - .offset:         44
        .size:           4
        .value_kind:     by_value
      - .offset:         48
        .size:           4
        .value_kind:     by_value
    .group_segment_fixed_size: 0
    .kernarg_segment_align: 8
    .kernarg_segment_size: 52
    .language:       OpenCL C
    .language_version:
      - 2
      - 0
    .max_flat_workgroup_size: 1024
    .name:           _ZN5aiter24topk_softplus_kernel_optI6__half12hip_bfloat16Li384ELb1ELi0EEEvPKT_PKT0_PfPimiif
    .private_segment_fixed_size: 196
    .sgpr_count:     18
    .sgpr_spill_count: 0
    .symbol:         _ZN5aiter24topk_softplus_kernel_optI6__half12hip_bfloat16Li384ELb1ELi0EEEvPKT_PKT0_PfPimiif.kd
    .uniform_work_group_size: 1
    .uses_dynamic_stack: false
    .vgpr_count:     183
    .vgpr_spill_count: 300
    .wavefront_size: 32
    .workgroup_processor_mode: 1
  - .args:
      - .actual_access:  read_only
        .address_space:  global
        .offset:         0
        .size:           8
        .value_kind:     global_buffer
      - .actual_access:  read_only
        .address_space:  global
        .offset:         8
        .size:           8
        .value_kind:     global_buffer
      - .actual_access:  write_only
        .address_space:  global
        .offset:         16
        .size:           8
        .value_kind:     global_buffer
      - .actual_access:  write_only
        .address_space:  global
        .offset:         24
        .size:           8
        .value_kind:     global_buffer
      - .offset:         32
        .size:           8
        .value_kind:     by_value
      - .offset:         40
        .size:           4
        .value_kind:     by_value
      - .offset:         44
        .size:           4
        .value_kind:     by_value
      - .offset:         48
        .size:           4
        .value_kind:     by_value
    .group_segment_fixed_size: 0
    .kernarg_segment_align: 8
    .kernarg_segment_size: 52
    .language:       OpenCL C
    .language_version:
      - 2
      - 0
    .max_flat_workgroup_size: 1024
    .name:           _ZN5aiter24topk_softplus_kernel_optI6__half12hip_bfloat16Li384ELb0ELi0EEEvPKT_PKT0_PfPimiif
    .private_segment_fixed_size: 196
    .sgpr_count:     18
    .sgpr_spill_count: 0
    .symbol:         _ZN5aiter24topk_softplus_kernel_optI6__half12hip_bfloat16Li384ELb0ELi0EEEvPKT_PKT0_PfPimiif.kd
    .uniform_work_group_size: 1
    .uses_dynamic_stack: false
    .vgpr_count:     183
    .vgpr_spill_count: 300
    .wavefront_size: 32
    .workgroup_processor_mode: 1
  - .args:
      - .actual_access:  read_only
        .address_space:  global
        .offset:         0
        .size:           8
        .value_kind:     global_buffer
      - .actual_access:  read_only
        .address_space:  global
        .offset:         8
        .size:           8
        .value_kind:     global_buffer
      - .actual_access:  write_only
        .address_space:  global
        .offset:         16
        .size:           8
        .value_kind:     global_buffer
      - .actual_access:  write_only
        .address_space:  global
        .offset:         24
        .size:           8
        .value_kind:     global_buffer
      - .offset:         32
        .size:           8
        .value_kind:     by_value
      - .offset:         40
        .size:           4
        .value_kind:     by_value
      - .offset:         44
        .size:           4
        .value_kind:     by_value
      - .offset:         48
        .size:           4
        .value_kind:     by_value
      - .offset:         52
        .size:           4
        .value_kind:     by_value
      - .offset:         56
        .size:           4
        .value_kind:     hidden_block_count_x
      - .offset:         60
        .size:           4
        .value_kind:     hidden_block_count_y
      - .offset:         64
        .size:           4
        .value_kind:     hidden_block_count_z
      - .offset:         68
        .size:           2
        .value_kind:     hidden_group_size_x
      - .offset:         70
        .size:           2
        .value_kind:     hidden_group_size_y
      - .offset:         72
        .size:           2
        .value_kind:     hidden_group_size_z
      - .offset:         74
        .size:           2
        .value_kind:     hidden_remainder_x
      - .offset:         76
        .size:           2
        .value_kind:     hidden_remainder_y
      - .offset:         78
        .size:           2
        .value_kind:     hidden_remainder_z
      - .offset:         96
        .size:           8
        .value_kind:     hidden_global_offset_x
      - .offset:         104
        .size:           8
        .value_kind:     hidden_global_offset_y
      - .offset:         112
        .size:           8
        .value_kind:     hidden_global_offset_z
      - .offset:         120
        .size:           2
        .value_kind:     hidden_grid_dims
      - .offset:         176
        .size:           4
        .value_kind:     hidden_dynamic_lds_size
    .group_segment_fixed_size: 0
    .kernarg_segment_align: 8
    .kernarg_segment_size: 312
    .language:       OpenCL C
    .language_version:
      - 2
      - 0
    .max_flat_workgroup_size: 1024
    .name:           _ZN5aiter20topk_softplus_kernelI6__half12hip_bfloat16Dv4_fLb1ELi0EEEvPKT_PKT0_PfPimiiif
    .private_segment_fixed_size: 0
    .sgpr_count:     34
    .sgpr_spill_count: 0
    .symbol:         _ZN5aiter20topk_softplus_kernelI6__half12hip_bfloat16Dv4_fLb1ELi0EEEvPKT_PKT0_PfPimiiif.kd
    .uniform_work_group_size: 1
    .uses_dynamic_stack: false
    .vgpr_count:     20
    .vgpr_spill_count: 0
    .wavefront_size: 32
    .workgroup_processor_mode: 1
  - .args:
      - .actual_access:  read_only
        .address_space:  global
        .offset:         0
        .size:           8
        .value_kind:     global_buffer
      - .actual_access:  read_only
        .address_space:  global
        .offset:         8
        .size:           8
        .value_kind:     global_buffer
      - .actual_access:  write_only
        .address_space:  global
        .offset:         16
        .size:           8
        .value_kind:     global_buffer
      - .actual_access:  write_only
        .address_space:  global
        .offset:         24
        .size:           8
        .value_kind:     global_buffer
      - .offset:         32
        .size:           8
        .value_kind:     by_value
      - .offset:         40
        .size:           4
        .value_kind:     by_value
      - .offset:         44
        .size:           4
        .value_kind:     by_value
      - .offset:         48
        .size:           4
        .value_kind:     by_value
      - .offset:         52
        .size:           4
        .value_kind:     by_value
      - .offset:         56
        .size:           4
        .value_kind:     hidden_block_count_x
      - .offset:         60
        .size:           4
        .value_kind:     hidden_block_count_y
      - .offset:         64
        .size:           4
        .value_kind:     hidden_block_count_z
      - .offset:         68
        .size:           2
        .value_kind:     hidden_group_size_x
      - .offset:         70
        .size:           2
        .value_kind:     hidden_group_size_y
      - .offset:         72
        .size:           2
        .value_kind:     hidden_group_size_z
      - .offset:         74
        .size:           2
        .value_kind:     hidden_remainder_x
      - .offset:         76
        .size:           2
        .value_kind:     hidden_remainder_y
      - .offset:         78
        .size:           2
        .value_kind:     hidden_remainder_z
      - .offset:         96
        .size:           8
        .value_kind:     hidden_global_offset_x
      - .offset:         104
        .size:           8
        .value_kind:     hidden_global_offset_y
      - .offset:         112
        .size:           8
        .value_kind:     hidden_global_offset_z
      - .offset:         120
        .size:           2
        .value_kind:     hidden_grid_dims
      - .offset:         176
        .size:           4
        .value_kind:     hidden_dynamic_lds_size
    .group_segment_fixed_size: 0
    .kernarg_segment_align: 8
    .kernarg_segment_size: 312
    .language:       OpenCL C
    .language_version:
      - 2
      - 0
    .max_flat_workgroup_size: 1024
    .name:           _ZN5aiter20topk_softplus_kernelI6__half12hip_bfloat16Dv4_fLb0ELi0EEEvPKT_PKT0_PfPimiiif
    .private_segment_fixed_size: 0
    .sgpr_count:     34
    .sgpr_spill_count: 0
    .symbol:         _ZN5aiter20topk_softplus_kernelI6__half12hip_bfloat16Dv4_fLb0ELi0EEEvPKT_PKT0_PfPimiiif.kd
    .uniform_work_group_size: 1
    .uses_dynamic_stack: false
    .vgpr_count:     20
    .vgpr_spill_count: 0
    .wavefront_size: 32
    .workgroup_processor_mode: 1
  - .args:
      - .actual_access:  read_only
        .address_space:  global
        .offset:         0
        .size:           8
        .value_kind:     global_buffer
      - .actual_access:  read_only
        .address_space:  global
        .offset:         8
        .size:           8
        .value_kind:     global_buffer
      - .actual_access:  write_only
        .address_space:  global
        .offset:         16
        .size:           8
        .value_kind:     global_buffer
      - .actual_access:  write_only
        .address_space:  global
        .offset:         24
        .size:           8
        .value_kind:     global_buffer
      - .offset:         32
        .size:           8
        .value_kind:     by_value
      - .offset:         40
        .size:           4
        .value_kind:     by_value
      - .offset:         44
        .size:           4
        .value_kind:     by_value
      - .offset:         48
        .size:           4
        .value_kind:     by_value
      - .offset:         52
        .size:           4
        .value_kind:     by_value
      - .offset:         56
        .size:           4
        .value_kind:     hidden_block_count_x
      - .offset:         60
        .size:           4
        .value_kind:     hidden_block_count_y
      - .offset:         64
        .size:           4
        .value_kind:     hidden_block_count_z
      - .offset:         68
        .size:           2
        .value_kind:     hidden_group_size_x
      - .offset:         70
        .size:           2
        .value_kind:     hidden_group_size_y
      - .offset:         72
        .size:           2
        .value_kind:     hidden_group_size_z
      - .offset:         74
        .size:           2
        .value_kind:     hidden_remainder_x
      - .offset:         76
        .size:           2
        .value_kind:     hidden_remainder_y
      - .offset:         78
        .size:           2
        .value_kind:     hidden_remainder_z
      - .offset:         96
        .size:           8
        .value_kind:     hidden_global_offset_x
      - .offset:         104
        .size:           8
        .value_kind:     hidden_global_offset_y
      - .offset:         112
        .size:           8
        .value_kind:     hidden_global_offset_z
      - .offset:         120
        .size:           2
        .value_kind:     hidden_grid_dims
      - .offset:         176
        .size:           4
        .value_kind:     hidden_dynamic_lds_size
    .group_segment_fixed_size: 0
    .kernarg_segment_align: 8
    .kernarg_segment_size: 312
    .language:       OpenCL C
    .language_version:
      - 2
      - 0
    .max_flat_workgroup_size: 1024
    .name:           _ZN5aiter20topk_softplus_kernelI6__half12hip_bfloat16Dv2_fLb1ELi0EEEvPKT_PKT0_PfPimiiif
    .private_segment_fixed_size: 0
    .sgpr_count:     25
    .sgpr_spill_count: 0
    .symbol:         _ZN5aiter20topk_softplus_kernelI6__half12hip_bfloat16Dv2_fLb1ELi0EEEvPKT_PKT0_PfPimiiif.kd
    .uniform_work_group_size: 1
    .uses_dynamic_stack: false
    .vgpr_count:     15
    .vgpr_spill_count: 0
    .wavefront_size: 32
    .workgroup_processor_mode: 1
  - .args:
      - .actual_access:  read_only
        .address_space:  global
        .offset:         0
        .size:           8
        .value_kind:     global_buffer
      - .actual_access:  read_only
        .address_space:  global
        .offset:         8
        .size:           8
        .value_kind:     global_buffer
      - .actual_access:  write_only
        .address_space:  global
        .offset:         16
        .size:           8
        .value_kind:     global_buffer
      - .actual_access:  write_only
        .address_space:  global
        .offset:         24
        .size:           8
        .value_kind:     global_buffer
      - .offset:         32
        .size:           8
        .value_kind:     by_value
      - .offset:         40
        .size:           4
        .value_kind:     by_value
      - .offset:         44
        .size:           4
        .value_kind:     by_value
      - .offset:         48
        .size:           4
        .value_kind:     by_value
      - .offset:         52
        .size:           4
        .value_kind:     by_value
      - .offset:         56
        .size:           4
        .value_kind:     hidden_block_count_x
      - .offset:         60
        .size:           4
        .value_kind:     hidden_block_count_y
      - .offset:         64
        .size:           4
        .value_kind:     hidden_block_count_z
      - .offset:         68
        .size:           2
        .value_kind:     hidden_group_size_x
      - .offset:         70
        .size:           2
        .value_kind:     hidden_group_size_y
      - .offset:         72
        .size:           2
        .value_kind:     hidden_group_size_z
      - .offset:         74
        .size:           2
        .value_kind:     hidden_remainder_x
      - .offset:         76
        .size:           2
        .value_kind:     hidden_remainder_y
      - .offset:         78
        .size:           2
        .value_kind:     hidden_remainder_z
      - .offset:         96
        .size:           8
        .value_kind:     hidden_global_offset_x
      - .offset:         104
        .size:           8
        .value_kind:     hidden_global_offset_y
      - .offset:         112
        .size:           8
        .value_kind:     hidden_global_offset_z
      - .offset:         120
        .size:           2
        .value_kind:     hidden_grid_dims
      - .offset:         176
        .size:           4
        .value_kind:     hidden_dynamic_lds_size
    .group_segment_fixed_size: 0
    .kernarg_segment_align: 8
    .kernarg_segment_size: 312
    .language:       OpenCL C
    .language_version:
      - 2
      - 0
    .max_flat_workgroup_size: 1024
    .name:           _ZN5aiter20topk_softplus_kernelI6__half12hip_bfloat16Dv2_fLb0ELi0EEEvPKT_PKT0_PfPimiiif
    .private_segment_fixed_size: 0
    .sgpr_count:     25
    .sgpr_spill_count: 0
    .symbol:         _ZN5aiter20topk_softplus_kernelI6__half12hip_bfloat16Dv2_fLb0ELi0EEEvPKT_PKT0_PfPimiiif.kd
    .uniform_work_group_size: 1
    .uses_dynamic_stack: false
    .vgpr_count:     14
    .vgpr_spill_count: 0
    .wavefront_size: 32
    .workgroup_processor_mode: 1
  - .args:
      - .actual_access:  read_only
        .address_space:  global
        .offset:         0
        .size:           8
        .value_kind:     global_buffer
      - .actual_access:  read_only
        .address_space:  global
        .offset:         8
        .size:           8
        .value_kind:     global_buffer
      - .actual_access:  write_only
        .address_space:  global
        .offset:         16
        .size:           8
        .value_kind:     global_buffer
      - .actual_access:  write_only
        .address_space:  global
        .offset:         24
        .size:           8
        .value_kind:     global_buffer
      - .offset:         32
        .size:           8
        .value_kind:     by_value
      - .offset:         40
        .size:           4
        .value_kind:     by_value
      - .offset:         44
        .size:           4
        .value_kind:     by_value
      - .offset:         48
        .size:           4
        .value_kind:     by_value
      - .offset:         52
        .size:           4
        .value_kind:     by_value
      - .offset:         56
        .size:           4
        .value_kind:     hidden_block_count_x
      - .offset:         60
        .size:           4
        .value_kind:     hidden_block_count_y
      - .offset:         64
        .size:           4
        .value_kind:     hidden_block_count_z
      - .offset:         68
        .size:           2
        .value_kind:     hidden_group_size_x
      - .offset:         70
        .size:           2
        .value_kind:     hidden_group_size_y
      - .offset:         72
        .size:           2
        .value_kind:     hidden_group_size_z
      - .offset:         74
        .size:           2
        .value_kind:     hidden_remainder_x
      - .offset:         76
        .size:           2
        .value_kind:     hidden_remainder_y
      - .offset:         78
        .size:           2
        .value_kind:     hidden_remainder_z
      - .offset:         96
        .size:           8
        .value_kind:     hidden_global_offset_x
      - .offset:         104
        .size:           8
        .value_kind:     hidden_global_offset_y
      - .offset:         112
        .size:           8
        .value_kind:     hidden_global_offset_z
      - .offset:         120
        .size:           2
        .value_kind:     hidden_grid_dims
      - .offset:         176
        .size:           4
        .value_kind:     hidden_dynamic_lds_size
    .group_segment_fixed_size: 0
    .kernarg_segment_align: 8
    .kernarg_segment_size: 312
    .language:       OpenCL C
    .language_version:
      - 2
      - 0
    .max_flat_workgroup_size: 1024
    .name:           _ZN5aiter20topk_softplus_kernelI6__half12hip_bfloat16Dv1_fLb1ELi0EEEvPKT_PKT0_PfPimiiif
    .private_segment_fixed_size: 0
    .sgpr_count:     24
    .sgpr_spill_count: 0
    .symbol:         _ZN5aiter20topk_softplus_kernelI6__half12hip_bfloat16Dv1_fLb1ELi0EEEvPKT_PKT0_PfPimiiif.kd
    .uniform_work_group_size: 1
    .uses_dynamic_stack: false
    .vgpr_count:     12
    .vgpr_spill_count: 0
    .wavefront_size: 32
    .workgroup_processor_mode: 1
  - .args:
      - .actual_access:  read_only
        .address_space:  global
        .offset:         0
        .size:           8
        .value_kind:     global_buffer
      - .actual_access:  read_only
        .address_space:  global
        .offset:         8
        .size:           8
        .value_kind:     global_buffer
      - .actual_access:  write_only
        .address_space:  global
        .offset:         16
        .size:           8
        .value_kind:     global_buffer
      - .actual_access:  write_only
        .address_space:  global
        .offset:         24
        .size:           8
        .value_kind:     global_buffer
      - .offset:         32
        .size:           8
        .value_kind:     by_value
      - .offset:         40
        .size:           4
        .value_kind:     by_value
      - .offset:         44
        .size:           4
        .value_kind:     by_value
      - .offset:         48
        .size:           4
        .value_kind:     by_value
      - .offset:         52
        .size:           4
        .value_kind:     by_value
      - .offset:         56
        .size:           4
        .value_kind:     hidden_block_count_x
      - .offset:         60
        .size:           4
        .value_kind:     hidden_block_count_y
      - .offset:         64
        .size:           4
        .value_kind:     hidden_block_count_z
      - .offset:         68
        .size:           2
        .value_kind:     hidden_group_size_x
      - .offset:         70
        .size:           2
        .value_kind:     hidden_group_size_y
      - .offset:         72
        .size:           2
        .value_kind:     hidden_group_size_z
      - .offset:         74
        .size:           2
        .value_kind:     hidden_remainder_x
      - .offset:         76
        .size:           2
        .value_kind:     hidden_remainder_y
      - .offset:         78
        .size:           2
        .value_kind:     hidden_remainder_z
      - .offset:         96
        .size:           8
        .value_kind:     hidden_global_offset_x
      - .offset:         104
        .size:           8
        .value_kind:     hidden_global_offset_y
      - .offset:         112
        .size:           8
        .value_kind:     hidden_global_offset_z
      - .offset:         120
        .size:           2
        .value_kind:     hidden_grid_dims
      - .offset:         176
        .size:           4
        .value_kind:     hidden_dynamic_lds_size
    .group_segment_fixed_size: 0
    .kernarg_segment_align: 8
    .kernarg_segment_size: 312
    .language:       OpenCL C
    .language_version:
      - 2
      - 0
    .max_flat_workgroup_size: 1024
    .name:           _ZN5aiter20topk_softplus_kernelI6__half12hip_bfloat16Dv1_fLb0ELi0EEEvPKT_PKT0_PfPimiiif
    .private_segment_fixed_size: 0
    .sgpr_count:     24
    .sgpr_spill_count: 0
    .symbol:         _ZN5aiter20topk_softplus_kernelI6__half12hip_bfloat16Dv1_fLb0ELi0EEEvPKT_PKT0_PfPimiiif.kd
    .uniform_work_group_size: 1
    .uses_dynamic_stack: false
    .vgpr_count:     12
    .vgpr_spill_count: 0
    .wavefront_size: 32
    .workgroup_processor_mode: 1
  - .args:
      - .actual_access:  read_only
        .address_space:  global
        .offset:         0
        .size:           8
        .value_kind:     global_buffer
      - .actual_access:  read_only
        .address_space:  global
        .offset:         8
        .size:           8
        .value_kind:     global_buffer
      - .actual_access:  write_only
        .address_space:  global
        .offset:         16
        .size:           8
        .value_kind:     global_buffer
      - .actual_access:  write_only
        .address_space:  global
        .offset:         24
        .size:           8
        .value_kind:     global_buffer
      - .offset:         32
        .size:           8
        .value_kind:     by_value
      - .offset:         40
        .size:           4
        .value_kind:     by_value
      - .offset:         44
        .size:           4
        .value_kind:     by_value
      - .offset:         48
        .size:           4
        .value_kind:     by_value
    .group_segment_fixed_size: 0
    .kernarg_segment_align: 8
    .kernarg_segment_size: 52
    .language:       OpenCL C
    .language_version:
      - 2
      - 0
    .max_flat_workgroup_size: 1024
    .name:           _ZN5aiter24topk_softplus_kernel_optI12hip_bfloat16fLi64ELb1ELi1EEEvPKT_PKT0_PfPimiif
    .private_segment_fixed_size: 0
    .sgpr_count:     18
    .sgpr_spill_count: 0
    .symbol:         _ZN5aiter24topk_softplus_kernel_optI12hip_bfloat16fLi64ELb1ELi1EEEvPKT_PKT0_PfPimiif.kd
    .uniform_work_group_size: 1
    .uses_dynamic_stack: false
    .vgpr_count:     18
    .vgpr_spill_count: 0
    .wavefront_size: 32
    .workgroup_processor_mode: 1
  - .args:
      - .actual_access:  read_only
        .address_space:  global
        .offset:         0
        .size:           8
        .value_kind:     global_buffer
      - .actual_access:  read_only
        .address_space:  global
        .offset:         8
        .size:           8
        .value_kind:     global_buffer
      - .actual_access:  write_only
        .address_space:  global
        .offset:         16
        .size:           8
        .value_kind:     global_buffer
      - .actual_access:  write_only
        .address_space:  global
        .offset:         24
        .size:           8
        .value_kind:     global_buffer
      - .offset:         32
        .size:           8
        .value_kind:     by_value
      - .offset:         40
        .size:           4
        .value_kind:     by_value
      - .offset:         44
        .size:           4
        .value_kind:     by_value
      - .offset:         48
        .size:           4
        .value_kind:     by_value
    .group_segment_fixed_size: 0
    .kernarg_segment_align: 8
    .kernarg_segment_size: 52
    .language:       OpenCL C
    .language_version:
      - 2
      - 0
    .max_flat_workgroup_size: 1024
    .name:           _ZN5aiter24topk_softplus_kernel_optI12hip_bfloat16fLi64ELb0ELi1EEEvPKT_PKT0_PfPimiif
    .private_segment_fixed_size: 0
    .sgpr_count:     18
    .sgpr_spill_count: 0
    .symbol:         _ZN5aiter24topk_softplus_kernel_optI12hip_bfloat16fLi64ELb0ELi1EEEvPKT_PKT0_PfPimiif.kd
    .uniform_work_group_size: 1
    .uses_dynamic_stack: false
    .vgpr_count:     15
    .vgpr_spill_count: 0
    .wavefront_size: 32
    .workgroup_processor_mode: 1
  - .args:
      - .actual_access:  read_only
        .address_space:  global
        .offset:         0
        .size:           8
        .value_kind:     global_buffer
      - .actual_access:  read_only
        .address_space:  global
        .offset:         8
        .size:           8
        .value_kind:     global_buffer
      - .actual_access:  write_only
        .address_space:  global
        .offset:         16
        .size:           8
        .value_kind:     global_buffer
      - .actual_access:  write_only
        .address_space:  global
        .offset:         24
        .size:           8
        .value_kind:     global_buffer
      - .offset:         32
        .size:           8
        .value_kind:     by_value
      - .offset:         40
        .size:           4
        .value_kind:     by_value
      - .offset:         44
        .size:           4
        .value_kind:     by_value
      - .offset:         48
        .size:           4
        .value_kind:     by_value
    .group_segment_fixed_size: 0
    .kernarg_segment_align: 8
    .kernarg_segment_size: 52
    .language:       OpenCL C
    .language_version:
      - 2
      - 0
    .max_flat_workgroup_size: 1024
    .name:           _ZN5aiter24topk_softplus_kernel_optI12hip_bfloat16fLi128ELb1ELi1EEEvPKT_PKT0_PfPimiif
    .private_segment_fixed_size: 0
    .sgpr_count:     18
    .sgpr_spill_count: 0
    .symbol:         _ZN5aiter24topk_softplus_kernel_optI12hip_bfloat16fLi128ELb1ELi1EEEvPKT_PKT0_PfPimiif.kd
    .uniform_work_group_size: 1
    .uses_dynamic_stack: false
    .vgpr_count:     25
    .vgpr_spill_count: 0
    .wavefront_size: 32
    .workgroup_processor_mode: 1
  - .args:
      - .actual_access:  read_only
        .address_space:  global
        .offset:         0
        .size:           8
        .value_kind:     global_buffer
      - .actual_access:  read_only
        .address_space:  global
        .offset:         8
        .size:           8
        .value_kind:     global_buffer
      - .actual_access:  write_only
        .address_space:  global
        .offset:         16
        .size:           8
        .value_kind:     global_buffer
      - .actual_access:  write_only
        .address_space:  global
        .offset:         24
        .size:           8
        .value_kind:     global_buffer
      - .offset:         32
        .size:           8
        .value_kind:     by_value
      - .offset:         40
        .size:           4
        .value_kind:     by_value
      - .offset:         44
        .size:           4
        .value_kind:     by_value
      - .offset:         48
        .size:           4
        .value_kind:     by_value
    .group_segment_fixed_size: 0
    .kernarg_segment_align: 8
    .kernarg_segment_size: 52
    .language:       OpenCL C
    .language_version:
      - 2
      - 0
    .max_flat_workgroup_size: 1024
    .name:           _ZN5aiter24topk_softplus_kernel_optI12hip_bfloat16fLi128ELb0ELi1EEEvPKT_PKT0_PfPimiif
    .private_segment_fixed_size: 0
    .sgpr_count:     18
    .sgpr_spill_count: 0
    .symbol:         _ZN5aiter24topk_softplus_kernel_optI12hip_bfloat16fLi128ELb0ELi1EEEvPKT_PKT0_PfPimiif.kd
    .uniform_work_group_size: 1
    .uses_dynamic_stack: false
    .vgpr_count:     23
    .vgpr_spill_count: 0
    .wavefront_size: 32
    .workgroup_processor_mode: 1
  - .args:
      - .actual_access:  read_only
        .address_space:  global
        .offset:         0
        .size:           8
        .value_kind:     global_buffer
      - .actual_access:  read_only
        .address_space:  global
        .offset:         8
        .size:           8
        .value_kind:     global_buffer
      - .actual_access:  write_only
        .address_space:  global
        .offset:         16
        .size:           8
        .value_kind:     global_buffer
      - .actual_access:  write_only
        .address_space:  global
        .offset:         24
        .size:           8
        .value_kind:     global_buffer
      - .offset:         32
        .size:           8
        .value_kind:     by_value
      - .offset:         40
        .size:           4
        .value_kind:     by_value
      - .offset:         44
        .size:           4
        .value_kind:     by_value
      - .offset:         48
        .size:           4
        .value_kind:     by_value
    .group_segment_fixed_size: 0
    .kernarg_segment_align: 8
    .kernarg_segment_size: 52
    .language:       OpenCL C
    .language_version:
      - 2
      - 0
    .max_flat_workgroup_size: 1024
    .name:           _ZN5aiter24topk_softplus_kernel_optI12hip_bfloat16fLi256ELb1ELi1EEEvPKT_PKT0_PfPimiif
    .private_segment_fixed_size: 0
    .sgpr_count:     18
    .sgpr_spill_count: 0
    .symbol:         _ZN5aiter24topk_softplus_kernel_optI12hip_bfloat16fLi256ELb1ELi1EEEvPKT_PKT0_PfPimiif.kd
    .uniform_work_group_size: 1
    .uses_dynamic_stack: false
    .vgpr_count:     104
    .vgpr_spill_count: 0
    .wavefront_size: 32
    .workgroup_processor_mode: 1
  - .args:
      - .actual_access:  read_only
        .address_space:  global
        .offset:         0
        .size:           8
        .value_kind:     global_buffer
      - .actual_access:  read_only
        .address_space:  global
        .offset:         8
        .size:           8
        .value_kind:     global_buffer
      - .actual_access:  write_only
        .address_space:  global
        .offset:         16
        .size:           8
        .value_kind:     global_buffer
      - .actual_access:  write_only
        .address_space:  global
        .offset:         24
        .size:           8
        .value_kind:     global_buffer
      - .offset:         32
        .size:           8
        .value_kind:     by_value
      - .offset:         40
        .size:           4
        .value_kind:     by_value
      - .offset:         44
        .size:           4
        .value_kind:     by_value
      - .offset:         48
        .size:           4
        .value_kind:     by_value
    .group_segment_fixed_size: 0
    .kernarg_segment_align: 8
    .kernarg_segment_size: 52
    .language:       OpenCL C
    .language_version:
      - 2
      - 0
    .max_flat_workgroup_size: 1024
    .name:           _ZN5aiter24topk_softplus_kernel_optI12hip_bfloat16fLi256ELb0ELi1EEEvPKT_PKT0_PfPimiif
    .private_segment_fixed_size: 0
    .sgpr_count:     18
    .sgpr_spill_count: 0
    .symbol:         _ZN5aiter24topk_softplus_kernel_optI12hip_bfloat16fLi256ELb0ELi1EEEvPKT_PKT0_PfPimiif.kd
    .uniform_work_group_size: 1
    .uses_dynamic_stack: false
    .vgpr_count:     104
    .vgpr_spill_count: 0
    .wavefront_size: 32
    .workgroup_processor_mode: 1
  - .args:
      - .actual_access:  read_only
        .address_space:  global
        .offset:         0
        .size:           8
        .value_kind:     global_buffer
      - .actual_access:  read_only
        .address_space:  global
        .offset:         8
        .size:           8
        .value_kind:     global_buffer
      - .actual_access:  write_only
        .address_space:  global
        .offset:         16
        .size:           8
        .value_kind:     global_buffer
      - .actual_access:  write_only
        .address_space:  global
        .offset:         24
        .size:           8
        .value_kind:     global_buffer
      - .offset:         32
        .size:           8
        .value_kind:     by_value
      - .offset:         40
        .size:           4
        .value_kind:     by_value
      - .offset:         44
        .size:           4
        .value_kind:     by_value
      - .offset:         48
        .size:           4
        .value_kind:     by_value
    .group_segment_fixed_size: 0
    .kernarg_segment_align: 8
    .kernarg_segment_size: 52
    .language:       OpenCL C
    .language_version:
      - 2
      - 0
    .max_flat_workgroup_size: 1024
    .name:           _ZN5aiter24topk_softplus_kernel_optI12hip_bfloat16fLi384ELb1ELi1EEEvPKT_PKT0_PfPimiif
    .private_segment_fixed_size: 196
    .sgpr_count:     18
    .sgpr_spill_count: 0
    .symbol:         _ZN5aiter24topk_softplus_kernel_optI12hip_bfloat16fLi384ELb1ELi1EEEvPKT_PKT0_PfPimiif.kd
    .uniform_work_group_size: 1
    .uses_dynamic_stack: false
    .vgpr_count:     184
    .vgpr_spill_count: 300
    .wavefront_size: 32
    .workgroup_processor_mode: 1
  - .args:
      - .actual_access:  read_only
        .address_space:  global
        .offset:         0
        .size:           8
        .value_kind:     global_buffer
      - .actual_access:  read_only
        .address_space:  global
        .offset:         8
        .size:           8
        .value_kind:     global_buffer
      - .actual_access:  write_only
        .address_space:  global
        .offset:         16
        .size:           8
        .value_kind:     global_buffer
      - .actual_access:  write_only
        .address_space:  global
        .offset:         24
        .size:           8
        .value_kind:     global_buffer
      - .offset:         32
        .size:           8
        .value_kind:     by_value
      - .offset:         40
        .size:           4
        .value_kind:     by_value
      - .offset:         44
        .size:           4
        .value_kind:     by_value
      - .offset:         48
        .size:           4
        .value_kind:     by_value
    .group_segment_fixed_size: 0
    .kernarg_segment_align: 8
    .kernarg_segment_size: 52
    .language:       OpenCL C
    .language_version:
      - 2
      - 0
    .max_flat_workgroup_size: 1024
    .name:           _ZN5aiter24topk_softplus_kernel_optI12hip_bfloat16fLi384ELb0ELi1EEEvPKT_PKT0_PfPimiif
    .private_segment_fixed_size: 196
    .sgpr_count:     18
    .sgpr_spill_count: 0
    .symbol:         _ZN5aiter24topk_softplus_kernel_optI12hip_bfloat16fLi384ELb0ELi1EEEvPKT_PKT0_PfPimiif.kd
    .uniform_work_group_size: 1
    .uses_dynamic_stack: false
    .vgpr_count:     184
    .vgpr_spill_count: 300
    .wavefront_size: 32
    .workgroup_processor_mode: 1
  - .args:
      - .actual_access:  read_only
        .address_space:  global
        .offset:         0
        .size:           8
        .value_kind:     global_buffer
      - .actual_access:  read_only
        .address_space:  global
        .offset:         8
        .size:           8
        .value_kind:     global_buffer
      - .actual_access:  write_only
        .address_space:  global
        .offset:         16
        .size:           8
        .value_kind:     global_buffer
      - .actual_access:  write_only
        .address_space:  global
        .offset:         24
        .size:           8
        .value_kind:     global_buffer
      - .offset:         32
        .size:           8
        .value_kind:     by_value
      - .offset:         40
        .size:           4
        .value_kind:     by_value
      - .offset:         44
        .size:           4
        .value_kind:     by_value
      - .offset:         48
        .size:           4
        .value_kind:     by_value
      - .offset:         52
        .size:           4
        .value_kind:     by_value
      - .offset:         56
        .size:           4
        .value_kind:     hidden_block_count_x
      - .offset:         60
        .size:           4
        .value_kind:     hidden_block_count_y
      - .offset:         64
        .size:           4
        .value_kind:     hidden_block_count_z
      - .offset:         68
        .size:           2
        .value_kind:     hidden_group_size_x
      - .offset:         70
        .size:           2
        .value_kind:     hidden_group_size_y
      - .offset:         72
        .size:           2
        .value_kind:     hidden_group_size_z
      - .offset:         74
        .size:           2
        .value_kind:     hidden_remainder_x
      - .offset:         76
        .size:           2
        .value_kind:     hidden_remainder_y
      - .offset:         78
        .size:           2
        .value_kind:     hidden_remainder_z
      - .offset:         96
        .size:           8
        .value_kind:     hidden_global_offset_x
      - .offset:         104
        .size:           8
        .value_kind:     hidden_global_offset_y
      - .offset:         112
        .size:           8
        .value_kind:     hidden_global_offset_z
      - .offset:         120
        .size:           2
        .value_kind:     hidden_grid_dims
      - .offset:         176
        .size:           4
        .value_kind:     hidden_dynamic_lds_size
    .group_segment_fixed_size: 0
    .kernarg_segment_align: 8
    .kernarg_segment_size: 312
    .language:       OpenCL C
    .language_version:
      - 2
      - 0
    .max_flat_workgroup_size: 1024
    .name:           _ZN5aiter20topk_softplus_kernelI12hip_bfloat16fDv4_fLb1ELi1EEEvPKT_PKT0_PfPimiiif
    .private_segment_fixed_size: 0
    .sgpr_count:     33
    .sgpr_spill_count: 0
    .symbol:         _ZN5aiter20topk_softplus_kernelI12hip_bfloat16fDv4_fLb1ELi1EEEvPKT_PKT0_PfPimiiif.kd
    .uniform_work_group_size: 1
    .uses_dynamic_stack: false
    .vgpr_count:     17
    .vgpr_spill_count: 0
    .wavefront_size: 32
    .workgroup_processor_mode: 1
  - .args:
      - .actual_access:  read_only
        .address_space:  global
        .offset:         0
        .size:           8
        .value_kind:     global_buffer
      - .actual_access:  read_only
        .address_space:  global
        .offset:         8
        .size:           8
        .value_kind:     global_buffer
      - .actual_access:  write_only
        .address_space:  global
        .offset:         16
        .size:           8
        .value_kind:     global_buffer
      - .actual_access:  write_only
        .address_space:  global
        .offset:         24
        .size:           8
        .value_kind:     global_buffer
      - .offset:         32
        .size:           8
        .value_kind:     by_value
      - .offset:         40
        .size:           4
        .value_kind:     by_value
      - .offset:         44
        .size:           4
        .value_kind:     by_value
      - .offset:         48
        .size:           4
        .value_kind:     by_value
      - .offset:         52
        .size:           4
        .value_kind:     by_value
      - .offset:         56
        .size:           4
        .value_kind:     hidden_block_count_x
      - .offset:         60
        .size:           4
        .value_kind:     hidden_block_count_y
      - .offset:         64
        .size:           4
        .value_kind:     hidden_block_count_z
      - .offset:         68
        .size:           2
        .value_kind:     hidden_group_size_x
      - .offset:         70
        .size:           2
        .value_kind:     hidden_group_size_y
      - .offset:         72
        .size:           2
        .value_kind:     hidden_group_size_z
      - .offset:         74
        .size:           2
        .value_kind:     hidden_remainder_x
      - .offset:         76
        .size:           2
        .value_kind:     hidden_remainder_y
      - .offset:         78
        .size:           2
        .value_kind:     hidden_remainder_z
      - .offset:         96
        .size:           8
        .value_kind:     hidden_global_offset_x
      - .offset:         104
        .size:           8
        .value_kind:     hidden_global_offset_y
      - .offset:         112
        .size:           8
        .value_kind:     hidden_global_offset_z
      - .offset:         120
        .size:           2
        .value_kind:     hidden_grid_dims
      - .offset:         176
        .size:           4
        .value_kind:     hidden_dynamic_lds_size
    .group_segment_fixed_size: 0
    .kernarg_segment_align: 8
    .kernarg_segment_size: 312
    .language:       OpenCL C
    .language_version:
      - 2
      - 0
    .max_flat_workgroup_size: 1024
    .name:           _ZN5aiter20topk_softplus_kernelI12hip_bfloat16fDv4_fLb0ELi1EEEvPKT_PKT0_PfPimiiif
    .private_segment_fixed_size: 0
    .sgpr_count:     33
    .sgpr_spill_count: 0
    .symbol:         _ZN5aiter20topk_softplus_kernelI12hip_bfloat16fDv4_fLb0ELi1EEEvPKT_PKT0_PfPimiiif.kd
    .uniform_work_group_size: 1
    .uses_dynamic_stack: false
    .vgpr_count:     17
    .vgpr_spill_count: 0
    .wavefront_size: 32
    .workgroup_processor_mode: 1
  - .args:
      - .actual_access:  read_only
        .address_space:  global
        .offset:         0
        .size:           8
        .value_kind:     global_buffer
      - .actual_access:  read_only
        .address_space:  global
        .offset:         8
        .size:           8
        .value_kind:     global_buffer
      - .actual_access:  write_only
        .address_space:  global
        .offset:         16
        .size:           8
        .value_kind:     global_buffer
      - .actual_access:  write_only
        .address_space:  global
        .offset:         24
        .size:           8
        .value_kind:     global_buffer
      - .offset:         32
        .size:           8
        .value_kind:     by_value
      - .offset:         40
        .size:           4
        .value_kind:     by_value
      - .offset:         44
        .size:           4
        .value_kind:     by_value
      - .offset:         48
        .size:           4
        .value_kind:     by_value
      - .offset:         52
        .size:           4
        .value_kind:     by_value
      - .offset:         56
        .size:           4
        .value_kind:     hidden_block_count_x
      - .offset:         60
        .size:           4
        .value_kind:     hidden_block_count_y
      - .offset:         64
        .size:           4
        .value_kind:     hidden_block_count_z
      - .offset:         68
        .size:           2
        .value_kind:     hidden_group_size_x
      - .offset:         70
        .size:           2
        .value_kind:     hidden_group_size_y
      - .offset:         72
        .size:           2
        .value_kind:     hidden_group_size_z
      - .offset:         74
        .size:           2
        .value_kind:     hidden_remainder_x
      - .offset:         76
        .size:           2
        .value_kind:     hidden_remainder_y
      - .offset:         78
        .size:           2
        .value_kind:     hidden_remainder_z
      - .offset:         96
        .size:           8
        .value_kind:     hidden_global_offset_x
      - .offset:         104
        .size:           8
        .value_kind:     hidden_global_offset_y
      - .offset:         112
        .size:           8
        .value_kind:     hidden_global_offset_z
      - .offset:         120
        .size:           2
        .value_kind:     hidden_grid_dims
      - .offset:         176
        .size:           4
        .value_kind:     hidden_dynamic_lds_size
    .group_segment_fixed_size: 0
    .kernarg_segment_align: 8
    .kernarg_segment_size: 312
    .language:       OpenCL C
    .language_version:
      - 2
      - 0
    .max_flat_workgroup_size: 1024
    .name:           _ZN5aiter20topk_softplus_kernelI12hip_bfloat16fDv2_fLb1ELi1EEEvPKT_PKT0_PfPimiiif
    .private_segment_fixed_size: 0
    .sgpr_count:     26
    .sgpr_spill_count: 0
    .symbol:         _ZN5aiter20topk_softplus_kernelI12hip_bfloat16fDv2_fLb1ELi1EEEvPKT_PKT0_PfPimiiif.kd
    .uniform_work_group_size: 1
    .uses_dynamic_stack: false
    .vgpr_count:     14
    .vgpr_spill_count: 0
    .wavefront_size: 32
    .workgroup_processor_mode: 1
  - .args:
      - .actual_access:  read_only
        .address_space:  global
        .offset:         0
        .size:           8
        .value_kind:     global_buffer
      - .actual_access:  read_only
        .address_space:  global
        .offset:         8
        .size:           8
        .value_kind:     global_buffer
      - .actual_access:  write_only
        .address_space:  global
        .offset:         16
        .size:           8
        .value_kind:     global_buffer
      - .actual_access:  write_only
        .address_space:  global
        .offset:         24
        .size:           8
        .value_kind:     global_buffer
      - .offset:         32
        .size:           8
        .value_kind:     by_value
      - .offset:         40
        .size:           4
        .value_kind:     by_value
      - .offset:         44
        .size:           4
        .value_kind:     by_value
      - .offset:         48
        .size:           4
        .value_kind:     by_value
      - .offset:         52
        .size:           4
        .value_kind:     by_value
      - .offset:         56
        .size:           4
        .value_kind:     hidden_block_count_x
      - .offset:         60
        .size:           4
        .value_kind:     hidden_block_count_y
      - .offset:         64
        .size:           4
        .value_kind:     hidden_block_count_z
      - .offset:         68
        .size:           2
        .value_kind:     hidden_group_size_x
      - .offset:         70
        .size:           2
        .value_kind:     hidden_group_size_y
      - .offset:         72
        .size:           2
        .value_kind:     hidden_group_size_z
      - .offset:         74
        .size:           2
        .value_kind:     hidden_remainder_x
      - .offset:         76
        .size:           2
        .value_kind:     hidden_remainder_y
      - .offset:         78
        .size:           2
        .value_kind:     hidden_remainder_z
      - .offset:         96
        .size:           8
        .value_kind:     hidden_global_offset_x
      - .offset:         104
        .size:           8
        .value_kind:     hidden_global_offset_y
      - .offset:         112
        .size:           8
        .value_kind:     hidden_global_offset_z
      - .offset:         120
        .size:           2
        .value_kind:     hidden_grid_dims
      - .offset:         176
        .size:           4
        .value_kind:     hidden_dynamic_lds_size
    .group_segment_fixed_size: 0
    .kernarg_segment_align: 8
    .kernarg_segment_size: 312
    .language:       OpenCL C
    .language_version:
      - 2
      - 0
    .max_flat_workgroup_size: 1024
    .name:           _ZN5aiter20topk_softplus_kernelI12hip_bfloat16fDv2_fLb0ELi1EEEvPKT_PKT0_PfPimiiif
    .private_segment_fixed_size: 0
    .sgpr_count:     26
    .sgpr_spill_count: 0
    .symbol:         _ZN5aiter20topk_softplus_kernelI12hip_bfloat16fDv2_fLb0ELi1EEEvPKT_PKT0_PfPimiiif.kd
    .uniform_work_group_size: 1
    .uses_dynamic_stack: false
    .vgpr_count:     13
    .vgpr_spill_count: 0
    .wavefront_size: 32
    .workgroup_processor_mode: 1
  - .args:
      - .actual_access:  read_only
        .address_space:  global
        .offset:         0
        .size:           8
        .value_kind:     global_buffer
      - .actual_access:  read_only
        .address_space:  global
        .offset:         8
        .size:           8
        .value_kind:     global_buffer
      - .actual_access:  write_only
        .address_space:  global
        .offset:         16
        .size:           8
        .value_kind:     global_buffer
      - .actual_access:  write_only
        .address_space:  global
        .offset:         24
        .size:           8
        .value_kind:     global_buffer
      - .offset:         32
        .size:           8
        .value_kind:     by_value
      - .offset:         40
        .size:           4
        .value_kind:     by_value
      - .offset:         44
        .size:           4
        .value_kind:     by_value
      - .offset:         48
        .size:           4
        .value_kind:     by_value
      - .offset:         52
        .size:           4
        .value_kind:     by_value
      - .offset:         56
        .size:           4
        .value_kind:     hidden_block_count_x
      - .offset:         60
        .size:           4
        .value_kind:     hidden_block_count_y
      - .offset:         64
        .size:           4
        .value_kind:     hidden_block_count_z
      - .offset:         68
        .size:           2
        .value_kind:     hidden_group_size_x
      - .offset:         70
        .size:           2
        .value_kind:     hidden_group_size_y
      - .offset:         72
        .size:           2
        .value_kind:     hidden_group_size_z
      - .offset:         74
        .size:           2
        .value_kind:     hidden_remainder_x
      - .offset:         76
        .size:           2
        .value_kind:     hidden_remainder_y
      - .offset:         78
        .size:           2
        .value_kind:     hidden_remainder_z
      - .offset:         96
        .size:           8
        .value_kind:     hidden_global_offset_x
      - .offset:         104
        .size:           8
        .value_kind:     hidden_global_offset_y
      - .offset:         112
        .size:           8
        .value_kind:     hidden_global_offset_z
      - .offset:         120
        .size:           2
        .value_kind:     hidden_grid_dims
      - .offset:         176
        .size:           4
        .value_kind:     hidden_dynamic_lds_size
    .group_segment_fixed_size: 0
    .kernarg_segment_align: 8
    .kernarg_segment_size: 312
    .language:       OpenCL C
    .language_version:
      - 2
      - 0
    .max_flat_workgroup_size: 1024
    .name:           _ZN5aiter20topk_softplus_kernelI12hip_bfloat16fDv1_fLb1ELi1EEEvPKT_PKT0_PfPimiiif
    .private_segment_fixed_size: 0
    .sgpr_count:     24
    .sgpr_spill_count: 0
    .symbol:         _ZN5aiter20topk_softplus_kernelI12hip_bfloat16fDv1_fLb1ELi1EEEvPKT_PKT0_PfPimiiif.kd
    .uniform_work_group_size: 1
    .uses_dynamic_stack: false
    .vgpr_count:     11
    .vgpr_spill_count: 0
    .wavefront_size: 32
    .workgroup_processor_mode: 1
  - .args:
      - .actual_access:  read_only
        .address_space:  global
        .offset:         0
        .size:           8
        .value_kind:     global_buffer
      - .actual_access:  read_only
        .address_space:  global
        .offset:         8
        .size:           8
        .value_kind:     global_buffer
      - .actual_access:  write_only
        .address_space:  global
        .offset:         16
        .size:           8
        .value_kind:     global_buffer
      - .actual_access:  write_only
        .address_space:  global
        .offset:         24
        .size:           8
        .value_kind:     global_buffer
      - .offset:         32
        .size:           8
        .value_kind:     by_value
      - .offset:         40
        .size:           4
        .value_kind:     by_value
      - .offset:         44
        .size:           4
        .value_kind:     by_value
      - .offset:         48
        .size:           4
        .value_kind:     by_value
      - .offset:         52
        .size:           4
        .value_kind:     by_value
      - .offset:         56
        .size:           4
        .value_kind:     hidden_block_count_x
      - .offset:         60
        .size:           4
        .value_kind:     hidden_block_count_y
      - .offset:         64
        .size:           4
        .value_kind:     hidden_block_count_z
      - .offset:         68
        .size:           2
        .value_kind:     hidden_group_size_x
      - .offset:         70
        .size:           2
        .value_kind:     hidden_group_size_y
      - .offset:         72
        .size:           2
        .value_kind:     hidden_group_size_z
      - .offset:         74
        .size:           2
        .value_kind:     hidden_remainder_x
      - .offset:         76
        .size:           2
        .value_kind:     hidden_remainder_y
      - .offset:         78
        .size:           2
        .value_kind:     hidden_remainder_z
      - .offset:         96
        .size:           8
        .value_kind:     hidden_global_offset_x
      - .offset:         104
        .size:           8
        .value_kind:     hidden_global_offset_y
      - .offset:         112
        .size:           8
        .value_kind:     hidden_global_offset_z
      - .offset:         120
        .size:           2
        .value_kind:     hidden_grid_dims
      - .offset:         176
        .size:           4
        .value_kind:     hidden_dynamic_lds_size
    .group_segment_fixed_size: 0
    .kernarg_segment_align: 8
    .kernarg_segment_size: 312
    .language:       OpenCL C
    .language_version:
      - 2
      - 0
    .max_flat_workgroup_size: 1024
    .name:           _ZN5aiter20topk_softplus_kernelI12hip_bfloat16fDv1_fLb0ELi1EEEvPKT_PKT0_PfPimiiif
    .private_segment_fixed_size: 0
    .sgpr_count:     24
    .sgpr_spill_count: 0
    .symbol:         _ZN5aiter20topk_softplus_kernelI12hip_bfloat16fDv1_fLb0ELi1EEEvPKT_PKT0_PfPimiiif.kd
    .uniform_work_group_size: 1
    .uses_dynamic_stack: false
    .vgpr_count:     10
    .vgpr_spill_count: 0
    .wavefront_size: 32
    .workgroup_processor_mode: 1
  - .args:
      - .actual_access:  read_only
        .address_space:  global
        .offset:         0
        .size:           8
        .value_kind:     global_buffer
      - .actual_access:  read_only
        .address_space:  global
        .offset:         8
        .size:           8
        .value_kind:     global_buffer
      - .actual_access:  write_only
        .address_space:  global
        .offset:         16
        .size:           8
        .value_kind:     global_buffer
      - .actual_access:  write_only
        .address_space:  global
        .offset:         24
        .size:           8
        .value_kind:     global_buffer
      - .offset:         32
        .size:           8
        .value_kind:     by_value
      - .offset:         40
        .size:           4
        .value_kind:     by_value
      - .offset:         44
        .size:           4
        .value_kind:     by_value
      - .offset:         48
        .size:           4
        .value_kind:     by_value
      - .offset:         52
        .size:           4
        .value_kind:     by_value
      - .offset:         56
        .size:           4
        .value_kind:     hidden_block_count_x
      - .offset:         60
        .size:           4
        .value_kind:     hidden_block_count_y
      - .offset:         64
        .size:           4
        .value_kind:     hidden_block_count_z
      - .offset:         68
        .size:           2
        .value_kind:     hidden_group_size_x
      - .offset:         70
        .size:           2
        .value_kind:     hidden_group_size_y
      - .offset:         72
        .size:           2
        .value_kind:     hidden_group_size_z
      - .offset:         74
        .size:           2
        .value_kind:     hidden_remainder_x
      - .offset:         76
        .size:           2
        .value_kind:     hidden_remainder_y
      - .offset:         78
        .size:           2
        .value_kind:     hidden_remainder_z
      - .offset:         96
        .size:           8
        .value_kind:     hidden_global_offset_x
      - .offset:         104
        .size:           8
        .value_kind:     hidden_global_offset_y
      - .offset:         112
        .size:           8
        .value_kind:     hidden_global_offset_z
      - .offset:         120
        .size:           2
        .value_kind:     hidden_grid_dims
      - .offset:         176
        .size:           4
        .value_kind:     hidden_dynamic_lds_size
    .group_segment_fixed_size: 0
    .kernarg_segment_align: 8
    .kernarg_segment_size: 312
    .language:       OpenCL C
    .language_version:
      - 2
      - 0
    .max_flat_workgroup_size: 1024
    .name:           _ZN5aiter20topk_softplus_kernelI12hip_bfloat16fDv4_fLb1ELi2EEEvPKT_PKT0_PfPimiiif
    .private_segment_fixed_size: 0
    .sgpr_count:     25
    .sgpr_spill_count: 0
    .symbol:         _ZN5aiter20topk_softplus_kernelI12hip_bfloat16fDv4_fLb1ELi2EEEvPKT_PKT0_PfPimiiif.kd
    .uniform_work_group_size: 1
    .uses_dynamic_stack: false
    .vgpr_count:     16
    .vgpr_spill_count: 0
    .wavefront_size: 32
    .workgroup_processor_mode: 1
  - .args:
      - .actual_access:  read_only
        .address_space:  global
        .offset:         0
        .size:           8
        .value_kind:     global_buffer
      - .actual_access:  read_only
        .address_space:  global
        .offset:         8
        .size:           8
        .value_kind:     global_buffer
      - .actual_access:  write_only
        .address_space:  global
        .offset:         16
        .size:           8
        .value_kind:     global_buffer
      - .actual_access:  write_only
        .address_space:  global
        .offset:         24
        .size:           8
        .value_kind:     global_buffer
      - .offset:         32
        .size:           8
        .value_kind:     by_value
      - .offset:         40
        .size:           4
        .value_kind:     by_value
      - .offset:         44
        .size:           4
        .value_kind:     by_value
      - .offset:         48
        .size:           4
        .value_kind:     by_value
      - .offset:         52
        .size:           4
        .value_kind:     by_value
      - .offset:         56
        .size:           4
        .value_kind:     hidden_block_count_x
      - .offset:         60
        .size:           4
        .value_kind:     hidden_block_count_y
      - .offset:         64
        .size:           4
        .value_kind:     hidden_block_count_z
      - .offset:         68
        .size:           2
        .value_kind:     hidden_group_size_x
      - .offset:         70
        .size:           2
        .value_kind:     hidden_group_size_y
      - .offset:         72
        .size:           2
        .value_kind:     hidden_group_size_z
      - .offset:         74
        .size:           2
        .value_kind:     hidden_remainder_x
      - .offset:         76
        .size:           2
        .value_kind:     hidden_remainder_y
      - .offset:         78
        .size:           2
        .value_kind:     hidden_remainder_z
      - .offset:         96
        .size:           8
        .value_kind:     hidden_global_offset_x
      - .offset:         104
        .size:           8
        .value_kind:     hidden_global_offset_y
      - .offset:         112
        .size:           8
        .value_kind:     hidden_global_offset_z
      - .offset:         120
        .size:           2
        .value_kind:     hidden_grid_dims
      - .offset:         176
        .size:           4
        .value_kind:     hidden_dynamic_lds_size
    .group_segment_fixed_size: 0
    .kernarg_segment_align: 8
    .kernarg_segment_size: 312
    .language:       OpenCL C
    .language_version:
      - 2
      - 0
    .max_flat_workgroup_size: 1024
    .name:           _ZN5aiter20topk_softplus_kernelI12hip_bfloat16fDv4_fLb0ELi2EEEvPKT_PKT0_PfPimiiif
    .private_segment_fixed_size: 0
    .sgpr_count:     25
    .sgpr_spill_count: 0
    .symbol:         _ZN5aiter20topk_softplus_kernelI12hip_bfloat16fDv4_fLb0ELi2EEEvPKT_PKT0_PfPimiiif.kd
    .uniform_work_group_size: 1
    .uses_dynamic_stack: false
    .vgpr_count:     15
    .vgpr_spill_count: 0
    .wavefront_size: 32
    .workgroup_processor_mode: 1
  - .args:
      - .actual_access:  read_only
        .address_space:  global
        .offset:         0
        .size:           8
        .value_kind:     global_buffer
      - .actual_access:  read_only
        .address_space:  global
        .offset:         8
        .size:           8
        .value_kind:     global_buffer
      - .actual_access:  write_only
        .address_space:  global
        .offset:         16
        .size:           8
        .value_kind:     global_buffer
      - .actual_access:  write_only
        .address_space:  global
        .offset:         24
        .size:           8
        .value_kind:     global_buffer
      - .offset:         32
        .size:           8
        .value_kind:     by_value
      - .offset:         40
        .size:           4
        .value_kind:     by_value
      - .offset:         44
        .size:           4
        .value_kind:     by_value
      - .offset:         48
        .size:           4
        .value_kind:     by_value
      - .offset:         52
        .size:           4
        .value_kind:     by_value
      - .offset:         56
        .size:           4
        .value_kind:     hidden_block_count_x
      - .offset:         60
        .size:           4
        .value_kind:     hidden_block_count_y
      - .offset:         64
        .size:           4
        .value_kind:     hidden_block_count_z
      - .offset:         68
        .size:           2
        .value_kind:     hidden_group_size_x
      - .offset:         70
        .size:           2
        .value_kind:     hidden_group_size_y
      - .offset:         72
        .size:           2
        .value_kind:     hidden_group_size_z
      - .offset:         74
        .size:           2
        .value_kind:     hidden_remainder_x
      - .offset:         76
        .size:           2
        .value_kind:     hidden_remainder_y
      - .offset:         78
        .size:           2
        .value_kind:     hidden_remainder_z
      - .offset:         96
        .size:           8
        .value_kind:     hidden_global_offset_x
      - .offset:         104
        .size:           8
        .value_kind:     hidden_global_offset_y
      - .offset:         112
        .size:           8
        .value_kind:     hidden_global_offset_z
      - .offset:         120
        .size:           2
        .value_kind:     hidden_grid_dims
      - .offset:         176
        .size:           4
        .value_kind:     hidden_dynamic_lds_size
    .group_segment_fixed_size: 0
    .kernarg_segment_align: 8
    .kernarg_segment_size: 312
    .language:       OpenCL C
    .language_version:
      - 2
      - 0
    .max_flat_workgroup_size: 1024
    .name:           _ZN5aiter20topk_softplus_kernelI12hip_bfloat16fDv2_fLb1ELi2EEEvPKT_PKT0_PfPimiiif
    .private_segment_fixed_size: 0
    .sgpr_count:     25
    .sgpr_spill_count: 0
    .symbol:         _ZN5aiter20topk_softplus_kernelI12hip_bfloat16fDv2_fLb1ELi2EEEvPKT_PKT0_PfPimiiif.kd
    .uniform_work_group_size: 1
    .uses_dynamic_stack: false
    .vgpr_count:     14
    .vgpr_spill_count: 0
    .wavefront_size: 32
    .workgroup_processor_mode: 1
  - .args:
      - .actual_access:  read_only
        .address_space:  global
        .offset:         0
        .size:           8
        .value_kind:     global_buffer
      - .actual_access:  read_only
        .address_space:  global
        .offset:         8
        .size:           8
        .value_kind:     global_buffer
      - .actual_access:  write_only
        .address_space:  global
        .offset:         16
        .size:           8
        .value_kind:     global_buffer
      - .actual_access:  write_only
        .address_space:  global
        .offset:         24
        .size:           8
        .value_kind:     global_buffer
      - .offset:         32
        .size:           8
        .value_kind:     by_value
      - .offset:         40
        .size:           4
        .value_kind:     by_value
      - .offset:         44
        .size:           4
        .value_kind:     by_value
      - .offset:         48
        .size:           4
        .value_kind:     by_value
      - .offset:         52
        .size:           4
        .value_kind:     by_value
      - .offset:         56
        .size:           4
        .value_kind:     hidden_block_count_x
      - .offset:         60
        .size:           4
        .value_kind:     hidden_block_count_y
      - .offset:         64
        .size:           4
        .value_kind:     hidden_block_count_z
      - .offset:         68
        .size:           2
        .value_kind:     hidden_group_size_x
      - .offset:         70
        .size:           2
        .value_kind:     hidden_group_size_y
      - .offset:         72
        .size:           2
        .value_kind:     hidden_group_size_z
      - .offset:         74
        .size:           2
        .value_kind:     hidden_remainder_x
      - .offset:         76
        .size:           2
        .value_kind:     hidden_remainder_y
      - .offset:         78
        .size:           2
        .value_kind:     hidden_remainder_z
      - .offset:         96
        .size:           8
        .value_kind:     hidden_global_offset_x
      - .offset:         104
        .size:           8
        .value_kind:     hidden_global_offset_y
      - .offset:         112
        .size:           8
        .value_kind:     hidden_global_offset_z
      - .offset:         120
        .size:           2
        .value_kind:     hidden_grid_dims
      - .offset:         176
        .size:           4
        .value_kind:     hidden_dynamic_lds_size
    .group_segment_fixed_size: 0
    .kernarg_segment_align: 8
    .kernarg_segment_size: 312
    .language:       OpenCL C
    .language_version:
      - 2
      - 0
    .max_flat_workgroup_size: 1024
    .name:           _ZN5aiter20topk_softplus_kernelI12hip_bfloat16fDv2_fLb0ELi2EEEvPKT_PKT0_PfPimiiif
    .private_segment_fixed_size: 0
    .sgpr_count:     25
    .sgpr_spill_count: 0
    .symbol:         _ZN5aiter20topk_softplus_kernelI12hip_bfloat16fDv2_fLb0ELi2EEEvPKT_PKT0_PfPimiiif.kd
    .uniform_work_group_size: 1
    .uses_dynamic_stack: false
    .vgpr_count:     13
    .vgpr_spill_count: 0
    .wavefront_size: 32
    .workgroup_processor_mode: 1
  - .args:
      - .actual_access:  read_only
        .address_space:  global
        .offset:         0
        .size:           8
        .value_kind:     global_buffer
      - .actual_access:  read_only
        .address_space:  global
        .offset:         8
        .size:           8
        .value_kind:     global_buffer
      - .actual_access:  write_only
        .address_space:  global
        .offset:         16
        .size:           8
        .value_kind:     global_buffer
      - .actual_access:  write_only
        .address_space:  global
        .offset:         24
        .size:           8
        .value_kind:     global_buffer
      - .offset:         32
        .size:           8
        .value_kind:     by_value
      - .offset:         40
        .size:           4
        .value_kind:     by_value
      - .offset:         44
        .size:           4
        .value_kind:     by_value
      - .offset:         48
        .size:           4
        .value_kind:     by_value
      - .offset:         52
        .size:           4
        .value_kind:     by_value
      - .offset:         56
        .size:           4
        .value_kind:     hidden_block_count_x
      - .offset:         60
        .size:           4
        .value_kind:     hidden_block_count_y
      - .offset:         64
        .size:           4
        .value_kind:     hidden_block_count_z
      - .offset:         68
        .size:           2
        .value_kind:     hidden_group_size_x
      - .offset:         70
        .size:           2
        .value_kind:     hidden_group_size_y
      - .offset:         72
        .size:           2
        .value_kind:     hidden_group_size_z
      - .offset:         74
        .size:           2
        .value_kind:     hidden_remainder_x
      - .offset:         76
        .size:           2
        .value_kind:     hidden_remainder_y
      - .offset:         78
        .size:           2
        .value_kind:     hidden_remainder_z
      - .offset:         96
        .size:           8
        .value_kind:     hidden_global_offset_x
      - .offset:         104
        .size:           8
        .value_kind:     hidden_global_offset_y
      - .offset:         112
        .size:           8
        .value_kind:     hidden_global_offset_z
      - .offset:         120
        .size:           2
        .value_kind:     hidden_grid_dims
      - .offset:         176
        .size:           4
        .value_kind:     hidden_dynamic_lds_size
    .group_segment_fixed_size: 0
    .kernarg_segment_align: 8
    .kernarg_segment_size: 312
    .language:       OpenCL C
    .language_version:
      - 2
      - 0
    .max_flat_workgroup_size: 1024
    .name:           _ZN5aiter20topk_softplus_kernelI12hip_bfloat16fDv1_fLb1ELi2EEEvPKT_PKT0_PfPimiiif
    .private_segment_fixed_size: 0
    .sgpr_count:     24
    .sgpr_spill_count: 0
    .symbol:         _ZN5aiter20topk_softplus_kernelI12hip_bfloat16fDv1_fLb1ELi2EEEvPKT_PKT0_PfPimiiif.kd
    .uniform_work_group_size: 1
    .uses_dynamic_stack: false
    .vgpr_count:     11
    .vgpr_spill_count: 0
    .wavefront_size: 32
    .workgroup_processor_mode: 1
  - .args:
      - .actual_access:  read_only
        .address_space:  global
        .offset:         0
        .size:           8
        .value_kind:     global_buffer
      - .actual_access:  read_only
        .address_space:  global
        .offset:         8
        .size:           8
        .value_kind:     global_buffer
      - .actual_access:  write_only
        .address_space:  global
        .offset:         16
        .size:           8
        .value_kind:     global_buffer
      - .actual_access:  write_only
        .address_space:  global
        .offset:         24
        .size:           8
        .value_kind:     global_buffer
      - .offset:         32
        .size:           8
        .value_kind:     by_value
      - .offset:         40
        .size:           4
        .value_kind:     by_value
      - .offset:         44
        .size:           4
        .value_kind:     by_value
      - .offset:         48
        .size:           4
        .value_kind:     by_value
      - .offset:         52
        .size:           4
        .value_kind:     by_value
      - .offset:         56
        .size:           4
        .value_kind:     hidden_block_count_x
      - .offset:         60
        .size:           4
        .value_kind:     hidden_block_count_y
      - .offset:         64
        .size:           4
        .value_kind:     hidden_block_count_z
      - .offset:         68
        .size:           2
        .value_kind:     hidden_group_size_x
      - .offset:         70
        .size:           2
        .value_kind:     hidden_group_size_y
      - .offset:         72
        .size:           2
        .value_kind:     hidden_group_size_z
      - .offset:         74
        .size:           2
        .value_kind:     hidden_remainder_x
      - .offset:         76
        .size:           2
        .value_kind:     hidden_remainder_y
      - .offset:         78
        .size:           2
        .value_kind:     hidden_remainder_z
      - .offset:         96
        .size:           8
        .value_kind:     hidden_global_offset_x
      - .offset:         104
        .size:           8
        .value_kind:     hidden_global_offset_y
      - .offset:         112
        .size:           8
        .value_kind:     hidden_global_offset_z
      - .offset:         120
        .size:           2
        .value_kind:     hidden_grid_dims
      - .offset:         176
        .size:           4
        .value_kind:     hidden_dynamic_lds_size
    .group_segment_fixed_size: 0
    .kernarg_segment_align: 8
    .kernarg_segment_size: 312
    .language:       OpenCL C
    .language_version:
      - 2
      - 0
    .max_flat_workgroup_size: 1024
    .name:           _ZN5aiter20topk_softplus_kernelI12hip_bfloat16fDv1_fLb0ELi2EEEvPKT_PKT0_PfPimiiif
    .private_segment_fixed_size: 0
    .sgpr_count:     24
    .sgpr_spill_count: 0
    .symbol:         _ZN5aiter20topk_softplus_kernelI12hip_bfloat16fDv1_fLb0ELi2EEEvPKT_PKT0_PfPimiiif.kd
    .uniform_work_group_size: 1
    .uses_dynamic_stack: false
    .vgpr_count:     10
    .vgpr_spill_count: 0
    .wavefront_size: 32
    .workgroup_processor_mode: 1
  - .args:
      - .actual_access:  read_only
        .address_space:  global
        .offset:         0
        .size:           8
        .value_kind:     global_buffer
      - .actual_access:  read_only
        .address_space:  global
        .offset:         8
        .size:           8
        .value_kind:     global_buffer
      - .actual_access:  write_only
        .address_space:  global
        .offset:         16
        .size:           8
        .value_kind:     global_buffer
      - .actual_access:  write_only
        .address_space:  global
        .offset:         24
        .size:           8
        .value_kind:     global_buffer
      - .offset:         32
        .size:           8
        .value_kind:     by_value
      - .offset:         40
        .size:           4
        .value_kind:     by_value
      - .offset:         44
        .size:           4
        .value_kind:     by_value
      - .offset:         48
        .size:           4
        .value_kind:     by_value
    .group_segment_fixed_size: 0
    .kernarg_segment_align: 8
    .kernarg_segment_size: 52
    .language:       OpenCL C
    .language_version:
      - 2
      - 0
    .max_flat_workgroup_size: 1024
    .name:           _ZN5aiter24topk_softplus_kernel_optI12hip_bfloat16fLi64ELb1ELi0EEEvPKT_PKT0_PfPimiif
    .private_segment_fixed_size: 0
    .sgpr_count:     18
    .sgpr_spill_count: 0
    .symbol:         _ZN5aiter24topk_softplus_kernel_optI12hip_bfloat16fLi64ELb1ELi0EEEvPKT_PKT0_PfPimiif.kd
    .uniform_work_group_size: 1
    .uses_dynamic_stack: false
    .vgpr_count:     18
    .vgpr_spill_count: 0
    .wavefront_size: 32
    .workgroup_processor_mode: 1
  - .args:
      - .actual_access:  read_only
        .address_space:  global
        .offset:         0
        .size:           8
        .value_kind:     global_buffer
      - .actual_access:  read_only
        .address_space:  global
        .offset:         8
        .size:           8
        .value_kind:     global_buffer
      - .actual_access:  write_only
        .address_space:  global
        .offset:         16
        .size:           8
        .value_kind:     global_buffer
      - .actual_access:  write_only
        .address_space:  global
        .offset:         24
        .size:           8
        .value_kind:     global_buffer
      - .offset:         32
        .size:           8
        .value_kind:     by_value
      - .offset:         40
        .size:           4
        .value_kind:     by_value
      - .offset:         44
        .size:           4
        .value_kind:     by_value
      - .offset:         48
        .size:           4
        .value_kind:     by_value
    .group_segment_fixed_size: 0
    .kernarg_segment_align: 8
    .kernarg_segment_size: 52
    .language:       OpenCL C
    .language_version:
      - 2
      - 0
    .max_flat_workgroup_size: 1024
    .name:           _ZN5aiter24topk_softplus_kernel_optI12hip_bfloat16fLi64ELb0ELi0EEEvPKT_PKT0_PfPimiif
    .private_segment_fixed_size: 0
    .sgpr_count:     18
    .sgpr_spill_count: 0
    .symbol:         _ZN5aiter24topk_softplus_kernel_optI12hip_bfloat16fLi64ELb0ELi0EEEvPKT_PKT0_PfPimiif.kd
    .uniform_work_group_size: 1
    .uses_dynamic_stack: false
    .vgpr_count:     15
    .vgpr_spill_count: 0
    .wavefront_size: 32
    .workgroup_processor_mode: 1
  - .args:
      - .actual_access:  read_only
        .address_space:  global
        .offset:         0
        .size:           8
        .value_kind:     global_buffer
      - .actual_access:  read_only
        .address_space:  global
        .offset:         8
        .size:           8
        .value_kind:     global_buffer
      - .actual_access:  write_only
        .address_space:  global
        .offset:         16
        .size:           8
        .value_kind:     global_buffer
      - .actual_access:  write_only
        .address_space:  global
        .offset:         24
        .size:           8
        .value_kind:     global_buffer
      - .offset:         32
        .size:           8
        .value_kind:     by_value
      - .offset:         40
        .size:           4
        .value_kind:     by_value
      - .offset:         44
        .size:           4
        .value_kind:     by_value
      - .offset:         48
        .size:           4
        .value_kind:     by_value
    .group_segment_fixed_size: 0
    .kernarg_segment_align: 8
    .kernarg_segment_size: 52
    .language:       OpenCL C
    .language_version:
      - 2
      - 0
    .max_flat_workgroup_size: 1024
    .name:           _ZN5aiter24topk_softplus_kernel_optI12hip_bfloat16fLi128ELb1ELi0EEEvPKT_PKT0_PfPimiif
    .private_segment_fixed_size: 0
    .sgpr_count:     18
    .sgpr_spill_count: 0
    .symbol:         _ZN5aiter24topk_softplus_kernel_optI12hip_bfloat16fLi128ELb1ELi0EEEvPKT_PKT0_PfPimiif.kd
    .uniform_work_group_size: 1
    .uses_dynamic_stack: false
    .vgpr_count:     25
    .vgpr_spill_count: 0
    .wavefront_size: 32
    .workgroup_processor_mode: 1
  - .args:
      - .actual_access:  read_only
        .address_space:  global
        .offset:         0
        .size:           8
        .value_kind:     global_buffer
      - .actual_access:  read_only
        .address_space:  global
        .offset:         8
        .size:           8
        .value_kind:     global_buffer
      - .actual_access:  write_only
        .address_space:  global
        .offset:         16
        .size:           8
        .value_kind:     global_buffer
      - .actual_access:  write_only
        .address_space:  global
        .offset:         24
        .size:           8
        .value_kind:     global_buffer
      - .offset:         32
        .size:           8
        .value_kind:     by_value
      - .offset:         40
        .size:           4
        .value_kind:     by_value
      - .offset:         44
        .size:           4
        .value_kind:     by_value
      - .offset:         48
        .size:           4
        .value_kind:     by_value
    .group_segment_fixed_size: 0
    .kernarg_segment_align: 8
    .kernarg_segment_size: 52
    .language:       OpenCL C
    .language_version:
      - 2
      - 0
    .max_flat_workgroup_size: 1024
    .name:           _ZN5aiter24topk_softplus_kernel_optI12hip_bfloat16fLi128ELb0ELi0EEEvPKT_PKT0_PfPimiif
    .private_segment_fixed_size: 0
    .sgpr_count:     18
    .sgpr_spill_count: 0
    .symbol:         _ZN5aiter24topk_softplus_kernel_optI12hip_bfloat16fLi128ELb0ELi0EEEvPKT_PKT0_PfPimiif.kd
    .uniform_work_group_size: 1
    .uses_dynamic_stack: false
    .vgpr_count:     23
    .vgpr_spill_count: 0
    .wavefront_size: 32
    .workgroup_processor_mode: 1
  - .args:
      - .actual_access:  read_only
        .address_space:  global
        .offset:         0
        .size:           8
        .value_kind:     global_buffer
      - .actual_access:  read_only
        .address_space:  global
        .offset:         8
        .size:           8
        .value_kind:     global_buffer
      - .actual_access:  write_only
        .address_space:  global
        .offset:         16
        .size:           8
        .value_kind:     global_buffer
      - .actual_access:  write_only
        .address_space:  global
        .offset:         24
        .size:           8
        .value_kind:     global_buffer
      - .offset:         32
        .size:           8
        .value_kind:     by_value
      - .offset:         40
        .size:           4
        .value_kind:     by_value
      - .offset:         44
        .size:           4
        .value_kind:     by_value
      - .offset:         48
        .size:           4
        .value_kind:     by_value
    .group_segment_fixed_size: 0
    .kernarg_segment_align: 8
    .kernarg_segment_size: 52
    .language:       OpenCL C
    .language_version:
      - 2
      - 0
    .max_flat_workgroup_size: 1024
    .name:           _ZN5aiter24topk_softplus_kernel_optI12hip_bfloat16fLi256ELb1ELi0EEEvPKT_PKT0_PfPimiif
    .private_segment_fixed_size: 0
    .sgpr_count:     18
    .sgpr_spill_count: 0
    .symbol:         _ZN5aiter24topk_softplus_kernel_optI12hip_bfloat16fLi256ELb1ELi0EEEvPKT_PKT0_PfPimiif.kd
    .uniform_work_group_size: 1
    .uses_dynamic_stack: false
    .vgpr_count:     97
    .vgpr_spill_count: 0
    .wavefront_size: 32
    .workgroup_processor_mode: 1
  - .args:
      - .actual_access:  read_only
        .address_space:  global
        .offset:         0
        .size:           8
        .value_kind:     global_buffer
      - .actual_access:  read_only
        .address_space:  global
        .offset:         8
        .size:           8
        .value_kind:     global_buffer
      - .actual_access:  write_only
        .address_space:  global
        .offset:         16
        .size:           8
        .value_kind:     global_buffer
      - .actual_access:  write_only
        .address_space:  global
        .offset:         24
        .size:           8
        .value_kind:     global_buffer
      - .offset:         32
        .size:           8
        .value_kind:     by_value
      - .offset:         40
        .size:           4
        .value_kind:     by_value
      - .offset:         44
        .size:           4
        .value_kind:     by_value
      - .offset:         48
        .size:           4
        .value_kind:     by_value
    .group_segment_fixed_size: 0
    .kernarg_segment_align: 8
    .kernarg_segment_size: 52
    .language:       OpenCL C
    .language_version:
      - 2
      - 0
    .max_flat_workgroup_size: 1024
    .name:           _ZN5aiter24topk_softplus_kernel_optI12hip_bfloat16fLi256ELb0ELi0EEEvPKT_PKT0_PfPimiif
    .private_segment_fixed_size: 0
    .sgpr_count:     18
    .sgpr_spill_count: 0
    .symbol:         _ZN5aiter24topk_softplus_kernel_optI12hip_bfloat16fLi256ELb0ELi0EEEvPKT_PKT0_PfPimiif.kd
    .uniform_work_group_size: 1
    .uses_dynamic_stack: false
    .vgpr_count:     97
    .vgpr_spill_count: 0
    .wavefront_size: 32
    .workgroup_processor_mode: 1
  - .args:
      - .actual_access:  read_only
        .address_space:  global
        .offset:         0
        .size:           8
        .value_kind:     global_buffer
      - .actual_access:  read_only
        .address_space:  global
        .offset:         8
        .size:           8
        .value_kind:     global_buffer
      - .actual_access:  write_only
        .address_space:  global
        .offset:         16
        .size:           8
        .value_kind:     global_buffer
      - .actual_access:  write_only
        .address_space:  global
        .offset:         24
        .size:           8
        .value_kind:     global_buffer
      - .offset:         32
        .size:           8
        .value_kind:     by_value
      - .offset:         40
        .size:           4
        .value_kind:     by_value
      - .offset:         44
        .size:           4
        .value_kind:     by_value
      - .offset:         48
        .size:           4
        .value_kind:     by_value
    .group_segment_fixed_size: 0
    .kernarg_segment_align: 8
    .kernarg_segment_size: 52
    .language:       OpenCL C
    .language_version:
      - 2
      - 0
    .max_flat_workgroup_size: 1024
    .name:           _ZN5aiter24topk_softplus_kernel_optI12hip_bfloat16fLi384ELb1ELi0EEEvPKT_PKT0_PfPimiif
    .private_segment_fixed_size: 196
    .sgpr_count:     18
    .sgpr_spill_count: 0
    .symbol:         _ZN5aiter24topk_softplus_kernel_optI12hip_bfloat16fLi384ELb1ELi0EEEvPKT_PKT0_PfPimiif.kd
    .uniform_work_group_size: 1
    .uses_dynamic_stack: false
    .vgpr_count:     184
    .vgpr_spill_count: 300
    .wavefront_size: 32
    .workgroup_processor_mode: 1
  - .args:
      - .actual_access:  read_only
        .address_space:  global
        .offset:         0
        .size:           8
        .value_kind:     global_buffer
      - .actual_access:  read_only
        .address_space:  global
        .offset:         8
        .size:           8
        .value_kind:     global_buffer
      - .actual_access:  write_only
        .address_space:  global
        .offset:         16
        .size:           8
        .value_kind:     global_buffer
      - .actual_access:  write_only
        .address_space:  global
        .offset:         24
        .size:           8
        .value_kind:     global_buffer
      - .offset:         32
        .size:           8
        .value_kind:     by_value
      - .offset:         40
        .size:           4
        .value_kind:     by_value
      - .offset:         44
        .size:           4
        .value_kind:     by_value
      - .offset:         48
        .size:           4
        .value_kind:     by_value
    .group_segment_fixed_size: 0
    .kernarg_segment_align: 8
    .kernarg_segment_size: 52
    .language:       OpenCL C
    .language_version:
      - 2
      - 0
    .max_flat_workgroup_size: 1024
    .name:           _ZN5aiter24topk_softplus_kernel_optI12hip_bfloat16fLi384ELb0ELi0EEEvPKT_PKT0_PfPimiif
    .private_segment_fixed_size: 196
    .sgpr_count:     18
    .sgpr_spill_count: 0
    .symbol:         _ZN5aiter24topk_softplus_kernel_optI12hip_bfloat16fLi384ELb0ELi0EEEvPKT_PKT0_PfPimiif.kd
    .uniform_work_group_size: 1
    .uses_dynamic_stack: false
    .vgpr_count:     184
    .vgpr_spill_count: 300
    .wavefront_size: 32
    .workgroup_processor_mode: 1
  - .args:
      - .actual_access:  read_only
        .address_space:  global
        .offset:         0
        .size:           8
        .value_kind:     global_buffer
      - .actual_access:  read_only
        .address_space:  global
        .offset:         8
        .size:           8
        .value_kind:     global_buffer
      - .actual_access:  write_only
        .address_space:  global
        .offset:         16
        .size:           8
        .value_kind:     global_buffer
      - .actual_access:  write_only
        .address_space:  global
        .offset:         24
        .size:           8
        .value_kind:     global_buffer
      - .offset:         32
        .size:           8
        .value_kind:     by_value
      - .offset:         40
        .size:           4
        .value_kind:     by_value
      - .offset:         44
        .size:           4
        .value_kind:     by_value
      - .offset:         48
        .size:           4
        .value_kind:     by_value
      - .offset:         52
        .size:           4
        .value_kind:     by_value
      - .offset:         56
        .size:           4
        .value_kind:     hidden_block_count_x
      - .offset:         60
        .size:           4
        .value_kind:     hidden_block_count_y
      - .offset:         64
        .size:           4
        .value_kind:     hidden_block_count_z
      - .offset:         68
        .size:           2
        .value_kind:     hidden_group_size_x
      - .offset:         70
        .size:           2
        .value_kind:     hidden_group_size_y
      - .offset:         72
        .size:           2
        .value_kind:     hidden_group_size_z
      - .offset:         74
        .size:           2
        .value_kind:     hidden_remainder_x
      - .offset:         76
        .size:           2
        .value_kind:     hidden_remainder_y
      - .offset:         78
        .size:           2
        .value_kind:     hidden_remainder_z
      - .offset:         96
        .size:           8
        .value_kind:     hidden_global_offset_x
      - .offset:         104
        .size:           8
        .value_kind:     hidden_global_offset_y
      - .offset:         112
        .size:           8
        .value_kind:     hidden_global_offset_z
      - .offset:         120
        .size:           2
        .value_kind:     hidden_grid_dims
      - .offset:         176
        .size:           4
        .value_kind:     hidden_dynamic_lds_size
    .group_segment_fixed_size: 0
    .kernarg_segment_align: 8
    .kernarg_segment_size: 312
    .language:       OpenCL C
    .language_version:
      - 2
      - 0
    .max_flat_workgroup_size: 1024
    .name:           _ZN5aiter20topk_softplus_kernelI12hip_bfloat16fDv4_fLb1ELi0EEEvPKT_PKT0_PfPimiiif
    .private_segment_fixed_size: 0
    .sgpr_count:     33
    .sgpr_spill_count: 0
    .symbol:         _ZN5aiter20topk_softplus_kernelI12hip_bfloat16fDv4_fLb1ELi0EEEvPKT_PKT0_PfPimiiif.kd
    .uniform_work_group_size: 1
    .uses_dynamic_stack: false
    .vgpr_count:     20
    .vgpr_spill_count: 0
    .wavefront_size: 32
    .workgroup_processor_mode: 1
  - .args:
      - .actual_access:  read_only
        .address_space:  global
        .offset:         0
        .size:           8
        .value_kind:     global_buffer
      - .actual_access:  read_only
        .address_space:  global
        .offset:         8
        .size:           8
        .value_kind:     global_buffer
      - .actual_access:  write_only
        .address_space:  global
        .offset:         16
        .size:           8
        .value_kind:     global_buffer
      - .actual_access:  write_only
        .address_space:  global
        .offset:         24
        .size:           8
        .value_kind:     global_buffer
      - .offset:         32
        .size:           8
        .value_kind:     by_value
      - .offset:         40
        .size:           4
        .value_kind:     by_value
      - .offset:         44
        .size:           4
        .value_kind:     by_value
      - .offset:         48
        .size:           4
        .value_kind:     by_value
      - .offset:         52
        .size:           4
        .value_kind:     by_value
      - .offset:         56
        .size:           4
        .value_kind:     hidden_block_count_x
      - .offset:         60
        .size:           4
        .value_kind:     hidden_block_count_y
      - .offset:         64
        .size:           4
        .value_kind:     hidden_block_count_z
      - .offset:         68
        .size:           2
        .value_kind:     hidden_group_size_x
      - .offset:         70
        .size:           2
        .value_kind:     hidden_group_size_y
      - .offset:         72
        .size:           2
        .value_kind:     hidden_group_size_z
      - .offset:         74
        .size:           2
        .value_kind:     hidden_remainder_x
      - .offset:         76
        .size:           2
        .value_kind:     hidden_remainder_y
      - .offset:         78
        .size:           2
        .value_kind:     hidden_remainder_z
      - .offset:         96
        .size:           8
        .value_kind:     hidden_global_offset_x
      - .offset:         104
        .size:           8
        .value_kind:     hidden_global_offset_y
      - .offset:         112
        .size:           8
        .value_kind:     hidden_global_offset_z
      - .offset:         120
        .size:           2
        .value_kind:     hidden_grid_dims
      - .offset:         176
        .size:           4
        .value_kind:     hidden_dynamic_lds_size
    .group_segment_fixed_size: 0
    .kernarg_segment_align: 8
    .kernarg_segment_size: 312
    .language:       OpenCL C
    .language_version:
      - 2
      - 0
    .max_flat_workgroup_size: 1024
    .name:           _ZN5aiter20topk_softplus_kernelI12hip_bfloat16fDv4_fLb0ELi0EEEvPKT_PKT0_PfPimiiif
    .private_segment_fixed_size: 0
    .sgpr_count:     33
    .sgpr_spill_count: 0
    .symbol:         _ZN5aiter20topk_softplus_kernelI12hip_bfloat16fDv4_fLb0ELi0EEEvPKT_PKT0_PfPimiiif.kd
    .uniform_work_group_size: 1
    .uses_dynamic_stack: false
    .vgpr_count:     20
    .vgpr_spill_count: 0
    .wavefront_size: 32
    .workgroup_processor_mode: 1
  - .args:
      - .actual_access:  read_only
        .address_space:  global
        .offset:         0
        .size:           8
        .value_kind:     global_buffer
      - .actual_access:  read_only
        .address_space:  global
        .offset:         8
        .size:           8
        .value_kind:     global_buffer
      - .actual_access:  write_only
        .address_space:  global
        .offset:         16
        .size:           8
        .value_kind:     global_buffer
      - .actual_access:  write_only
        .address_space:  global
        .offset:         24
        .size:           8
        .value_kind:     global_buffer
      - .offset:         32
        .size:           8
        .value_kind:     by_value
      - .offset:         40
        .size:           4
        .value_kind:     by_value
      - .offset:         44
        .size:           4
        .value_kind:     by_value
      - .offset:         48
        .size:           4
        .value_kind:     by_value
      - .offset:         52
        .size:           4
        .value_kind:     by_value
      - .offset:         56
        .size:           4
        .value_kind:     hidden_block_count_x
      - .offset:         60
        .size:           4
        .value_kind:     hidden_block_count_y
      - .offset:         64
        .size:           4
        .value_kind:     hidden_block_count_z
      - .offset:         68
        .size:           2
        .value_kind:     hidden_group_size_x
      - .offset:         70
        .size:           2
        .value_kind:     hidden_group_size_y
      - .offset:         72
        .size:           2
        .value_kind:     hidden_group_size_z
      - .offset:         74
        .size:           2
        .value_kind:     hidden_remainder_x
      - .offset:         76
        .size:           2
        .value_kind:     hidden_remainder_y
      - .offset:         78
        .size:           2
        .value_kind:     hidden_remainder_z
      - .offset:         96
        .size:           8
        .value_kind:     hidden_global_offset_x
      - .offset:         104
        .size:           8
        .value_kind:     hidden_global_offset_y
      - .offset:         112
        .size:           8
        .value_kind:     hidden_global_offset_z
      - .offset:         120
        .size:           2
        .value_kind:     hidden_grid_dims
      - .offset:         176
        .size:           4
        .value_kind:     hidden_dynamic_lds_size
    .group_segment_fixed_size: 0
    .kernarg_segment_align: 8
    .kernarg_segment_size: 312
    .language:       OpenCL C
    .language_version:
      - 2
      - 0
    .max_flat_workgroup_size: 1024
    .name:           _ZN5aiter20topk_softplus_kernelI12hip_bfloat16fDv2_fLb1ELi0EEEvPKT_PKT0_PfPimiiif
    .private_segment_fixed_size: 0
    .sgpr_count:     26
    .sgpr_spill_count: 0
    .symbol:         _ZN5aiter20topk_softplus_kernelI12hip_bfloat16fDv2_fLb1ELi0EEEvPKT_PKT0_PfPimiiif.kd
    .uniform_work_group_size: 1
    .uses_dynamic_stack: false
    .vgpr_count:     14
    .vgpr_spill_count: 0
    .wavefront_size: 32
    .workgroup_processor_mode: 1
  - .args:
      - .actual_access:  read_only
        .address_space:  global
        .offset:         0
        .size:           8
        .value_kind:     global_buffer
      - .actual_access:  read_only
        .address_space:  global
        .offset:         8
        .size:           8
        .value_kind:     global_buffer
      - .actual_access:  write_only
        .address_space:  global
        .offset:         16
        .size:           8
        .value_kind:     global_buffer
      - .actual_access:  write_only
        .address_space:  global
        .offset:         24
        .size:           8
        .value_kind:     global_buffer
      - .offset:         32
        .size:           8
        .value_kind:     by_value
      - .offset:         40
        .size:           4
        .value_kind:     by_value
      - .offset:         44
        .size:           4
        .value_kind:     by_value
      - .offset:         48
        .size:           4
        .value_kind:     by_value
      - .offset:         52
        .size:           4
        .value_kind:     by_value
      - .offset:         56
        .size:           4
        .value_kind:     hidden_block_count_x
      - .offset:         60
        .size:           4
        .value_kind:     hidden_block_count_y
      - .offset:         64
        .size:           4
        .value_kind:     hidden_block_count_z
      - .offset:         68
        .size:           2
        .value_kind:     hidden_group_size_x
      - .offset:         70
        .size:           2
        .value_kind:     hidden_group_size_y
      - .offset:         72
        .size:           2
        .value_kind:     hidden_group_size_z
      - .offset:         74
        .size:           2
        .value_kind:     hidden_remainder_x
      - .offset:         76
        .size:           2
        .value_kind:     hidden_remainder_y
      - .offset:         78
        .size:           2
        .value_kind:     hidden_remainder_z
      - .offset:         96
        .size:           8
        .value_kind:     hidden_global_offset_x
      - .offset:         104
        .size:           8
        .value_kind:     hidden_global_offset_y
      - .offset:         112
        .size:           8
        .value_kind:     hidden_global_offset_z
      - .offset:         120
        .size:           2
        .value_kind:     hidden_grid_dims
      - .offset:         176
        .size:           4
        .value_kind:     hidden_dynamic_lds_size
    .group_segment_fixed_size: 0
    .kernarg_segment_align: 8
    .kernarg_segment_size: 312
    .language:       OpenCL C
    .language_version:
      - 2
      - 0
    .max_flat_workgroup_size: 1024
    .name:           _ZN5aiter20topk_softplus_kernelI12hip_bfloat16fDv2_fLb0ELi0EEEvPKT_PKT0_PfPimiiif
    .private_segment_fixed_size: 0
    .sgpr_count:     26
    .sgpr_spill_count: 0
    .symbol:         _ZN5aiter20topk_softplus_kernelI12hip_bfloat16fDv2_fLb0ELi0EEEvPKT_PKT0_PfPimiiif.kd
    .uniform_work_group_size: 1
    .uses_dynamic_stack: false
    .vgpr_count:     14
    .vgpr_spill_count: 0
    .wavefront_size: 32
    .workgroup_processor_mode: 1
  - .args:
      - .actual_access:  read_only
        .address_space:  global
        .offset:         0
        .size:           8
        .value_kind:     global_buffer
      - .actual_access:  read_only
        .address_space:  global
        .offset:         8
        .size:           8
        .value_kind:     global_buffer
      - .actual_access:  write_only
        .address_space:  global
        .offset:         16
        .size:           8
        .value_kind:     global_buffer
      - .actual_access:  write_only
        .address_space:  global
        .offset:         24
        .size:           8
        .value_kind:     global_buffer
      - .offset:         32
        .size:           8
        .value_kind:     by_value
      - .offset:         40
        .size:           4
        .value_kind:     by_value
      - .offset:         44
        .size:           4
        .value_kind:     by_value
      - .offset:         48
        .size:           4
        .value_kind:     by_value
      - .offset:         52
        .size:           4
        .value_kind:     by_value
      - .offset:         56
        .size:           4
        .value_kind:     hidden_block_count_x
      - .offset:         60
        .size:           4
        .value_kind:     hidden_block_count_y
      - .offset:         64
        .size:           4
        .value_kind:     hidden_block_count_z
      - .offset:         68
        .size:           2
        .value_kind:     hidden_group_size_x
      - .offset:         70
        .size:           2
        .value_kind:     hidden_group_size_y
      - .offset:         72
        .size:           2
        .value_kind:     hidden_group_size_z
      - .offset:         74
        .size:           2
        .value_kind:     hidden_remainder_x
      - .offset:         76
        .size:           2
        .value_kind:     hidden_remainder_y
      - .offset:         78
        .size:           2
        .value_kind:     hidden_remainder_z
      - .offset:         96
        .size:           8
        .value_kind:     hidden_global_offset_x
      - .offset:         104
        .size:           8
        .value_kind:     hidden_global_offset_y
      - .offset:         112
        .size:           8
        .value_kind:     hidden_global_offset_z
      - .offset:         120
        .size:           2
        .value_kind:     hidden_grid_dims
      - .offset:         176
        .size:           4
        .value_kind:     hidden_dynamic_lds_size
    .group_segment_fixed_size: 0
    .kernarg_segment_align: 8
    .kernarg_segment_size: 312
    .language:       OpenCL C
    .language_version:
      - 2
      - 0
    .max_flat_workgroup_size: 1024
    .name:           _ZN5aiter20topk_softplus_kernelI12hip_bfloat16fDv1_fLb1ELi0EEEvPKT_PKT0_PfPimiiif
    .private_segment_fixed_size: 0
    .sgpr_count:     24
    .sgpr_spill_count: 0
    .symbol:         _ZN5aiter20topk_softplus_kernelI12hip_bfloat16fDv1_fLb1ELi0EEEvPKT_PKT0_PfPimiiif.kd
    .uniform_work_group_size: 1
    .uses_dynamic_stack: false
    .vgpr_count:     11
    .vgpr_spill_count: 0
    .wavefront_size: 32
    .workgroup_processor_mode: 1
  - .args:
      - .actual_access:  read_only
        .address_space:  global
        .offset:         0
        .size:           8
        .value_kind:     global_buffer
      - .actual_access:  read_only
        .address_space:  global
        .offset:         8
        .size:           8
        .value_kind:     global_buffer
      - .actual_access:  write_only
        .address_space:  global
        .offset:         16
        .size:           8
        .value_kind:     global_buffer
      - .actual_access:  write_only
        .address_space:  global
        .offset:         24
        .size:           8
        .value_kind:     global_buffer
      - .offset:         32
        .size:           8
        .value_kind:     by_value
      - .offset:         40
        .size:           4
        .value_kind:     by_value
      - .offset:         44
        .size:           4
        .value_kind:     by_value
      - .offset:         48
        .size:           4
        .value_kind:     by_value
      - .offset:         52
        .size:           4
        .value_kind:     by_value
      - .offset:         56
        .size:           4
        .value_kind:     hidden_block_count_x
      - .offset:         60
        .size:           4
        .value_kind:     hidden_block_count_y
      - .offset:         64
        .size:           4
        .value_kind:     hidden_block_count_z
      - .offset:         68
        .size:           2
        .value_kind:     hidden_group_size_x
      - .offset:         70
        .size:           2
        .value_kind:     hidden_group_size_y
      - .offset:         72
        .size:           2
        .value_kind:     hidden_group_size_z
      - .offset:         74
        .size:           2
        .value_kind:     hidden_remainder_x
      - .offset:         76
        .size:           2
        .value_kind:     hidden_remainder_y
      - .offset:         78
        .size:           2
        .value_kind:     hidden_remainder_z
      - .offset:         96
        .size:           8
        .value_kind:     hidden_global_offset_x
      - .offset:         104
        .size:           8
        .value_kind:     hidden_global_offset_y
      - .offset:         112
        .size:           8
        .value_kind:     hidden_global_offset_z
      - .offset:         120
        .size:           2
        .value_kind:     hidden_grid_dims
      - .offset:         176
        .size:           4
        .value_kind:     hidden_dynamic_lds_size
    .group_segment_fixed_size: 0
    .kernarg_segment_align: 8
    .kernarg_segment_size: 312
    .language:       OpenCL C
    .language_version:
      - 2
      - 0
    .max_flat_workgroup_size: 1024
    .name:           _ZN5aiter20topk_softplus_kernelI12hip_bfloat16fDv1_fLb0ELi0EEEvPKT_PKT0_PfPimiiif
    .private_segment_fixed_size: 0
    .sgpr_count:     24
    .sgpr_spill_count: 0
    .symbol:         _ZN5aiter20topk_softplus_kernelI12hip_bfloat16fDv1_fLb0ELi0EEEvPKT_PKT0_PfPimiiif.kd
    .uniform_work_group_size: 1
    .uses_dynamic_stack: false
    .vgpr_count:     11
    .vgpr_spill_count: 0
    .wavefront_size: 32
    .workgroup_processor_mode: 1
  - .args:
      - .actual_access:  read_only
        .address_space:  global
        .offset:         0
        .size:           8
        .value_kind:     global_buffer
      - .actual_access:  read_only
        .address_space:  global
        .offset:         8
        .size:           8
        .value_kind:     global_buffer
      - .actual_access:  write_only
        .address_space:  global
        .offset:         16
        .size:           8
        .value_kind:     global_buffer
      - .actual_access:  write_only
        .address_space:  global
        .offset:         24
        .size:           8
        .value_kind:     global_buffer
      - .offset:         32
        .size:           8
        .value_kind:     by_value
      - .offset:         40
        .size:           4
        .value_kind:     by_value
      - .offset:         44
        .size:           4
        .value_kind:     by_value
      - .offset:         48
        .size:           4
        .value_kind:     by_value
    .group_segment_fixed_size: 0
    .kernarg_segment_align: 8
    .kernarg_segment_size: 52
    .language:       OpenCL C
    .language_version:
      - 2
      - 0
    .max_flat_workgroup_size: 1024
    .name:           _ZN5aiter24topk_softplus_kernel_optI12hip_bfloat166__halfLi64ELb1ELi1EEEvPKT_PKT0_PfPimiif
    .private_segment_fixed_size: 0
    .sgpr_count:     18
    .sgpr_spill_count: 0
    .symbol:         _ZN5aiter24topk_softplus_kernel_optI12hip_bfloat166__halfLi64ELb1ELi1EEEvPKT_PKT0_PfPimiif.kd
    .uniform_work_group_size: 1
    .uses_dynamic_stack: false
    .vgpr_count:     17
    .vgpr_spill_count: 0
    .wavefront_size: 32
    .workgroup_processor_mode: 1
  - .args:
      - .actual_access:  read_only
        .address_space:  global
        .offset:         0
        .size:           8
        .value_kind:     global_buffer
      - .actual_access:  read_only
        .address_space:  global
        .offset:         8
        .size:           8
        .value_kind:     global_buffer
      - .actual_access:  write_only
        .address_space:  global
        .offset:         16
        .size:           8
        .value_kind:     global_buffer
      - .actual_access:  write_only
        .address_space:  global
        .offset:         24
        .size:           8
        .value_kind:     global_buffer
      - .offset:         32
        .size:           8
        .value_kind:     by_value
      - .offset:         40
        .size:           4
        .value_kind:     by_value
      - .offset:         44
        .size:           4
        .value_kind:     by_value
      - .offset:         48
        .size:           4
        .value_kind:     by_value
    .group_segment_fixed_size: 0
    .kernarg_segment_align: 8
    .kernarg_segment_size: 52
    .language:       OpenCL C
    .language_version:
      - 2
      - 0
    .max_flat_workgroup_size: 1024
    .name:           _ZN5aiter24topk_softplus_kernel_optI12hip_bfloat166__halfLi64ELb0ELi1EEEvPKT_PKT0_PfPimiif
    .private_segment_fixed_size: 0
    .sgpr_count:     18
    .sgpr_spill_count: 0
    .symbol:         _ZN5aiter24topk_softplus_kernel_optI12hip_bfloat166__halfLi64ELb0ELi1EEEvPKT_PKT0_PfPimiif.kd
    .uniform_work_group_size: 1
    .uses_dynamic_stack: false
    .vgpr_count:     14
    .vgpr_spill_count: 0
    .wavefront_size: 32
    .workgroup_processor_mode: 1
  - .args:
      - .actual_access:  read_only
        .address_space:  global
        .offset:         0
        .size:           8
        .value_kind:     global_buffer
      - .actual_access:  read_only
        .address_space:  global
        .offset:         8
        .size:           8
        .value_kind:     global_buffer
      - .actual_access:  write_only
        .address_space:  global
        .offset:         16
        .size:           8
        .value_kind:     global_buffer
      - .actual_access:  write_only
        .address_space:  global
        .offset:         24
        .size:           8
        .value_kind:     global_buffer
      - .offset:         32
        .size:           8
        .value_kind:     by_value
      - .offset:         40
        .size:           4
        .value_kind:     by_value
      - .offset:         44
        .size:           4
        .value_kind:     by_value
      - .offset:         48
        .size:           4
        .value_kind:     by_value
    .group_segment_fixed_size: 0
    .kernarg_segment_align: 8
    .kernarg_segment_size: 52
    .language:       OpenCL C
    .language_version:
      - 2
      - 0
    .max_flat_workgroup_size: 1024
    .name:           _ZN5aiter24topk_softplus_kernel_optI12hip_bfloat166__halfLi128ELb1ELi1EEEvPKT_PKT0_PfPimiif
    .private_segment_fixed_size: 0
    .sgpr_count:     18
    .sgpr_spill_count: 0
    .symbol:         _ZN5aiter24topk_softplus_kernel_optI12hip_bfloat166__halfLi128ELb1ELi1EEEvPKT_PKT0_PfPimiif.kd
    .uniform_work_group_size: 1
    .uses_dynamic_stack: false
    .vgpr_count:     24
    .vgpr_spill_count: 0
    .wavefront_size: 32
    .workgroup_processor_mode: 1
  - .args:
      - .actual_access:  read_only
        .address_space:  global
        .offset:         0
        .size:           8
        .value_kind:     global_buffer
      - .actual_access:  read_only
        .address_space:  global
        .offset:         8
        .size:           8
        .value_kind:     global_buffer
      - .actual_access:  write_only
        .address_space:  global
        .offset:         16
        .size:           8
        .value_kind:     global_buffer
      - .actual_access:  write_only
        .address_space:  global
        .offset:         24
        .size:           8
        .value_kind:     global_buffer
      - .offset:         32
        .size:           8
        .value_kind:     by_value
      - .offset:         40
        .size:           4
        .value_kind:     by_value
      - .offset:         44
        .size:           4
        .value_kind:     by_value
      - .offset:         48
        .size:           4
        .value_kind:     by_value
    .group_segment_fixed_size: 0
    .kernarg_segment_align: 8
    .kernarg_segment_size: 52
    .language:       OpenCL C
    .language_version:
      - 2
      - 0
    .max_flat_workgroup_size: 1024
    .name:           _ZN5aiter24topk_softplus_kernel_optI12hip_bfloat166__halfLi128ELb0ELi1EEEvPKT_PKT0_PfPimiif
    .private_segment_fixed_size: 0
    .sgpr_count:     18
    .sgpr_spill_count: 0
    .symbol:         _ZN5aiter24topk_softplus_kernel_optI12hip_bfloat166__halfLi128ELb0ELi1EEEvPKT_PKT0_PfPimiif.kd
    .uniform_work_group_size: 1
    .uses_dynamic_stack: false
    .vgpr_count:     22
    .vgpr_spill_count: 0
    .wavefront_size: 32
    .workgroup_processor_mode: 1
  - .args:
      - .actual_access:  read_only
        .address_space:  global
        .offset:         0
        .size:           8
        .value_kind:     global_buffer
      - .actual_access:  read_only
        .address_space:  global
        .offset:         8
        .size:           8
        .value_kind:     global_buffer
      - .actual_access:  write_only
        .address_space:  global
        .offset:         16
        .size:           8
        .value_kind:     global_buffer
      - .actual_access:  write_only
        .address_space:  global
        .offset:         24
        .size:           8
        .value_kind:     global_buffer
      - .offset:         32
        .size:           8
        .value_kind:     by_value
      - .offset:         40
        .size:           4
        .value_kind:     by_value
      - .offset:         44
        .size:           4
        .value_kind:     by_value
      - .offset:         48
        .size:           4
        .value_kind:     by_value
    .group_segment_fixed_size: 0
    .kernarg_segment_align: 8
    .kernarg_segment_size: 52
    .language:       OpenCL C
    .language_version:
      - 2
      - 0
    .max_flat_workgroup_size: 1024
    .name:           _ZN5aiter24topk_softplus_kernel_optI12hip_bfloat166__halfLi256ELb1ELi1EEEvPKT_PKT0_PfPimiif
    .private_segment_fixed_size: 0
    .sgpr_count:     18
    .sgpr_spill_count: 0
    .symbol:         _ZN5aiter24topk_softplus_kernel_optI12hip_bfloat166__halfLi256ELb1ELi1EEEvPKT_PKT0_PfPimiif.kd
    .uniform_work_group_size: 1
    .uses_dynamic_stack: false
    .vgpr_count:     103
    .vgpr_spill_count: 0
    .wavefront_size: 32
    .workgroup_processor_mode: 1
  - .args:
      - .actual_access:  read_only
        .address_space:  global
        .offset:         0
        .size:           8
        .value_kind:     global_buffer
      - .actual_access:  read_only
        .address_space:  global
        .offset:         8
        .size:           8
        .value_kind:     global_buffer
      - .actual_access:  write_only
        .address_space:  global
        .offset:         16
        .size:           8
        .value_kind:     global_buffer
      - .actual_access:  write_only
        .address_space:  global
        .offset:         24
        .size:           8
        .value_kind:     global_buffer
      - .offset:         32
        .size:           8
        .value_kind:     by_value
      - .offset:         40
        .size:           4
        .value_kind:     by_value
      - .offset:         44
        .size:           4
        .value_kind:     by_value
      - .offset:         48
        .size:           4
        .value_kind:     by_value
    .group_segment_fixed_size: 0
    .kernarg_segment_align: 8
    .kernarg_segment_size: 52
    .language:       OpenCL C
    .language_version:
      - 2
      - 0
    .max_flat_workgroup_size: 1024
    .name:           _ZN5aiter24topk_softplus_kernel_optI12hip_bfloat166__halfLi256ELb0ELi1EEEvPKT_PKT0_PfPimiif
    .private_segment_fixed_size: 0
    .sgpr_count:     18
    .sgpr_spill_count: 0
    .symbol:         _ZN5aiter24topk_softplus_kernel_optI12hip_bfloat166__halfLi256ELb0ELi1EEEvPKT_PKT0_PfPimiif.kd
    .uniform_work_group_size: 1
    .uses_dynamic_stack: false
    .vgpr_count:     103
    .vgpr_spill_count: 0
    .wavefront_size: 32
    .workgroup_processor_mode: 1
  - .args:
      - .actual_access:  read_only
        .address_space:  global
        .offset:         0
        .size:           8
        .value_kind:     global_buffer
      - .actual_access:  read_only
        .address_space:  global
        .offset:         8
        .size:           8
        .value_kind:     global_buffer
      - .actual_access:  write_only
        .address_space:  global
        .offset:         16
        .size:           8
        .value_kind:     global_buffer
      - .actual_access:  write_only
        .address_space:  global
        .offset:         24
        .size:           8
        .value_kind:     global_buffer
      - .offset:         32
        .size:           8
        .value_kind:     by_value
      - .offset:         40
        .size:           4
        .value_kind:     by_value
      - .offset:         44
        .size:           4
        .value_kind:     by_value
      - .offset:         48
        .size:           4
        .value_kind:     by_value
    .group_segment_fixed_size: 0
    .kernarg_segment_align: 8
    .kernarg_segment_size: 52
    .language:       OpenCL C
    .language_version:
      - 2
      - 0
    .max_flat_workgroup_size: 1024
    .name:           _ZN5aiter24topk_softplus_kernel_optI12hip_bfloat166__halfLi384ELb1ELi1EEEvPKT_PKT0_PfPimiif
    .private_segment_fixed_size: 196
    .sgpr_count:     18
    .sgpr_spill_count: 0
    .symbol:         _ZN5aiter24topk_softplus_kernel_optI12hip_bfloat166__halfLi384ELb1ELi1EEEvPKT_PKT0_PfPimiif.kd
    .uniform_work_group_size: 1
    .uses_dynamic_stack: false
    .vgpr_count:     183
    .vgpr_spill_count: 300
    .wavefront_size: 32
    .workgroup_processor_mode: 1
  - .args:
      - .actual_access:  read_only
        .address_space:  global
        .offset:         0
        .size:           8
        .value_kind:     global_buffer
      - .actual_access:  read_only
        .address_space:  global
        .offset:         8
        .size:           8
        .value_kind:     global_buffer
      - .actual_access:  write_only
        .address_space:  global
        .offset:         16
        .size:           8
        .value_kind:     global_buffer
      - .actual_access:  write_only
        .address_space:  global
        .offset:         24
        .size:           8
        .value_kind:     global_buffer
      - .offset:         32
        .size:           8
        .value_kind:     by_value
      - .offset:         40
        .size:           4
        .value_kind:     by_value
      - .offset:         44
        .size:           4
        .value_kind:     by_value
      - .offset:         48
        .size:           4
        .value_kind:     by_value
    .group_segment_fixed_size: 0
    .kernarg_segment_align: 8
    .kernarg_segment_size: 52
    .language:       OpenCL C
    .language_version:
      - 2
      - 0
    .max_flat_workgroup_size: 1024
    .name:           _ZN5aiter24topk_softplus_kernel_optI12hip_bfloat166__halfLi384ELb0ELi1EEEvPKT_PKT0_PfPimiif
    .private_segment_fixed_size: 196
    .sgpr_count:     18
    .sgpr_spill_count: 0
    .symbol:         _ZN5aiter24topk_softplus_kernel_optI12hip_bfloat166__halfLi384ELb0ELi1EEEvPKT_PKT0_PfPimiif.kd
    .uniform_work_group_size: 1
    .uses_dynamic_stack: false
    .vgpr_count:     183
    .vgpr_spill_count: 300
    .wavefront_size: 32
    .workgroup_processor_mode: 1
  - .args:
      - .actual_access:  read_only
        .address_space:  global
        .offset:         0
        .size:           8
        .value_kind:     global_buffer
      - .actual_access:  read_only
        .address_space:  global
        .offset:         8
        .size:           8
        .value_kind:     global_buffer
      - .actual_access:  write_only
        .address_space:  global
        .offset:         16
        .size:           8
        .value_kind:     global_buffer
      - .actual_access:  write_only
        .address_space:  global
        .offset:         24
        .size:           8
        .value_kind:     global_buffer
      - .offset:         32
        .size:           8
        .value_kind:     by_value
      - .offset:         40
        .size:           4
        .value_kind:     by_value
      - .offset:         44
        .size:           4
        .value_kind:     by_value
      - .offset:         48
        .size:           4
        .value_kind:     by_value
      - .offset:         52
        .size:           4
        .value_kind:     by_value
      - .offset:         56
        .size:           4
        .value_kind:     hidden_block_count_x
      - .offset:         60
        .size:           4
        .value_kind:     hidden_block_count_y
      - .offset:         64
        .size:           4
        .value_kind:     hidden_block_count_z
      - .offset:         68
        .size:           2
        .value_kind:     hidden_group_size_x
      - .offset:         70
        .size:           2
        .value_kind:     hidden_group_size_y
      - .offset:         72
        .size:           2
        .value_kind:     hidden_group_size_z
      - .offset:         74
        .size:           2
        .value_kind:     hidden_remainder_x
      - .offset:         76
        .size:           2
        .value_kind:     hidden_remainder_y
      - .offset:         78
        .size:           2
        .value_kind:     hidden_remainder_z
      - .offset:         96
        .size:           8
        .value_kind:     hidden_global_offset_x
      - .offset:         104
        .size:           8
        .value_kind:     hidden_global_offset_y
      - .offset:         112
        .size:           8
        .value_kind:     hidden_global_offset_z
      - .offset:         120
        .size:           2
        .value_kind:     hidden_grid_dims
      - .offset:         176
        .size:           4
        .value_kind:     hidden_dynamic_lds_size
    .group_segment_fixed_size: 0
    .kernarg_segment_align: 8
    .kernarg_segment_size: 312
    .language:       OpenCL C
    .language_version:
      - 2
      - 0
    .max_flat_workgroup_size: 1024
    .name:           _ZN5aiter20topk_softplus_kernelI12hip_bfloat166__halfDv4_fLb1ELi1EEEvPKT_PKT0_PfPimiiif
    .private_segment_fixed_size: 0
    .sgpr_count:     33
    .sgpr_spill_count: 0
    .symbol:         _ZN5aiter20topk_softplus_kernelI12hip_bfloat166__halfDv4_fLb1ELi1EEEvPKT_PKT0_PfPimiiif.kd
    .uniform_work_group_size: 1
    .uses_dynamic_stack: false
    .vgpr_count:     17
    .vgpr_spill_count: 0
    .wavefront_size: 32
    .workgroup_processor_mode: 1
  - .args:
      - .actual_access:  read_only
        .address_space:  global
        .offset:         0
        .size:           8
        .value_kind:     global_buffer
      - .actual_access:  read_only
        .address_space:  global
        .offset:         8
        .size:           8
        .value_kind:     global_buffer
      - .actual_access:  write_only
        .address_space:  global
        .offset:         16
        .size:           8
        .value_kind:     global_buffer
      - .actual_access:  write_only
        .address_space:  global
        .offset:         24
        .size:           8
        .value_kind:     global_buffer
      - .offset:         32
        .size:           8
        .value_kind:     by_value
      - .offset:         40
        .size:           4
        .value_kind:     by_value
      - .offset:         44
        .size:           4
        .value_kind:     by_value
      - .offset:         48
        .size:           4
        .value_kind:     by_value
      - .offset:         52
        .size:           4
        .value_kind:     by_value
      - .offset:         56
        .size:           4
        .value_kind:     hidden_block_count_x
      - .offset:         60
        .size:           4
        .value_kind:     hidden_block_count_y
      - .offset:         64
        .size:           4
        .value_kind:     hidden_block_count_z
      - .offset:         68
        .size:           2
        .value_kind:     hidden_group_size_x
      - .offset:         70
        .size:           2
        .value_kind:     hidden_group_size_y
      - .offset:         72
        .size:           2
        .value_kind:     hidden_group_size_z
      - .offset:         74
        .size:           2
        .value_kind:     hidden_remainder_x
      - .offset:         76
        .size:           2
        .value_kind:     hidden_remainder_y
      - .offset:         78
        .size:           2
        .value_kind:     hidden_remainder_z
      - .offset:         96
        .size:           8
        .value_kind:     hidden_global_offset_x
      - .offset:         104
        .size:           8
        .value_kind:     hidden_global_offset_y
      - .offset:         112
        .size:           8
        .value_kind:     hidden_global_offset_z
      - .offset:         120
        .size:           2
        .value_kind:     hidden_grid_dims
      - .offset:         176
        .size:           4
        .value_kind:     hidden_dynamic_lds_size
    .group_segment_fixed_size: 0
    .kernarg_segment_align: 8
    .kernarg_segment_size: 312
    .language:       OpenCL C
    .language_version:
      - 2
      - 0
    .max_flat_workgroup_size: 1024
    .name:           _ZN5aiter20topk_softplus_kernelI12hip_bfloat166__halfDv4_fLb0ELi1EEEvPKT_PKT0_PfPimiiif
    .private_segment_fixed_size: 0
    .sgpr_count:     33
    .sgpr_spill_count: 0
    .symbol:         _ZN5aiter20topk_softplus_kernelI12hip_bfloat166__halfDv4_fLb0ELi1EEEvPKT_PKT0_PfPimiiif.kd
    .uniform_work_group_size: 1
    .uses_dynamic_stack: false
    .vgpr_count:     17
    .vgpr_spill_count: 0
    .wavefront_size: 32
    .workgroup_processor_mode: 1
  - .args:
      - .actual_access:  read_only
        .address_space:  global
        .offset:         0
        .size:           8
        .value_kind:     global_buffer
      - .actual_access:  read_only
        .address_space:  global
        .offset:         8
        .size:           8
        .value_kind:     global_buffer
      - .actual_access:  write_only
        .address_space:  global
        .offset:         16
        .size:           8
        .value_kind:     global_buffer
      - .actual_access:  write_only
        .address_space:  global
        .offset:         24
        .size:           8
        .value_kind:     global_buffer
      - .offset:         32
        .size:           8
        .value_kind:     by_value
      - .offset:         40
        .size:           4
        .value_kind:     by_value
      - .offset:         44
        .size:           4
        .value_kind:     by_value
      - .offset:         48
        .size:           4
        .value_kind:     by_value
      - .offset:         52
        .size:           4
        .value_kind:     by_value
      - .offset:         56
        .size:           4
        .value_kind:     hidden_block_count_x
      - .offset:         60
        .size:           4
        .value_kind:     hidden_block_count_y
      - .offset:         64
        .size:           4
        .value_kind:     hidden_block_count_z
      - .offset:         68
        .size:           2
        .value_kind:     hidden_group_size_x
      - .offset:         70
        .size:           2
        .value_kind:     hidden_group_size_y
      - .offset:         72
        .size:           2
        .value_kind:     hidden_group_size_z
      - .offset:         74
        .size:           2
        .value_kind:     hidden_remainder_x
      - .offset:         76
        .size:           2
        .value_kind:     hidden_remainder_y
      - .offset:         78
        .size:           2
        .value_kind:     hidden_remainder_z
      - .offset:         96
        .size:           8
        .value_kind:     hidden_global_offset_x
      - .offset:         104
        .size:           8
        .value_kind:     hidden_global_offset_y
      - .offset:         112
        .size:           8
        .value_kind:     hidden_global_offset_z
      - .offset:         120
        .size:           2
        .value_kind:     hidden_grid_dims
      - .offset:         176
        .size:           4
        .value_kind:     hidden_dynamic_lds_size
    .group_segment_fixed_size: 0
    .kernarg_segment_align: 8
    .kernarg_segment_size: 312
    .language:       OpenCL C
    .language_version:
      - 2
      - 0
    .max_flat_workgroup_size: 1024
    .name:           _ZN5aiter20topk_softplus_kernelI12hip_bfloat166__halfDv2_fLb1ELi1EEEvPKT_PKT0_PfPimiiif
    .private_segment_fixed_size: 0
    .sgpr_count:     25
    .sgpr_spill_count: 0
    .symbol:         _ZN5aiter20topk_softplus_kernelI12hip_bfloat166__halfDv2_fLb1ELi1EEEvPKT_PKT0_PfPimiiif.kd
    .uniform_work_group_size: 1
    .uses_dynamic_stack: false
    .vgpr_count:     15
    .vgpr_spill_count: 0
    .wavefront_size: 32
    .workgroup_processor_mode: 1
  - .args:
      - .actual_access:  read_only
        .address_space:  global
        .offset:         0
        .size:           8
        .value_kind:     global_buffer
      - .actual_access:  read_only
        .address_space:  global
        .offset:         8
        .size:           8
        .value_kind:     global_buffer
      - .actual_access:  write_only
        .address_space:  global
        .offset:         16
        .size:           8
        .value_kind:     global_buffer
      - .actual_access:  write_only
        .address_space:  global
        .offset:         24
        .size:           8
        .value_kind:     global_buffer
      - .offset:         32
        .size:           8
        .value_kind:     by_value
      - .offset:         40
        .size:           4
        .value_kind:     by_value
      - .offset:         44
        .size:           4
        .value_kind:     by_value
      - .offset:         48
        .size:           4
        .value_kind:     by_value
      - .offset:         52
        .size:           4
        .value_kind:     by_value
      - .offset:         56
        .size:           4
        .value_kind:     hidden_block_count_x
      - .offset:         60
        .size:           4
        .value_kind:     hidden_block_count_y
      - .offset:         64
        .size:           4
        .value_kind:     hidden_block_count_z
      - .offset:         68
        .size:           2
        .value_kind:     hidden_group_size_x
      - .offset:         70
        .size:           2
        .value_kind:     hidden_group_size_y
      - .offset:         72
        .size:           2
        .value_kind:     hidden_group_size_z
      - .offset:         74
        .size:           2
        .value_kind:     hidden_remainder_x
      - .offset:         76
        .size:           2
        .value_kind:     hidden_remainder_y
      - .offset:         78
        .size:           2
        .value_kind:     hidden_remainder_z
      - .offset:         96
        .size:           8
        .value_kind:     hidden_global_offset_x
      - .offset:         104
        .size:           8
        .value_kind:     hidden_global_offset_y
      - .offset:         112
        .size:           8
        .value_kind:     hidden_global_offset_z
      - .offset:         120
        .size:           2
        .value_kind:     hidden_grid_dims
      - .offset:         176
        .size:           4
        .value_kind:     hidden_dynamic_lds_size
    .group_segment_fixed_size: 0
    .kernarg_segment_align: 8
    .kernarg_segment_size: 312
    .language:       OpenCL C
    .language_version:
      - 2
      - 0
    .max_flat_workgroup_size: 1024
    .name:           _ZN5aiter20topk_softplus_kernelI12hip_bfloat166__halfDv2_fLb0ELi1EEEvPKT_PKT0_PfPimiiif
    .private_segment_fixed_size: 0
    .sgpr_count:     25
    .sgpr_spill_count: 0
    .symbol:         _ZN5aiter20topk_softplus_kernelI12hip_bfloat166__halfDv2_fLb0ELi1EEEvPKT_PKT0_PfPimiiif.kd
    .uniform_work_group_size: 1
    .uses_dynamic_stack: false
    .vgpr_count:     14
    .vgpr_spill_count: 0
    .wavefront_size: 32
    .workgroup_processor_mode: 1
  - .args:
      - .actual_access:  read_only
        .address_space:  global
        .offset:         0
        .size:           8
        .value_kind:     global_buffer
      - .actual_access:  read_only
        .address_space:  global
        .offset:         8
        .size:           8
        .value_kind:     global_buffer
      - .actual_access:  write_only
        .address_space:  global
        .offset:         16
        .size:           8
        .value_kind:     global_buffer
      - .actual_access:  write_only
        .address_space:  global
        .offset:         24
        .size:           8
        .value_kind:     global_buffer
      - .offset:         32
        .size:           8
        .value_kind:     by_value
      - .offset:         40
        .size:           4
        .value_kind:     by_value
      - .offset:         44
        .size:           4
        .value_kind:     by_value
      - .offset:         48
        .size:           4
        .value_kind:     by_value
      - .offset:         52
        .size:           4
        .value_kind:     by_value
      - .offset:         56
        .size:           4
        .value_kind:     hidden_block_count_x
      - .offset:         60
        .size:           4
        .value_kind:     hidden_block_count_y
      - .offset:         64
        .size:           4
        .value_kind:     hidden_block_count_z
      - .offset:         68
        .size:           2
        .value_kind:     hidden_group_size_x
      - .offset:         70
        .size:           2
        .value_kind:     hidden_group_size_y
      - .offset:         72
        .size:           2
        .value_kind:     hidden_group_size_z
      - .offset:         74
        .size:           2
        .value_kind:     hidden_remainder_x
      - .offset:         76
        .size:           2
        .value_kind:     hidden_remainder_y
      - .offset:         78
        .size:           2
        .value_kind:     hidden_remainder_z
      - .offset:         96
        .size:           8
        .value_kind:     hidden_global_offset_x
      - .offset:         104
        .size:           8
        .value_kind:     hidden_global_offset_y
      - .offset:         112
        .size:           8
        .value_kind:     hidden_global_offset_z
      - .offset:         120
        .size:           2
        .value_kind:     hidden_grid_dims
      - .offset:         176
        .size:           4
        .value_kind:     hidden_dynamic_lds_size
    .group_segment_fixed_size: 0
    .kernarg_segment_align: 8
    .kernarg_segment_size: 312
    .language:       OpenCL C
    .language_version:
      - 2
      - 0
    .max_flat_workgroup_size: 1024
    .name:           _ZN5aiter20topk_softplus_kernelI12hip_bfloat166__halfDv1_fLb1ELi1EEEvPKT_PKT0_PfPimiiif
    .private_segment_fixed_size: 0
    .sgpr_count:     24
    .sgpr_spill_count: 0
    .symbol:         _ZN5aiter20topk_softplus_kernelI12hip_bfloat166__halfDv1_fLb1ELi1EEEvPKT_PKT0_PfPimiiif.kd
    .uniform_work_group_size: 1
    .uses_dynamic_stack: false
    .vgpr_count:     12
    .vgpr_spill_count: 0
    .wavefront_size: 32
    .workgroup_processor_mode: 1
  - .args:
      - .actual_access:  read_only
        .address_space:  global
        .offset:         0
        .size:           8
        .value_kind:     global_buffer
      - .actual_access:  read_only
        .address_space:  global
        .offset:         8
        .size:           8
        .value_kind:     global_buffer
      - .actual_access:  write_only
        .address_space:  global
        .offset:         16
        .size:           8
        .value_kind:     global_buffer
      - .actual_access:  write_only
        .address_space:  global
        .offset:         24
        .size:           8
        .value_kind:     global_buffer
      - .offset:         32
        .size:           8
        .value_kind:     by_value
      - .offset:         40
        .size:           4
        .value_kind:     by_value
      - .offset:         44
        .size:           4
        .value_kind:     by_value
      - .offset:         48
        .size:           4
        .value_kind:     by_value
      - .offset:         52
        .size:           4
        .value_kind:     by_value
      - .offset:         56
        .size:           4
        .value_kind:     hidden_block_count_x
      - .offset:         60
        .size:           4
        .value_kind:     hidden_block_count_y
      - .offset:         64
        .size:           4
        .value_kind:     hidden_block_count_z
      - .offset:         68
        .size:           2
        .value_kind:     hidden_group_size_x
      - .offset:         70
        .size:           2
        .value_kind:     hidden_group_size_y
      - .offset:         72
        .size:           2
        .value_kind:     hidden_group_size_z
      - .offset:         74
        .size:           2
        .value_kind:     hidden_remainder_x
      - .offset:         76
        .size:           2
        .value_kind:     hidden_remainder_y
      - .offset:         78
        .size:           2
        .value_kind:     hidden_remainder_z
      - .offset:         96
        .size:           8
        .value_kind:     hidden_global_offset_x
      - .offset:         104
        .size:           8
        .value_kind:     hidden_global_offset_y
      - .offset:         112
        .size:           8
        .value_kind:     hidden_global_offset_z
      - .offset:         120
        .size:           2
        .value_kind:     hidden_grid_dims
      - .offset:         176
        .size:           4
        .value_kind:     hidden_dynamic_lds_size
    .group_segment_fixed_size: 0
    .kernarg_segment_align: 8
    .kernarg_segment_size: 312
    .language:       OpenCL C
    .language_version:
      - 2
      - 0
    .max_flat_workgroup_size: 1024
    .name:           _ZN5aiter20topk_softplus_kernelI12hip_bfloat166__halfDv1_fLb0ELi1EEEvPKT_PKT0_PfPimiiif
    .private_segment_fixed_size: 0
    .sgpr_count:     24
    .sgpr_spill_count: 0
    .symbol:         _ZN5aiter20topk_softplus_kernelI12hip_bfloat166__halfDv1_fLb0ELi1EEEvPKT_PKT0_PfPimiiif.kd
    .uniform_work_group_size: 1
    .uses_dynamic_stack: false
    .vgpr_count:     11
    .vgpr_spill_count: 0
    .wavefront_size: 32
    .workgroup_processor_mode: 1
  - .args:
      - .actual_access:  read_only
        .address_space:  global
        .offset:         0
        .size:           8
        .value_kind:     global_buffer
      - .actual_access:  read_only
        .address_space:  global
        .offset:         8
        .size:           8
        .value_kind:     global_buffer
      - .actual_access:  write_only
        .address_space:  global
        .offset:         16
        .size:           8
        .value_kind:     global_buffer
      - .actual_access:  write_only
        .address_space:  global
        .offset:         24
        .size:           8
        .value_kind:     global_buffer
      - .offset:         32
        .size:           8
        .value_kind:     by_value
      - .offset:         40
        .size:           4
        .value_kind:     by_value
      - .offset:         44
        .size:           4
        .value_kind:     by_value
      - .offset:         48
        .size:           4
        .value_kind:     by_value
      - .offset:         52
        .size:           4
        .value_kind:     by_value
      - .offset:         56
        .size:           4
        .value_kind:     hidden_block_count_x
      - .offset:         60
        .size:           4
        .value_kind:     hidden_block_count_y
      - .offset:         64
        .size:           4
        .value_kind:     hidden_block_count_z
      - .offset:         68
        .size:           2
        .value_kind:     hidden_group_size_x
      - .offset:         70
        .size:           2
        .value_kind:     hidden_group_size_y
      - .offset:         72
        .size:           2
        .value_kind:     hidden_group_size_z
      - .offset:         74
        .size:           2
        .value_kind:     hidden_remainder_x
      - .offset:         76
        .size:           2
        .value_kind:     hidden_remainder_y
      - .offset:         78
        .size:           2
        .value_kind:     hidden_remainder_z
      - .offset:         96
        .size:           8
        .value_kind:     hidden_global_offset_x
      - .offset:         104
        .size:           8
        .value_kind:     hidden_global_offset_y
      - .offset:         112
        .size:           8
        .value_kind:     hidden_global_offset_z
      - .offset:         120
        .size:           2
        .value_kind:     hidden_grid_dims
      - .offset:         176
        .size:           4
        .value_kind:     hidden_dynamic_lds_size
    .group_segment_fixed_size: 0
    .kernarg_segment_align: 8
    .kernarg_segment_size: 312
    .language:       OpenCL C
    .language_version:
      - 2
      - 0
    .max_flat_workgroup_size: 1024
    .name:           _ZN5aiter20topk_softplus_kernelI12hip_bfloat166__halfDv4_fLb1ELi2EEEvPKT_PKT0_PfPimiiif
    .private_segment_fixed_size: 0
    .sgpr_count:     25
    .sgpr_spill_count: 0
    .symbol:         _ZN5aiter20topk_softplus_kernelI12hip_bfloat166__halfDv4_fLb1ELi2EEEvPKT_PKT0_PfPimiiif.kd
    .uniform_work_group_size: 1
    .uses_dynamic_stack: false
    .vgpr_count:     17
    .vgpr_spill_count: 0
    .wavefront_size: 32
    .workgroup_processor_mode: 1
  - .args:
      - .actual_access:  read_only
        .address_space:  global
        .offset:         0
        .size:           8
        .value_kind:     global_buffer
      - .actual_access:  read_only
        .address_space:  global
        .offset:         8
        .size:           8
        .value_kind:     global_buffer
      - .actual_access:  write_only
        .address_space:  global
        .offset:         16
        .size:           8
        .value_kind:     global_buffer
      - .actual_access:  write_only
        .address_space:  global
        .offset:         24
        .size:           8
        .value_kind:     global_buffer
      - .offset:         32
        .size:           8
        .value_kind:     by_value
      - .offset:         40
        .size:           4
        .value_kind:     by_value
      - .offset:         44
        .size:           4
        .value_kind:     by_value
      - .offset:         48
        .size:           4
        .value_kind:     by_value
      - .offset:         52
        .size:           4
        .value_kind:     by_value
      - .offset:         56
        .size:           4
        .value_kind:     hidden_block_count_x
      - .offset:         60
        .size:           4
        .value_kind:     hidden_block_count_y
      - .offset:         64
        .size:           4
        .value_kind:     hidden_block_count_z
      - .offset:         68
        .size:           2
        .value_kind:     hidden_group_size_x
      - .offset:         70
        .size:           2
        .value_kind:     hidden_group_size_y
      - .offset:         72
        .size:           2
        .value_kind:     hidden_group_size_z
      - .offset:         74
        .size:           2
        .value_kind:     hidden_remainder_x
      - .offset:         76
        .size:           2
        .value_kind:     hidden_remainder_y
      - .offset:         78
        .size:           2
        .value_kind:     hidden_remainder_z
      - .offset:         96
        .size:           8
        .value_kind:     hidden_global_offset_x
      - .offset:         104
        .size:           8
        .value_kind:     hidden_global_offset_y
      - .offset:         112
        .size:           8
        .value_kind:     hidden_global_offset_z
      - .offset:         120
        .size:           2
        .value_kind:     hidden_grid_dims
      - .offset:         176
        .size:           4
        .value_kind:     hidden_dynamic_lds_size
    .group_segment_fixed_size: 0
    .kernarg_segment_align: 8
    .kernarg_segment_size: 312
    .language:       OpenCL C
    .language_version:
      - 2
      - 0
    .max_flat_workgroup_size: 1024
    .name:           _ZN5aiter20topk_softplus_kernelI12hip_bfloat166__halfDv4_fLb0ELi2EEEvPKT_PKT0_PfPimiiif
    .private_segment_fixed_size: 0
    .sgpr_count:     25
    .sgpr_spill_count: 0
    .symbol:         _ZN5aiter20topk_softplus_kernelI12hip_bfloat166__halfDv4_fLb0ELi2EEEvPKT_PKT0_PfPimiiif.kd
    .uniform_work_group_size: 1
    .uses_dynamic_stack: false
    .vgpr_count:     16
    .vgpr_spill_count: 0
    .wavefront_size: 32
    .workgroup_processor_mode: 1
  - .args:
      - .actual_access:  read_only
        .address_space:  global
        .offset:         0
        .size:           8
        .value_kind:     global_buffer
      - .actual_access:  read_only
        .address_space:  global
        .offset:         8
        .size:           8
        .value_kind:     global_buffer
      - .actual_access:  write_only
        .address_space:  global
        .offset:         16
        .size:           8
        .value_kind:     global_buffer
      - .actual_access:  write_only
        .address_space:  global
        .offset:         24
        .size:           8
        .value_kind:     global_buffer
      - .offset:         32
        .size:           8
        .value_kind:     by_value
      - .offset:         40
        .size:           4
        .value_kind:     by_value
      - .offset:         44
        .size:           4
        .value_kind:     by_value
      - .offset:         48
        .size:           4
        .value_kind:     by_value
      - .offset:         52
        .size:           4
        .value_kind:     by_value
      - .offset:         56
        .size:           4
        .value_kind:     hidden_block_count_x
      - .offset:         60
        .size:           4
        .value_kind:     hidden_block_count_y
      - .offset:         64
        .size:           4
        .value_kind:     hidden_block_count_z
      - .offset:         68
        .size:           2
        .value_kind:     hidden_group_size_x
      - .offset:         70
        .size:           2
        .value_kind:     hidden_group_size_y
      - .offset:         72
        .size:           2
        .value_kind:     hidden_group_size_z
      - .offset:         74
        .size:           2
        .value_kind:     hidden_remainder_x
      - .offset:         76
        .size:           2
        .value_kind:     hidden_remainder_y
      - .offset:         78
        .size:           2
        .value_kind:     hidden_remainder_z
      - .offset:         96
        .size:           8
        .value_kind:     hidden_global_offset_x
      - .offset:         104
        .size:           8
        .value_kind:     hidden_global_offset_y
      - .offset:         112
        .size:           8
        .value_kind:     hidden_global_offset_z
      - .offset:         120
        .size:           2
        .value_kind:     hidden_grid_dims
      - .offset:         176
        .size:           4
        .value_kind:     hidden_dynamic_lds_size
    .group_segment_fixed_size: 0
    .kernarg_segment_align: 8
    .kernarg_segment_size: 312
    .language:       OpenCL C
    .language_version:
      - 2
      - 0
    .max_flat_workgroup_size: 1024
    .name:           _ZN5aiter20topk_softplus_kernelI12hip_bfloat166__halfDv2_fLb1ELi2EEEvPKT_PKT0_PfPimiiif
    .private_segment_fixed_size: 0
    .sgpr_count:     25
    .sgpr_spill_count: 0
    .symbol:         _ZN5aiter20topk_softplus_kernelI12hip_bfloat166__halfDv2_fLb1ELi2EEEvPKT_PKT0_PfPimiiif.kd
    .uniform_work_group_size: 1
    .uses_dynamic_stack: false
    .vgpr_count:     15
    .vgpr_spill_count: 0
    .wavefront_size: 32
    .workgroup_processor_mode: 1
  - .args:
      - .actual_access:  read_only
        .address_space:  global
        .offset:         0
        .size:           8
        .value_kind:     global_buffer
      - .actual_access:  read_only
        .address_space:  global
        .offset:         8
        .size:           8
        .value_kind:     global_buffer
      - .actual_access:  write_only
        .address_space:  global
        .offset:         16
        .size:           8
        .value_kind:     global_buffer
      - .actual_access:  write_only
        .address_space:  global
        .offset:         24
        .size:           8
        .value_kind:     global_buffer
      - .offset:         32
        .size:           8
        .value_kind:     by_value
      - .offset:         40
        .size:           4
        .value_kind:     by_value
      - .offset:         44
        .size:           4
        .value_kind:     by_value
      - .offset:         48
        .size:           4
        .value_kind:     by_value
      - .offset:         52
        .size:           4
        .value_kind:     by_value
      - .offset:         56
        .size:           4
        .value_kind:     hidden_block_count_x
      - .offset:         60
        .size:           4
        .value_kind:     hidden_block_count_y
      - .offset:         64
        .size:           4
        .value_kind:     hidden_block_count_z
      - .offset:         68
        .size:           2
        .value_kind:     hidden_group_size_x
      - .offset:         70
        .size:           2
        .value_kind:     hidden_group_size_y
      - .offset:         72
        .size:           2
        .value_kind:     hidden_group_size_z
      - .offset:         74
        .size:           2
        .value_kind:     hidden_remainder_x
      - .offset:         76
        .size:           2
        .value_kind:     hidden_remainder_y
      - .offset:         78
        .size:           2
        .value_kind:     hidden_remainder_z
      - .offset:         96
        .size:           8
        .value_kind:     hidden_global_offset_x
      - .offset:         104
        .size:           8
        .value_kind:     hidden_global_offset_y
      - .offset:         112
        .size:           8
        .value_kind:     hidden_global_offset_z
      - .offset:         120
        .size:           2
        .value_kind:     hidden_grid_dims
      - .offset:         176
        .size:           4
        .value_kind:     hidden_dynamic_lds_size
    .group_segment_fixed_size: 0
    .kernarg_segment_align: 8
    .kernarg_segment_size: 312
    .language:       OpenCL C
    .language_version:
      - 2
      - 0
    .max_flat_workgroup_size: 1024
    .name:           _ZN5aiter20topk_softplus_kernelI12hip_bfloat166__halfDv2_fLb0ELi2EEEvPKT_PKT0_PfPimiiif
    .private_segment_fixed_size: 0
    .sgpr_count:     25
    .sgpr_spill_count: 0
    .symbol:         _ZN5aiter20topk_softplus_kernelI12hip_bfloat166__halfDv2_fLb0ELi2EEEvPKT_PKT0_PfPimiiif.kd
    .uniform_work_group_size: 1
    .uses_dynamic_stack: false
    .vgpr_count:     14
    .vgpr_spill_count: 0
    .wavefront_size: 32
    .workgroup_processor_mode: 1
  - .args:
      - .actual_access:  read_only
        .address_space:  global
        .offset:         0
        .size:           8
        .value_kind:     global_buffer
      - .actual_access:  read_only
        .address_space:  global
        .offset:         8
        .size:           8
        .value_kind:     global_buffer
      - .actual_access:  write_only
        .address_space:  global
        .offset:         16
        .size:           8
        .value_kind:     global_buffer
      - .actual_access:  write_only
        .address_space:  global
        .offset:         24
        .size:           8
        .value_kind:     global_buffer
      - .offset:         32
        .size:           8
        .value_kind:     by_value
      - .offset:         40
        .size:           4
        .value_kind:     by_value
      - .offset:         44
        .size:           4
        .value_kind:     by_value
      - .offset:         48
        .size:           4
        .value_kind:     by_value
      - .offset:         52
        .size:           4
        .value_kind:     by_value
      - .offset:         56
        .size:           4
        .value_kind:     hidden_block_count_x
      - .offset:         60
        .size:           4
        .value_kind:     hidden_block_count_y
      - .offset:         64
        .size:           4
        .value_kind:     hidden_block_count_z
      - .offset:         68
        .size:           2
        .value_kind:     hidden_group_size_x
      - .offset:         70
        .size:           2
        .value_kind:     hidden_group_size_y
      - .offset:         72
        .size:           2
        .value_kind:     hidden_group_size_z
      - .offset:         74
        .size:           2
        .value_kind:     hidden_remainder_x
      - .offset:         76
        .size:           2
        .value_kind:     hidden_remainder_y
      - .offset:         78
        .size:           2
        .value_kind:     hidden_remainder_z
      - .offset:         96
        .size:           8
        .value_kind:     hidden_global_offset_x
      - .offset:         104
        .size:           8
        .value_kind:     hidden_global_offset_y
      - .offset:         112
        .size:           8
        .value_kind:     hidden_global_offset_z
      - .offset:         120
        .size:           2
        .value_kind:     hidden_grid_dims
      - .offset:         176
        .size:           4
        .value_kind:     hidden_dynamic_lds_size
    .group_segment_fixed_size: 0
    .kernarg_segment_align: 8
    .kernarg_segment_size: 312
    .language:       OpenCL C
    .language_version:
      - 2
      - 0
    .max_flat_workgroup_size: 1024
    .name:           _ZN5aiter20topk_softplus_kernelI12hip_bfloat166__halfDv1_fLb1ELi2EEEvPKT_PKT0_PfPimiiif
    .private_segment_fixed_size: 0
    .sgpr_count:     24
    .sgpr_spill_count: 0
    .symbol:         _ZN5aiter20topk_softplus_kernelI12hip_bfloat166__halfDv1_fLb1ELi2EEEvPKT_PKT0_PfPimiiif.kd
    .uniform_work_group_size: 1
    .uses_dynamic_stack: false
    .vgpr_count:     12
    .vgpr_spill_count: 0
    .wavefront_size: 32
    .workgroup_processor_mode: 1
  - .args:
      - .actual_access:  read_only
        .address_space:  global
        .offset:         0
        .size:           8
        .value_kind:     global_buffer
      - .actual_access:  read_only
        .address_space:  global
        .offset:         8
        .size:           8
        .value_kind:     global_buffer
      - .actual_access:  write_only
        .address_space:  global
        .offset:         16
        .size:           8
        .value_kind:     global_buffer
      - .actual_access:  write_only
        .address_space:  global
        .offset:         24
        .size:           8
        .value_kind:     global_buffer
      - .offset:         32
        .size:           8
        .value_kind:     by_value
      - .offset:         40
        .size:           4
        .value_kind:     by_value
      - .offset:         44
        .size:           4
        .value_kind:     by_value
      - .offset:         48
        .size:           4
        .value_kind:     by_value
      - .offset:         52
        .size:           4
        .value_kind:     by_value
      - .offset:         56
        .size:           4
        .value_kind:     hidden_block_count_x
      - .offset:         60
        .size:           4
        .value_kind:     hidden_block_count_y
      - .offset:         64
        .size:           4
        .value_kind:     hidden_block_count_z
      - .offset:         68
        .size:           2
        .value_kind:     hidden_group_size_x
      - .offset:         70
        .size:           2
        .value_kind:     hidden_group_size_y
      - .offset:         72
        .size:           2
        .value_kind:     hidden_group_size_z
      - .offset:         74
        .size:           2
        .value_kind:     hidden_remainder_x
      - .offset:         76
        .size:           2
        .value_kind:     hidden_remainder_y
      - .offset:         78
        .size:           2
        .value_kind:     hidden_remainder_z
      - .offset:         96
        .size:           8
        .value_kind:     hidden_global_offset_x
      - .offset:         104
        .size:           8
        .value_kind:     hidden_global_offset_y
      - .offset:         112
        .size:           8
        .value_kind:     hidden_global_offset_z
      - .offset:         120
        .size:           2
        .value_kind:     hidden_grid_dims
      - .offset:         176
        .size:           4
        .value_kind:     hidden_dynamic_lds_size
    .group_segment_fixed_size: 0
    .kernarg_segment_align: 8
    .kernarg_segment_size: 312
    .language:       OpenCL C
    .language_version:
      - 2
      - 0
    .max_flat_workgroup_size: 1024
    .name:           _ZN5aiter20topk_softplus_kernelI12hip_bfloat166__halfDv1_fLb0ELi2EEEvPKT_PKT0_PfPimiiif
    .private_segment_fixed_size: 0
    .sgpr_count:     24
    .sgpr_spill_count: 0
    .symbol:         _ZN5aiter20topk_softplus_kernelI12hip_bfloat166__halfDv1_fLb0ELi2EEEvPKT_PKT0_PfPimiiif.kd
    .uniform_work_group_size: 1
    .uses_dynamic_stack: false
    .vgpr_count:     11
    .vgpr_spill_count: 0
    .wavefront_size: 32
    .workgroup_processor_mode: 1
  - .args:
      - .actual_access:  read_only
        .address_space:  global
        .offset:         0
        .size:           8
        .value_kind:     global_buffer
      - .actual_access:  read_only
        .address_space:  global
        .offset:         8
        .size:           8
        .value_kind:     global_buffer
      - .actual_access:  write_only
        .address_space:  global
        .offset:         16
        .size:           8
        .value_kind:     global_buffer
      - .actual_access:  write_only
        .address_space:  global
        .offset:         24
        .size:           8
        .value_kind:     global_buffer
      - .offset:         32
        .size:           8
        .value_kind:     by_value
      - .offset:         40
        .size:           4
        .value_kind:     by_value
      - .offset:         44
        .size:           4
        .value_kind:     by_value
      - .offset:         48
        .size:           4
        .value_kind:     by_value
    .group_segment_fixed_size: 0
    .kernarg_segment_align: 8
    .kernarg_segment_size: 52
    .language:       OpenCL C
    .language_version:
      - 2
      - 0
    .max_flat_workgroup_size: 1024
    .name:           _ZN5aiter24topk_softplus_kernel_optI12hip_bfloat166__halfLi64ELb1ELi0EEEvPKT_PKT0_PfPimiif
    .private_segment_fixed_size: 0
    .sgpr_count:     18
    .sgpr_spill_count: 0
    .symbol:         _ZN5aiter24topk_softplus_kernel_optI12hip_bfloat166__halfLi64ELb1ELi0EEEvPKT_PKT0_PfPimiif.kd
    .uniform_work_group_size: 1
    .uses_dynamic_stack: false
    .vgpr_count:     17
    .vgpr_spill_count: 0
    .wavefront_size: 32
    .workgroup_processor_mode: 1
  - .args:
      - .actual_access:  read_only
        .address_space:  global
        .offset:         0
        .size:           8
        .value_kind:     global_buffer
      - .actual_access:  read_only
        .address_space:  global
        .offset:         8
        .size:           8
        .value_kind:     global_buffer
      - .actual_access:  write_only
        .address_space:  global
        .offset:         16
        .size:           8
        .value_kind:     global_buffer
      - .actual_access:  write_only
        .address_space:  global
        .offset:         24
        .size:           8
        .value_kind:     global_buffer
      - .offset:         32
        .size:           8
        .value_kind:     by_value
      - .offset:         40
        .size:           4
        .value_kind:     by_value
      - .offset:         44
        .size:           4
        .value_kind:     by_value
      - .offset:         48
        .size:           4
        .value_kind:     by_value
    .group_segment_fixed_size: 0
    .kernarg_segment_align: 8
    .kernarg_segment_size: 52
    .language:       OpenCL C
    .language_version:
      - 2
      - 0
    .max_flat_workgroup_size: 1024
    .name:           _ZN5aiter24topk_softplus_kernel_optI12hip_bfloat166__halfLi64ELb0ELi0EEEvPKT_PKT0_PfPimiif
    .private_segment_fixed_size: 0
    .sgpr_count:     18
    .sgpr_spill_count: 0
    .symbol:         _ZN5aiter24topk_softplus_kernel_optI12hip_bfloat166__halfLi64ELb0ELi0EEEvPKT_PKT0_PfPimiif.kd
    .uniform_work_group_size: 1
    .uses_dynamic_stack: false
    .vgpr_count:     14
    .vgpr_spill_count: 0
    .wavefront_size: 32
    .workgroup_processor_mode: 1
  - .args:
      - .actual_access:  read_only
        .address_space:  global
        .offset:         0
        .size:           8
        .value_kind:     global_buffer
      - .actual_access:  read_only
        .address_space:  global
        .offset:         8
        .size:           8
        .value_kind:     global_buffer
      - .actual_access:  write_only
        .address_space:  global
        .offset:         16
        .size:           8
        .value_kind:     global_buffer
      - .actual_access:  write_only
        .address_space:  global
        .offset:         24
        .size:           8
        .value_kind:     global_buffer
      - .offset:         32
        .size:           8
        .value_kind:     by_value
      - .offset:         40
        .size:           4
        .value_kind:     by_value
      - .offset:         44
        .size:           4
        .value_kind:     by_value
      - .offset:         48
        .size:           4
        .value_kind:     by_value
    .group_segment_fixed_size: 0
    .kernarg_segment_align: 8
    .kernarg_segment_size: 52
    .language:       OpenCL C
    .language_version:
      - 2
      - 0
    .max_flat_workgroup_size: 1024
    .name:           _ZN5aiter24topk_softplus_kernel_optI12hip_bfloat166__halfLi128ELb1ELi0EEEvPKT_PKT0_PfPimiif
    .private_segment_fixed_size: 0
    .sgpr_count:     18
    .sgpr_spill_count: 0
    .symbol:         _ZN5aiter24topk_softplus_kernel_optI12hip_bfloat166__halfLi128ELb1ELi0EEEvPKT_PKT0_PfPimiif.kd
    .uniform_work_group_size: 1
    .uses_dynamic_stack: false
    .vgpr_count:     24
    .vgpr_spill_count: 0
    .wavefront_size: 32
    .workgroup_processor_mode: 1
  - .args:
      - .actual_access:  read_only
        .address_space:  global
        .offset:         0
        .size:           8
        .value_kind:     global_buffer
      - .actual_access:  read_only
        .address_space:  global
        .offset:         8
        .size:           8
        .value_kind:     global_buffer
      - .actual_access:  write_only
        .address_space:  global
        .offset:         16
        .size:           8
        .value_kind:     global_buffer
      - .actual_access:  write_only
        .address_space:  global
        .offset:         24
        .size:           8
        .value_kind:     global_buffer
      - .offset:         32
        .size:           8
        .value_kind:     by_value
      - .offset:         40
        .size:           4
        .value_kind:     by_value
      - .offset:         44
        .size:           4
        .value_kind:     by_value
      - .offset:         48
        .size:           4
        .value_kind:     by_value
    .group_segment_fixed_size: 0
    .kernarg_segment_align: 8
    .kernarg_segment_size: 52
    .language:       OpenCL C
    .language_version:
      - 2
      - 0
    .max_flat_workgroup_size: 1024
    .name:           _ZN5aiter24topk_softplus_kernel_optI12hip_bfloat166__halfLi128ELb0ELi0EEEvPKT_PKT0_PfPimiif
    .private_segment_fixed_size: 0
    .sgpr_count:     18
    .sgpr_spill_count: 0
    .symbol:         _ZN5aiter24topk_softplus_kernel_optI12hip_bfloat166__halfLi128ELb0ELi0EEEvPKT_PKT0_PfPimiif.kd
    .uniform_work_group_size: 1
    .uses_dynamic_stack: false
    .vgpr_count:     22
    .vgpr_spill_count: 0
    .wavefront_size: 32
    .workgroup_processor_mode: 1
  - .args:
      - .actual_access:  read_only
        .address_space:  global
        .offset:         0
        .size:           8
        .value_kind:     global_buffer
      - .actual_access:  read_only
        .address_space:  global
        .offset:         8
        .size:           8
        .value_kind:     global_buffer
      - .actual_access:  write_only
        .address_space:  global
        .offset:         16
        .size:           8
        .value_kind:     global_buffer
      - .actual_access:  write_only
        .address_space:  global
        .offset:         24
        .size:           8
        .value_kind:     global_buffer
      - .offset:         32
        .size:           8
        .value_kind:     by_value
      - .offset:         40
        .size:           4
        .value_kind:     by_value
      - .offset:         44
        .size:           4
        .value_kind:     by_value
      - .offset:         48
        .size:           4
        .value_kind:     by_value
    .group_segment_fixed_size: 0
    .kernarg_segment_align: 8
    .kernarg_segment_size: 52
    .language:       OpenCL C
    .language_version:
      - 2
      - 0
    .max_flat_workgroup_size: 1024
    .name:           _ZN5aiter24topk_softplus_kernel_optI12hip_bfloat166__halfLi256ELb1ELi0EEEvPKT_PKT0_PfPimiif
    .private_segment_fixed_size: 0
    .sgpr_count:     18
    .sgpr_spill_count: 0
    .symbol:         _ZN5aiter24topk_softplus_kernel_optI12hip_bfloat166__halfLi256ELb1ELi0EEEvPKT_PKT0_PfPimiif.kd
    .uniform_work_group_size: 1
    .uses_dynamic_stack: false
    .vgpr_count:     96
    .vgpr_spill_count: 0
    .wavefront_size: 32
    .workgroup_processor_mode: 1
  - .args:
      - .actual_access:  read_only
        .address_space:  global
        .offset:         0
        .size:           8
        .value_kind:     global_buffer
      - .actual_access:  read_only
        .address_space:  global
        .offset:         8
        .size:           8
        .value_kind:     global_buffer
      - .actual_access:  write_only
        .address_space:  global
        .offset:         16
        .size:           8
        .value_kind:     global_buffer
      - .actual_access:  write_only
        .address_space:  global
        .offset:         24
        .size:           8
        .value_kind:     global_buffer
      - .offset:         32
        .size:           8
        .value_kind:     by_value
      - .offset:         40
        .size:           4
        .value_kind:     by_value
      - .offset:         44
        .size:           4
        .value_kind:     by_value
      - .offset:         48
        .size:           4
        .value_kind:     by_value
    .group_segment_fixed_size: 0
    .kernarg_segment_align: 8
    .kernarg_segment_size: 52
    .language:       OpenCL C
    .language_version:
      - 2
      - 0
    .max_flat_workgroup_size: 1024
    .name:           _ZN5aiter24topk_softplus_kernel_optI12hip_bfloat166__halfLi256ELb0ELi0EEEvPKT_PKT0_PfPimiif
    .private_segment_fixed_size: 0
    .sgpr_count:     18
    .sgpr_spill_count: 0
    .symbol:         _ZN5aiter24topk_softplus_kernel_optI12hip_bfloat166__halfLi256ELb0ELi0EEEvPKT_PKT0_PfPimiif.kd
    .uniform_work_group_size: 1
    .uses_dynamic_stack: false
    .vgpr_count:     96
    .vgpr_spill_count: 0
    .wavefront_size: 32
    .workgroup_processor_mode: 1
  - .args:
      - .actual_access:  read_only
        .address_space:  global
        .offset:         0
        .size:           8
        .value_kind:     global_buffer
      - .actual_access:  read_only
        .address_space:  global
        .offset:         8
        .size:           8
        .value_kind:     global_buffer
      - .actual_access:  write_only
        .address_space:  global
        .offset:         16
        .size:           8
        .value_kind:     global_buffer
      - .actual_access:  write_only
        .address_space:  global
        .offset:         24
        .size:           8
        .value_kind:     global_buffer
      - .offset:         32
        .size:           8
        .value_kind:     by_value
      - .offset:         40
        .size:           4
        .value_kind:     by_value
      - .offset:         44
        .size:           4
        .value_kind:     by_value
      - .offset:         48
        .size:           4
        .value_kind:     by_value
    .group_segment_fixed_size: 0
    .kernarg_segment_align: 8
    .kernarg_segment_size: 52
    .language:       OpenCL C
    .language_version:
      - 2
      - 0
    .max_flat_workgroup_size: 1024
    .name:           _ZN5aiter24topk_softplus_kernel_optI12hip_bfloat166__halfLi384ELb1ELi0EEEvPKT_PKT0_PfPimiif
    .private_segment_fixed_size: 196
    .sgpr_count:     18
    .sgpr_spill_count: 0
    .symbol:         _ZN5aiter24topk_softplus_kernel_optI12hip_bfloat166__halfLi384ELb1ELi0EEEvPKT_PKT0_PfPimiif.kd
    .uniform_work_group_size: 1
    .uses_dynamic_stack: false
    .vgpr_count:     183
    .vgpr_spill_count: 300
    .wavefront_size: 32
    .workgroup_processor_mode: 1
  - .args:
      - .actual_access:  read_only
        .address_space:  global
        .offset:         0
        .size:           8
        .value_kind:     global_buffer
      - .actual_access:  read_only
        .address_space:  global
        .offset:         8
        .size:           8
        .value_kind:     global_buffer
      - .actual_access:  write_only
        .address_space:  global
        .offset:         16
        .size:           8
        .value_kind:     global_buffer
      - .actual_access:  write_only
        .address_space:  global
        .offset:         24
        .size:           8
        .value_kind:     global_buffer
      - .offset:         32
        .size:           8
        .value_kind:     by_value
      - .offset:         40
        .size:           4
        .value_kind:     by_value
      - .offset:         44
        .size:           4
        .value_kind:     by_value
      - .offset:         48
        .size:           4
        .value_kind:     by_value
    .group_segment_fixed_size: 0
    .kernarg_segment_align: 8
    .kernarg_segment_size: 52
    .language:       OpenCL C
    .language_version:
      - 2
      - 0
    .max_flat_workgroup_size: 1024
    .name:           _ZN5aiter24topk_softplus_kernel_optI12hip_bfloat166__halfLi384ELb0ELi0EEEvPKT_PKT0_PfPimiif
    .private_segment_fixed_size: 196
    .sgpr_count:     18
    .sgpr_spill_count: 0
    .symbol:         _ZN5aiter24topk_softplus_kernel_optI12hip_bfloat166__halfLi384ELb0ELi0EEEvPKT_PKT0_PfPimiif.kd
    .uniform_work_group_size: 1
    .uses_dynamic_stack: false
    .vgpr_count:     183
    .vgpr_spill_count: 300
    .wavefront_size: 32
    .workgroup_processor_mode: 1
  - .args:
      - .actual_access:  read_only
        .address_space:  global
        .offset:         0
        .size:           8
        .value_kind:     global_buffer
      - .actual_access:  read_only
        .address_space:  global
        .offset:         8
        .size:           8
        .value_kind:     global_buffer
      - .actual_access:  write_only
        .address_space:  global
        .offset:         16
        .size:           8
        .value_kind:     global_buffer
      - .actual_access:  write_only
        .address_space:  global
        .offset:         24
        .size:           8
        .value_kind:     global_buffer
      - .offset:         32
        .size:           8
        .value_kind:     by_value
      - .offset:         40
        .size:           4
        .value_kind:     by_value
      - .offset:         44
        .size:           4
        .value_kind:     by_value
      - .offset:         48
        .size:           4
        .value_kind:     by_value
      - .offset:         52
        .size:           4
        .value_kind:     by_value
      - .offset:         56
        .size:           4
        .value_kind:     hidden_block_count_x
      - .offset:         60
        .size:           4
        .value_kind:     hidden_block_count_y
      - .offset:         64
        .size:           4
        .value_kind:     hidden_block_count_z
      - .offset:         68
        .size:           2
        .value_kind:     hidden_group_size_x
      - .offset:         70
        .size:           2
        .value_kind:     hidden_group_size_y
      - .offset:         72
        .size:           2
        .value_kind:     hidden_group_size_z
      - .offset:         74
        .size:           2
        .value_kind:     hidden_remainder_x
      - .offset:         76
        .size:           2
        .value_kind:     hidden_remainder_y
      - .offset:         78
        .size:           2
        .value_kind:     hidden_remainder_z
      - .offset:         96
        .size:           8
        .value_kind:     hidden_global_offset_x
      - .offset:         104
        .size:           8
        .value_kind:     hidden_global_offset_y
      - .offset:         112
        .size:           8
        .value_kind:     hidden_global_offset_z
      - .offset:         120
        .size:           2
        .value_kind:     hidden_grid_dims
      - .offset:         176
        .size:           4
        .value_kind:     hidden_dynamic_lds_size
    .group_segment_fixed_size: 0
    .kernarg_segment_align: 8
    .kernarg_segment_size: 312
    .language:       OpenCL C
    .language_version:
      - 2
      - 0
    .max_flat_workgroup_size: 1024
    .name:           _ZN5aiter20topk_softplus_kernelI12hip_bfloat166__halfDv4_fLb1ELi0EEEvPKT_PKT0_PfPimiiif
    .private_segment_fixed_size: 0
    .sgpr_count:     33
    .sgpr_spill_count: 0
    .symbol:         _ZN5aiter20topk_softplus_kernelI12hip_bfloat166__halfDv4_fLb1ELi0EEEvPKT_PKT0_PfPimiiif.kd
    .uniform_work_group_size: 1
    .uses_dynamic_stack: false
    .vgpr_count:     20
    .vgpr_spill_count: 0
    .wavefront_size: 32
    .workgroup_processor_mode: 1
  - .args:
      - .actual_access:  read_only
        .address_space:  global
        .offset:         0
        .size:           8
        .value_kind:     global_buffer
      - .actual_access:  read_only
        .address_space:  global
        .offset:         8
        .size:           8
        .value_kind:     global_buffer
      - .actual_access:  write_only
        .address_space:  global
        .offset:         16
        .size:           8
        .value_kind:     global_buffer
      - .actual_access:  write_only
        .address_space:  global
        .offset:         24
        .size:           8
        .value_kind:     global_buffer
      - .offset:         32
        .size:           8
        .value_kind:     by_value
      - .offset:         40
        .size:           4
        .value_kind:     by_value
      - .offset:         44
        .size:           4
        .value_kind:     by_value
      - .offset:         48
        .size:           4
        .value_kind:     by_value
      - .offset:         52
        .size:           4
        .value_kind:     by_value
      - .offset:         56
        .size:           4
        .value_kind:     hidden_block_count_x
      - .offset:         60
        .size:           4
        .value_kind:     hidden_block_count_y
      - .offset:         64
        .size:           4
        .value_kind:     hidden_block_count_z
      - .offset:         68
        .size:           2
        .value_kind:     hidden_group_size_x
      - .offset:         70
        .size:           2
        .value_kind:     hidden_group_size_y
      - .offset:         72
        .size:           2
        .value_kind:     hidden_group_size_z
      - .offset:         74
        .size:           2
        .value_kind:     hidden_remainder_x
      - .offset:         76
        .size:           2
        .value_kind:     hidden_remainder_y
      - .offset:         78
        .size:           2
        .value_kind:     hidden_remainder_z
      - .offset:         96
        .size:           8
        .value_kind:     hidden_global_offset_x
      - .offset:         104
        .size:           8
        .value_kind:     hidden_global_offset_y
      - .offset:         112
        .size:           8
        .value_kind:     hidden_global_offset_z
      - .offset:         120
        .size:           2
        .value_kind:     hidden_grid_dims
      - .offset:         176
        .size:           4
        .value_kind:     hidden_dynamic_lds_size
    .group_segment_fixed_size: 0
    .kernarg_segment_align: 8
    .kernarg_segment_size: 312
    .language:       OpenCL C
    .language_version:
      - 2
      - 0
    .max_flat_workgroup_size: 1024
    .name:           _ZN5aiter20topk_softplus_kernelI12hip_bfloat166__halfDv4_fLb0ELi0EEEvPKT_PKT0_PfPimiiif
    .private_segment_fixed_size: 0
    .sgpr_count:     33
    .sgpr_spill_count: 0
    .symbol:         _ZN5aiter20topk_softplus_kernelI12hip_bfloat166__halfDv4_fLb0ELi0EEEvPKT_PKT0_PfPimiiif.kd
    .uniform_work_group_size: 1
    .uses_dynamic_stack: false
    .vgpr_count:     20
    .vgpr_spill_count: 0
    .wavefront_size: 32
    .workgroup_processor_mode: 1
  - .args:
      - .actual_access:  read_only
        .address_space:  global
        .offset:         0
        .size:           8
        .value_kind:     global_buffer
      - .actual_access:  read_only
        .address_space:  global
        .offset:         8
        .size:           8
        .value_kind:     global_buffer
      - .actual_access:  write_only
        .address_space:  global
        .offset:         16
        .size:           8
        .value_kind:     global_buffer
      - .actual_access:  write_only
        .address_space:  global
        .offset:         24
        .size:           8
        .value_kind:     global_buffer
      - .offset:         32
        .size:           8
        .value_kind:     by_value
      - .offset:         40
        .size:           4
        .value_kind:     by_value
      - .offset:         44
        .size:           4
        .value_kind:     by_value
      - .offset:         48
        .size:           4
        .value_kind:     by_value
      - .offset:         52
        .size:           4
        .value_kind:     by_value
      - .offset:         56
        .size:           4
        .value_kind:     hidden_block_count_x
      - .offset:         60
        .size:           4
        .value_kind:     hidden_block_count_y
      - .offset:         64
        .size:           4
        .value_kind:     hidden_block_count_z
      - .offset:         68
        .size:           2
        .value_kind:     hidden_group_size_x
      - .offset:         70
        .size:           2
        .value_kind:     hidden_group_size_y
      - .offset:         72
        .size:           2
        .value_kind:     hidden_group_size_z
      - .offset:         74
        .size:           2
        .value_kind:     hidden_remainder_x
      - .offset:         76
        .size:           2
        .value_kind:     hidden_remainder_y
      - .offset:         78
        .size:           2
        .value_kind:     hidden_remainder_z
      - .offset:         96
        .size:           8
        .value_kind:     hidden_global_offset_x
      - .offset:         104
        .size:           8
        .value_kind:     hidden_global_offset_y
      - .offset:         112
        .size:           8
        .value_kind:     hidden_global_offset_z
      - .offset:         120
        .size:           2
        .value_kind:     hidden_grid_dims
      - .offset:         176
        .size:           4
        .value_kind:     hidden_dynamic_lds_size
    .group_segment_fixed_size: 0
    .kernarg_segment_align: 8
    .kernarg_segment_size: 312
    .language:       OpenCL C
    .language_version:
      - 2
      - 0
    .max_flat_workgroup_size: 1024
    .name:           _ZN5aiter20topk_softplus_kernelI12hip_bfloat166__halfDv2_fLb1ELi0EEEvPKT_PKT0_PfPimiiif
    .private_segment_fixed_size: 0
    .sgpr_count:     25
    .sgpr_spill_count: 0
    .symbol:         _ZN5aiter20topk_softplus_kernelI12hip_bfloat166__halfDv2_fLb1ELi0EEEvPKT_PKT0_PfPimiiif.kd
    .uniform_work_group_size: 1
    .uses_dynamic_stack: false
    .vgpr_count:     15
    .vgpr_spill_count: 0
    .wavefront_size: 32
    .workgroup_processor_mode: 1
  - .args:
      - .actual_access:  read_only
        .address_space:  global
        .offset:         0
        .size:           8
        .value_kind:     global_buffer
      - .actual_access:  read_only
        .address_space:  global
        .offset:         8
        .size:           8
        .value_kind:     global_buffer
      - .actual_access:  write_only
        .address_space:  global
        .offset:         16
        .size:           8
        .value_kind:     global_buffer
      - .actual_access:  write_only
        .address_space:  global
        .offset:         24
        .size:           8
        .value_kind:     global_buffer
      - .offset:         32
        .size:           8
        .value_kind:     by_value
      - .offset:         40
        .size:           4
        .value_kind:     by_value
      - .offset:         44
        .size:           4
        .value_kind:     by_value
      - .offset:         48
        .size:           4
        .value_kind:     by_value
      - .offset:         52
        .size:           4
        .value_kind:     by_value
      - .offset:         56
        .size:           4
        .value_kind:     hidden_block_count_x
      - .offset:         60
        .size:           4
        .value_kind:     hidden_block_count_y
      - .offset:         64
        .size:           4
        .value_kind:     hidden_block_count_z
      - .offset:         68
        .size:           2
        .value_kind:     hidden_group_size_x
      - .offset:         70
        .size:           2
        .value_kind:     hidden_group_size_y
      - .offset:         72
        .size:           2
        .value_kind:     hidden_group_size_z
      - .offset:         74
        .size:           2
        .value_kind:     hidden_remainder_x
      - .offset:         76
        .size:           2
        .value_kind:     hidden_remainder_y
      - .offset:         78
        .size:           2
        .value_kind:     hidden_remainder_z
      - .offset:         96
        .size:           8
        .value_kind:     hidden_global_offset_x
      - .offset:         104
        .size:           8
        .value_kind:     hidden_global_offset_y
      - .offset:         112
        .size:           8
        .value_kind:     hidden_global_offset_z
      - .offset:         120
        .size:           2
        .value_kind:     hidden_grid_dims
      - .offset:         176
        .size:           4
        .value_kind:     hidden_dynamic_lds_size
    .group_segment_fixed_size: 0
    .kernarg_segment_align: 8
    .kernarg_segment_size: 312
    .language:       OpenCL C
    .language_version:
      - 2
      - 0
    .max_flat_workgroup_size: 1024
    .name:           _ZN5aiter20topk_softplus_kernelI12hip_bfloat166__halfDv2_fLb0ELi0EEEvPKT_PKT0_PfPimiiif
    .private_segment_fixed_size: 0
    .sgpr_count:     25
    .sgpr_spill_count: 0
    .symbol:         _ZN5aiter20topk_softplus_kernelI12hip_bfloat166__halfDv2_fLb0ELi0EEEvPKT_PKT0_PfPimiiif.kd
    .uniform_work_group_size: 1
    .uses_dynamic_stack: false
    .vgpr_count:     14
    .vgpr_spill_count: 0
    .wavefront_size: 32
    .workgroup_processor_mode: 1
  - .args:
      - .actual_access:  read_only
        .address_space:  global
        .offset:         0
        .size:           8
        .value_kind:     global_buffer
      - .actual_access:  read_only
        .address_space:  global
        .offset:         8
        .size:           8
        .value_kind:     global_buffer
      - .actual_access:  write_only
        .address_space:  global
        .offset:         16
        .size:           8
        .value_kind:     global_buffer
      - .actual_access:  write_only
        .address_space:  global
        .offset:         24
        .size:           8
        .value_kind:     global_buffer
      - .offset:         32
        .size:           8
        .value_kind:     by_value
      - .offset:         40
        .size:           4
        .value_kind:     by_value
      - .offset:         44
        .size:           4
        .value_kind:     by_value
      - .offset:         48
        .size:           4
        .value_kind:     by_value
      - .offset:         52
        .size:           4
        .value_kind:     by_value
      - .offset:         56
        .size:           4
        .value_kind:     hidden_block_count_x
      - .offset:         60
        .size:           4
        .value_kind:     hidden_block_count_y
      - .offset:         64
        .size:           4
        .value_kind:     hidden_block_count_z
      - .offset:         68
        .size:           2
        .value_kind:     hidden_group_size_x
      - .offset:         70
        .size:           2
        .value_kind:     hidden_group_size_y
      - .offset:         72
        .size:           2
        .value_kind:     hidden_group_size_z
      - .offset:         74
        .size:           2
        .value_kind:     hidden_remainder_x
      - .offset:         76
        .size:           2
        .value_kind:     hidden_remainder_y
      - .offset:         78
        .size:           2
        .value_kind:     hidden_remainder_z
      - .offset:         96
        .size:           8
        .value_kind:     hidden_global_offset_x
      - .offset:         104
        .size:           8
        .value_kind:     hidden_global_offset_y
      - .offset:         112
        .size:           8
        .value_kind:     hidden_global_offset_z
      - .offset:         120
        .size:           2
        .value_kind:     hidden_grid_dims
      - .offset:         176
        .size:           4
        .value_kind:     hidden_dynamic_lds_size
    .group_segment_fixed_size: 0
    .kernarg_segment_align: 8
    .kernarg_segment_size: 312
    .language:       OpenCL C
    .language_version:
      - 2
      - 0
    .max_flat_workgroup_size: 1024
    .name:           _ZN5aiter20topk_softplus_kernelI12hip_bfloat166__halfDv1_fLb1ELi0EEEvPKT_PKT0_PfPimiiif
    .private_segment_fixed_size: 0
    .sgpr_count:     24
    .sgpr_spill_count: 0
    .symbol:         _ZN5aiter20topk_softplus_kernelI12hip_bfloat166__halfDv1_fLb1ELi0EEEvPKT_PKT0_PfPimiiif.kd
    .uniform_work_group_size: 1
    .uses_dynamic_stack: false
    .vgpr_count:     12
    .vgpr_spill_count: 0
    .wavefront_size: 32
    .workgroup_processor_mode: 1
  - .args:
      - .actual_access:  read_only
        .address_space:  global
        .offset:         0
        .size:           8
        .value_kind:     global_buffer
      - .actual_access:  read_only
        .address_space:  global
        .offset:         8
        .size:           8
        .value_kind:     global_buffer
      - .actual_access:  write_only
        .address_space:  global
        .offset:         16
        .size:           8
        .value_kind:     global_buffer
      - .actual_access:  write_only
        .address_space:  global
        .offset:         24
        .size:           8
        .value_kind:     global_buffer
      - .offset:         32
        .size:           8
        .value_kind:     by_value
      - .offset:         40
        .size:           4
        .value_kind:     by_value
      - .offset:         44
        .size:           4
        .value_kind:     by_value
      - .offset:         48
        .size:           4
        .value_kind:     by_value
      - .offset:         52
        .size:           4
        .value_kind:     by_value
      - .offset:         56
        .size:           4
        .value_kind:     hidden_block_count_x
      - .offset:         60
        .size:           4
        .value_kind:     hidden_block_count_y
      - .offset:         64
        .size:           4
        .value_kind:     hidden_block_count_z
      - .offset:         68
        .size:           2
        .value_kind:     hidden_group_size_x
      - .offset:         70
        .size:           2
        .value_kind:     hidden_group_size_y
      - .offset:         72
        .size:           2
        .value_kind:     hidden_group_size_z
      - .offset:         74
        .size:           2
        .value_kind:     hidden_remainder_x
      - .offset:         76
        .size:           2
        .value_kind:     hidden_remainder_y
      - .offset:         78
        .size:           2
        .value_kind:     hidden_remainder_z
      - .offset:         96
        .size:           8
        .value_kind:     hidden_global_offset_x
      - .offset:         104
        .size:           8
        .value_kind:     hidden_global_offset_y
      - .offset:         112
        .size:           8
        .value_kind:     hidden_global_offset_z
      - .offset:         120
        .size:           2
        .value_kind:     hidden_grid_dims
      - .offset:         176
        .size:           4
        .value_kind:     hidden_dynamic_lds_size
    .group_segment_fixed_size: 0
    .kernarg_segment_align: 8
    .kernarg_segment_size: 312
    .language:       OpenCL C
    .language_version:
      - 2
      - 0
    .max_flat_workgroup_size: 1024
    .name:           _ZN5aiter20topk_softplus_kernelI12hip_bfloat166__halfDv1_fLb0ELi0EEEvPKT_PKT0_PfPimiiif
    .private_segment_fixed_size: 0
    .sgpr_count:     24
    .sgpr_spill_count: 0
    .symbol:         _ZN5aiter20topk_softplus_kernelI12hip_bfloat166__halfDv1_fLb0ELi0EEEvPKT_PKT0_PfPimiiif.kd
    .uniform_work_group_size: 1
    .uses_dynamic_stack: false
    .vgpr_count:     12
    .vgpr_spill_count: 0
    .wavefront_size: 32
    .workgroup_processor_mode: 1
  - .args:
      - .actual_access:  read_only
        .address_space:  global
        .offset:         0
        .size:           8
        .value_kind:     global_buffer
      - .actual_access:  read_only
        .address_space:  global
        .offset:         8
        .size:           8
        .value_kind:     global_buffer
      - .actual_access:  write_only
        .address_space:  global
        .offset:         16
        .size:           8
        .value_kind:     global_buffer
      - .actual_access:  write_only
        .address_space:  global
        .offset:         24
        .size:           8
        .value_kind:     global_buffer
      - .offset:         32
        .size:           8
        .value_kind:     by_value
      - .offset:         40
        .size:           4
        .value_kind:     by_value
      - .offset:         44
        .size:           4
        .value_kind:     by_value
      - .offset:         48
        .size:           4
        .value_kind:     by_value
    .group_segment_fixed_size: 0
    .kernarg_segment_align: 8
    .kernarg_segment_size: 52
    .language:       OpenCL C
    .language_version:
      - 2
      - 0
    .max_flat_workgroup_size: 1024
    .name:           _ZN5aiter24topk_softplus_kernel_optI12hip_bfloat16S1_Li64ELb1ELi1EEEvPKT_PKT0_PfPimiif
    .private_segment_fixed_size: 0
    .sgpr_count:     18
    .sgpr_spill_count: 0
    .symbol:         _ZN5aiter24topk_softplus_kernel_optI12hip_bfloat16S1_Li64ELb1ELi1EEEvPKT_PKT0_PfPimiif.kd
    .uniform_work_group_size: 1
    .uses_dynamic_stack: false
    .vgpr_count:     17
    .vgpr_spill_count: 0
    .wavefront_size: 32
    .workgroup_processor_mode: 1
  - .args:
      - .actual_access:  read_only
        .address_space:  global
        .offset:         0
        .size:           8
        .value_kind:     global_buffer
      - .actual_access:  read_only
        .address_space:  global
        .offset:         8
        .size:           8
        .value_kind:     global_buffer
      - .actual_access:  write_only
        .address_space:  global
        .offset:         16
        .size:           8
        .value_kind:     global_buffer
      - .actual_access:  write_only
        .address_space:  global
        .offset:         24
        .size:           8
        .value_kind:     global_buffer
      - .offset:         32
        .size:           8
        .value_kind:     by_value
      - .offset:         40
        .size:           4
        .value_kind:     by_value
      - .offset:         44
        .size:           4
        .value_kind:     by_value
      - .offset:         48
        .size:           4
        .value_kind:     by_value
    .group_segment_fixed_size: 0
    .kernarg_segment_align: 8
    .kernarg_segment_size: 52
    .language:       OpenCL C
    .language_version:
      - 2
      - 0
    .max_flat_workgroup_size: 1024
    .name:           _ZN5aiter24topk_softplus_kernel_optI12hip_bfloat16S1_Li64ELb0ELi1EEEvPKT_PKT0_PfPimiif
    .private_segment_fixed_size: 0
    .sgpr_count:     18
    .sgpr_spill_count: 0
    .symbol:         _ZN5aiter24topk_softplus_kernel_optI12hip_bfloat16S1_Li64ELb0ELi1EEEvPKT_PKT0_PfPimiif.kd
    .uniform_work_group_size: 1
    .uses_dynamic_stack: false
    .vgpr_count:     14
    .vgpr_spill_count: 0
    .wavefront_size: 32
    .workgroup_processor_mode: 1
  - .args:
      - .actual_access:  read_only
        .address_space:  global
        .offset:         0
        .size:           8
        .value_kind:     global_buffer
      - .actual_access:  read_only
        .address_space:  global
        .offset:         8
        .size:           8
        .value_kind:     global_buffer
      - .actual_access:  write_only
        .address_space:  global
        .offset:         16
        .size:           8
        .value_kind:     global_buffer
      - .actual_access:  write_only
        .address_space:  global
        .offset:         24
        .size:           8
        .value_kind:     global_buffer
      - .offset:         32
        .size:           8
        .value_kind:     by_value
      - .offset:         40
        .size:           4
        .value_kind:     by_value
      - .offset:         44
        .size:           4
        .value_kind:     by_value
      - .offset:         48
        .size:           4
        .value_kind:     by_value
    .group_segment_fixed_size: 0
    .kernarg_segment_align: 8
    .kernarg_segment_size: 52
    .language:       OpenCL C
    .language_version:
      - 2
      - 0
    .max_flat_workgroup_size: 1024
    .name:           _ZN5aiter24topk_softplus_kernel_optI12hip_bfloat16S1_Li128ELb1ELi1EEEvPKT_PKT0_PfPimiif
    .private_segment_fixed_size: 0
    .sgpr_count:     18
    .sgpr_spill_count: 0
    .symbol:         _ZN5aiter24topk_softplus_kernel_optI12hip_bfloat16S1_Li128ELb1ELi1EEEvPKT_PKT0_PfPimiif.kd
    .uniform_work_group_size: 1
    .uses_dynamic_stack: false
    .vgpr_count:     24
    .vgpr_spill_count: 0
    .wavefront_size: 32
    .workgroup_processor_mode: 1
  - .args:
      - .actual_access:  read_only
        .address_space:  global
        .offset:         0
        .size:           8
        .value_kind:     global_buffer
      - .actual_access:  read_only
        .address_space:  global
        .offset:         8
        .size:           8
        .value_kind:     global_buffer
      - .actual_access:  write_only
        .address_space:  global
        .offset:         16
        .size:           8
        .value_kind:     global_buffer
      - .actual_access:  write_only
        .address_space:  global
        .offset:         24
        .size:           8
        .value_kind:     global_buffer
      - .offset:         32
        .size:           8
        .value_kind:     by_value
      - .offset:         40
        .size:           4
        .value_kind:     by_value
      - .offset:         44
        .size:           4
        .value_kind:     by_value
      - .offset:         48
        .size:           4
        .value_kind:     by_value
    .group_segment_fixed_size: 0
    .kernarg_segment_align: 8
    .kernarg_segment_size: 52
    .language:       OpenCL C
    .language_version:
      - 2
      - 0
    .max_flat_workgroup_size: 1024
    .name:           _ZN5aiter24topk_softplus_kernel_optI12hip_bfloat16S1_Li128ELb0ELi1EEEvPKT_PKT0_PfPimiif
    .private_segment_fixed_size: 0
    .sgpr_count:     18
    .sgpr_spill_count: 0
    .symbol:         _ZN5aiter24topk_softplus_kernel_optI12hip_bfloat16S1_Li128ELb0ELi1EEEvPKT_PKT0_PfPimiif.kd
    .uniform_work_group_size: 1
    .uses_dynamic_stack: false
    .vgpr_count:     22
    .vgpr_spill_count: 0
    .wavefront_size: 32
    .workgroup_processor_mode: 1
  - .args:
      - .actual_access:  read_only
        .address_space:  global
        .offset:         0
        .size:           8
        .value_kind:     global_buffer
      - .actual_access:  read_only
        .address_space:  global
        .offset:         8
        .size:           8
        .value_kind:     global_buffer
      - .actual_access:  write_only
        .address_space:  global
        .offset:         16
        .size:           8
        .value_kind:     global_buffer
      - .actual_access:  write_only
        .address_space:  global
        .offset:         24
        .size:           8
        .value_kind:     global_buffer
      - .offset:         32
        .size:           8
        .value_kind:     by_value
      - .offset:         40
        .size:           4
        .value_kind:     by_value
      - .offset:         44
        .size:           4
        .value_kind:     by_value
      - .offset:         48
        .size:           4
        .value_kind:     by_value
    .group_segment_fixed_size: 0
    .kernarg_segment_align: 8
    .kernarg_segment_size: 52
    .language:       OpenCL C
    .language_version:
      - 2
      - 0
    .max_flat_workgroup_size: 1024
    .name:           _ZN5aiter24topk_softplus_kernel_optI12hip_bfloat16S1_Li256ELb1ELi1EEEvPKT_PKT0_PfPimiif
    .private_segment_fixed_size: 0
    .sgpr_count:     18
    .sgpr_spill_count: 0
    .symbol:         _ZN5aiter24topk_softplus_kernel_optI12hip_bfloat16S1_Li256ELb1ELi1EEEvPKT_PKT0_PfPimiif.kd
    .uniform_work_group_size: 1
    .uses_dynamic_stack: false
    .vgpr_count:     103
    .vgpr_spill_count: 0
    .wavefront_size: 32
    .workgroup_processor_mode: 1
  - .args:
      - .actual_access:  read_only
        .address_space:  global
        .offset:         0
        .size:           8
        .value_kind:     global_buffer
      - .actual_access:  read_only
        .address_space:  global
        .offset:         8
        .size:           8
        .value_kind:     global_buffer
      - .actual_access:  write_only
        .address_space:  global
        .offset:         16
        .size:           8
        .value_kind:     global_buffer
      - .actual_access:  write_only
        .address_space:  global
        .offset:         24
        .size:           8
        .value_kind:     global_buffer
      - .offset:         32
        .size:           8
        .value_kind:     by_value
      - .offset:         40
        .size:           4
        .value_kind:     by_value
      - .offset:         44
        .size:           4
        .value_kind:     by_value
      - .offset:         48
        .size:           4
        .value_kind:     by_value
    .group_segment_fixed_size: 0
    .kernarg_segment_align: 8
    .kernarg_segment_size: 52
    .language:       OpenCL C
    .language_version:
      - 2
      - 0
    .max_flat_workgroup_size: 1024
    .name:           _ZN5aiter24topk_softplus_kernel_optI12hip_bfloat16S1_Li256ELb0ELi1EEEvPKT_PKT0_PfPimiif
    .private_segment_fixed_size: 0
    .sgpr_count:     18
    .sgpr_spill_count: 0
    .symbol:         _ZN5aiter24topk_softplus_kernel_optI12hip_bfloat16S1_Li256ELb0ELi1EEEvPKT_PKT0_PfPimiif.kd
    .uniform_work_group_size: 1
    .uses_dynamic_stack: false
    .vgpr_count:     103
    .vgpr_spill_count: 0
    .wavefront_size: 32
    .workgroup_processor_mode: 1
  - .args:
      - .actual_access:  read_only
        .address_space:  global
        .offset:         0
        .size:           8
        .value_kind:     global_buffer
      - .actual_access:  read_only
        .address_space:  global
        .offset:         8
        .size:           8
        .value_kind:     global_buffer
      - .actual_access:  write_only
        .address_space:  global
        .offset:         16
        .size:           8
        .value_kind:     global_buffer
      - .actual_access:  write_only
        .address_space:  global
        .offset:         24
        .size:           8
        .value_kind:     global_buffer
      - .offset:         32
        .size:           8
        .value_kind:     by_value
      - .offset:         40
        .size:           4
        .value_kind:     by_value
      - .offset:         44
        .size:           4
        .value_kind:     by_value
      - .offset:         48
        .size:           4
        .value_kind:     by_value
    .group_segment_fixed_size: 0
    .kernarg_segment_align: 8
    .kernarg_segment_size: 52
    .language:       OpenCL C
    .language_version:
      - 2
      - 0
    .max_flat_workgroup_size: 1024
    .name:           _ZN5aiter24topk_softplus_kernel_optI12hip_bfloat16S1_Li384ELb1ELi1EEEvPKT_PKT0_PfPimiif
    .private_segment_fixed_size: 196
    .sgpr_count:     18
    .sgpr_spill_count: 0
    .symbol:         _ZN5aiter24topk_softplus_kernel_optI12hip_bfloat16S1_Li384ELb1ELi1EEEvPKT_PKT0_PfPimiif.kd
    .uniform_work_group_size: 1
    .uses_dynamic_stack: false
    .vgpr_count:     183
    .vgpr_spill_count: 300
    .wavefront_size: 32
    .workgroup_processor_mode: 1
  - .args:
      - .actual_access:  read_only
        .address_space:  global
        .offset:         0
        .size:           8
        .value_kind:     global_buffer
      - .actual_access:  read_only
        .address_space:  global
        .offset:         8
        .size:           8
        .value_kind:     global_buffer
      - .actual_access:  write_only
        .address_space:  global
        .offset:         16
        .size:           8
        .value_kind:     global_buffer
      - .actual_access:  write_only
        .address_space:  global
        .offset:         24
        .size:           8
        .value_kind:     global_buffer
      - .offset:         32
        .size:           8
        .value_kind:     by_value
      - .offset:         40
        .size:           4
        .value_kind:     by_value
      - .offset:         44
        .size:           4
        .value_kind:     by_value
      - .offset:         48
        .size:           4
        .value_kind:     by_value
    .group_segment_fixed_size: 0
    .kernarg_segment_align: 8
    .kernarg_segment_size: 52
    .language:       OpenCL C
    .language_version:
      - 2
      - 0
    .max_flat_workgroup_size: 1024
    .name:           _ZN5aiter24topk_softplus_kernel_optI12hip_bfloat16S1_Li384ELb0ELi1EEEvPKT_PKT0_PfPimiif
    .private_segment_fixed_size: 196
    .sgpr_count:     18
    .sgpr_spill_count: 0
    .symbol:         _ZN5aiter24topk_softplus_kernel_optI12hip_bfloat16S1_Li384ELb0ELi1EEEvPKT_PKT0_PfPimiif.kd
    .uniform_work_group_size: 1
    .uses_dynamic_stack: false
    .vgpr_count:     183
    .vgpr_spill_count: 300
    .wavefront_size: 32
    .workgroup_processor_mode: 1
  - .args:
      - .actual_access:  read_only
        .address_space:  global
        .offset:         0
        .size:           8
        .value_kind:     global_buffer
      - .actual_access:  read_only
        .address_space:  global
        .offset:         8
        .size:           8
        .value_kind:     global_buffer
      - .actual_access:  write_only
        .address_space:  global
        .offset:         16
        .size:           8
        .value_kind:     global_buffer
      - .actual_access:  write_only
        .address_space:  global
        .offset:         24
        .size:           8
        .value_kind:     global_buffer
      - .offset:         32
        .size:           8
        .value_kind:     by_value
      - .offset:         40
        .size:           4
        .value_kind:     by_value
      - .offset:         44
        .size:           4
        .value_kind:     by_value
      - .offset:         48
        .size:           4
        .value_kind:     by_value
      - .offset:         52
        .size:           4
        .value_kind:     by_value
      - .offset:         56
        .size:           4
        .value_kind:     hidden_block_count_x
      - .offset:         60
        .size:           4
        .value_kind:     hidden_block_count_y
      - .offset:         64
        .size:           4
        .value_kind:     hidden_block_count_z
      - .offset:         68
        .size:           2
        .value_kind:     hidden_group_size_x
      - .offset:         70
        .size:           2
        .value_kind:     hidden_group_size_y
      - .offset:         72
        .size:           2
        .value_kind:     hidden_group_size_z
      - .offset:         74
        .size:           2
        .value_kind:     hidden_remainder_x
      - .offset:         76
        .size:           2
        .value_kind:     hidden_remainder_y
      - .offset:         78
        .size:           2
        .value_kind:     hidden_remainder_z
      - .offset:         96
        .size:           8
        .value_kind:     hidden_global_offset_x
      - .offset:         104
        .size:           8
        .value_kind:     hidden_global_offset_y
      - .offset:         112
        .size:           8
        .value_kind:     hidden_global_offset_z
      - .offset:         120
        .size:           2
        .value_kind:     hidden_grid_dims
      - .offset:         176
        .size:           4
        .value_kind:     hidden_dynamic_lds_size
    .group_segment_fixed_size: 0
    .kernarg_segment_align: 8
    .kernarg_segment_size: 312
    .language:       OpenCL C
    .language_version:
      - 2
      - 0
    .max_flat_workgroup_size: 1024
    .name:           _ZN5aiter20topk_softplus_kernelI12hip_bfloat16S1_Dv4_fLb1ELi1EEEvPKT_PKT0_PfPimiiif
    .private_segment_fixed_size: 0
    .sgpr_count:     33
    .sgpr_spill_count: 0
    .symbol:         _ZN5aiter20topk_softplus_kernelI12hip_bfloat16S1_Dv4_fLb1ELi1EEEvPKT_PKT0_PfPimiiif.kd
    .uniform_work_group_size: 1
    .uses_dynamic_stack: false
    .vgpr_count:     17
    .vgpr_spill_count: 0
    .wavefront_size: 32
    .workgroup_processor_mode: 1
  - .args:
      - .actual_access:  read_only
        .address_space:  global
        .offset:         0
        .size:           8
        .value_kind:     global_buffer
      - .actual_access:  read_only
        .address_space:  global
        .offset:         8
        .size:           8
        .value_kind:     global_buffer
      - .actual_access:  write_only
        .address_space:  global
        .offset:         16
        .size:           8
        .value_kind:     global_buffer
      - .actual_access:  write_only
        .address_space:  global
        .offset:         24
        .size:           8
        .value_kind:     global_buffer
      - .offset:         32
        .size:           8
        .value_kind:     by_value
      - .offset:         40
        .size:           4
        .value_kind:     by_value
      - .offset:         44
        .size:           4
        .value_kind:     by_value
      - .offset:         48
        .size:           4
        .value_kind:     by_value
      - .offset:         52
        .size:           4
        .value_kind:     by_value
      - .offset:         56
        .size:           4
        .value_kind:     hidden_block_count_x
      - .offset:         60
        .size:           4
        .value_kind:     hidden_block_count_y
      - .offset:         64
        .size:           4
        .value_kind:     hidden_block_count_z
      - .offset:         68
        .size:           2
        .value_kind:     hidden_group_size_x
      - .offset:         70
        .size:           2
        .value_kind:     hidden_group_size_y
      - .offset:         72
        .size:           2
        .value_kind:     hidden_group_size_z
      - .offset:         74
        .size:           2
        .value_kind:     hidden_remainder_x
      - .offset:         76
        .size:           2
        .value_kind:     hidden_remainder_y
      - .offset:         78
        .size:           2
        .value_kind:     hidden_remainder_z
      - .offset:         96
        .size:           8
        .value_kind:     hidden_global_offset_x
      - .offset:         104
        .size:           8
        .value_kind:     hidden_global_offset_y
      - .offset:         112
        .size:           8
        .value_kind:     hidden_global_offset_z
      - .offset:         120
        .size:           2
        .value_kind:     hidden_grid_dims
      - .offset:         176
        .size:           4
        .value_kind:     hidden_dynamic_lds_size
    .group_segment_fixed_size: 0
    .kernarg_segment_align: 8
    .kernarg_segment_size: 312
    .language:       OpenCL C
    .language_version:
      - 2
      - 0
    .max_flat_workgroup_size: 1024
    .name:           _ZN5aiter20topk_softplus_kernelI12hip_bfloat16S1_Dv4_fLb0ELi1EEEvPKT_PKT0_PfPimiiif
    .private_segment_fixed_size: 0
    .sgpr_count:     33
    .sgpr_spill_count: 0
    .symbol:         _ZN5aiter20topk_softplus_kernelI12hip_bfloat16S1_Dv4_fLb0ELi1EEEvPKT_PKT0_PfPimiiif.kd
    .uniform_work_group_size: 1
    .uses_dynamic_stack: false
    .vgpr_count:     17
    .vgpr_spill_count: 0
    .wavefront_size: 32
    .workgroup_processor_mode: 1
  - .args:
      - .actual_access:  read_only
        .address_space:  global
        .offset:         0
        .size:           8
        .value_kind:     global_buffer
      - .actual_access:  read_only
        .address_space:  global
        .offset:         8
        .size:           8
        .value_kind:     global_buffer
      - .actual_access:  write_only
        .address_space:  global
        .offset:         16
        .size:           8
        .value_kind:     global_buffer
      - .actual_access:  write_only
        .address_space:  global
        .offset:         24
        .size:           8
        .value_kind:     global_buffer
      - .offset:         32
        .size:           8
        .value_kind:     by_value
      - .offset:         40
        .size:           4
        .value_kind:     by_value
      - .offset:         44
        .size:           4
        .value_kind:     by_value
      - .offset:         48
        .size:           4
        .value_kind:     by_value
      - .offset:         52
        .size:           4
        .value_kind:     by_value
      - .offset:         56
        .size:           4
        .value_kind:     hidden_block_count_x
      - .offset:         60
        .size:           4
        .value_kind:     hidden_block_count_y
      - .offset:         64
        .size:           4
        .value_kind:     hidden_block_count_z
      - .offset:         68
        .size:           2
        .value_kind:     hidden_group_size_x
      - .offset:         70
        .size:           2
        .value_kind:     hidden_group_size_y
      - .offset:         72
        .size:           2
        .value_kind:     hidden_group_size_z
      - .offset:         74
        .size:           2
        .value_kind:     hidden_remainder_x
      - .offset:         76
        .size:           2
        .value_kind:     hidden_remainder_y
      - .offset:         78
        .size:           2
        .value_kind:     hidden_remainder_z
      - .offset:         96
        .size:           8
        .value_kind:     hidden_global_offset_x
      - .offset:         104
        .size:           8
        .value_kind:     hidden_global_offset_y
      - .offset:         112
        .size:           8
        .value_kind:     hidden_global_offset_z
      - .offset:         120
        .size:           2
        .value_kind:     hidden_grid_dims
      - .offset:         176
        .size:           4
        .value_kind:     hidden_dynamic_lds_size
    .group_segment_fixed_size: 0
    .kernarg_segment_align: 8
    .kernarg_segment_size: 312
    .language:       OpenCL C
    .language_version:
      - 2
      - 0
    .max_flat_workgroup_size: 1024
    .name:           _ZN5aiter20topk_softplus_kernelI12hip_bfloat16S1_Dv2_fLb1ELi1EEEvPKT_PKT0_PfPimiiif
    .private_segment_fixed_size: 0
    .sgpr_count:     25
    .sgpr_spill_count: 0
    .symbol:         _ZN5aiter20topk_softplus_kernelI12hip_bfloat16S1_Dv2_fLb1ELi1EEEvPKT_PKT0_PfPimiiif.kd
    .uniform_work_group_size: 1
    .uses_dynamic_stack: false
    .vgpr_count:     15
    .vgpr_spill_count: 0
    .wavefront_size: 32
    .workgroup_processor_mode: 1
  - .args:
      - .actual_access:  read_only
        .address_space:  global
        .offset:         0
        .size:           8
        .value_kind:     global_buffer
      - .actual_access:  read_only
        .address_space:  global
        .offset:         8
        .size:           8
        .value_kind:     global_buffer
      - .actual_access:  write_only
        .address_space:  global
        .offset:         16
        .size:           8
        .value_kind:     global_buffer
      - .actual_access:  write_only
        .address_space:  global
        .offset:         24
        .size:           8
        .value_kind:     global_buffer
      - .offset:         32
        .size:           8
        .value_kind:     by_value
      - .offset:         40
        .size:           4
        .value_kind:     by_value
      - .offset:         44
        .size:           4
        .value_kind:     by_value
      - .offset:         48
        .size:           4
        .value_kind:     by_value
      - .offset:         52
        .size:           4
        .value_kind:     by_value
      - .offset:         56
        .size:           4
        .value_kind:     hidden_block_count_x
      - .offset:         60
        .size:           4
        .value_kind:     hidden_block_count_y
      - .offset:         64
        .size:           4
        .value_kind:     hidden_block_count_z
      - .offset:         68
        .size:           2
        .value_kind:     hidden_group_size_x
      - .offset:         70
        .size:           2
        .value_kind:     hidden_group_size_y
      - .offset:         72
        .size:           2
        .value_kind:     hidden_group_size_z
      - .offset:         74
        .size:           2
        .value_kind:     hidden_remainder_x
      - .offset:         76
        .size:           2
        .value_kind:     hidden_remainder_y
      - .offset:         78
        .size:           2
        .value_kind:     hidden_remainder_z
      - .offset:         96
        .size:           8
        .value_kind:     hidden_global_offset_x
      - .offset:         104
        .size:           8
        .value_kind:     hidden_global_offset_y
      - .offset:         112
        .size:           8
        .value_kind:     hidden_global_offset_z
      - .offset:         120
        .size:           2
        .value_kind:     hidden_grid_dims
      - .offset:         176
        .size:           4
        .value_kind:     hidden_dynamic_lds_size
    .group_segment_fixed_size: 0
    .kernarg_segment_align: 8
    .kernarg_segment_size: 312
    .language:       OpenCL C
    .language_version:
      - 2
      - 0
    .max_flat_workgroup_size: 1024
    .name:           _ZN5aiter20topk_softplus_kernelI12hip_bfloat16S1_Dv2_fLb0ELi1EEEvPKT_PKT0_PfPimiiif
    .private_segment_fixed_size: 0
    .sgpr_count:     25
    .sgpr_spill_count: 0
    .symbol:         _ZN5aiter20topk_softplus_kernelI12hip_bfloat16S1_Dv2_fLb0ELi1EEEvPKT_PKT0_PfPimiiif.kd
    .uniform_work_group_size: 1
    .uses_dynamic_stack: false
    .vgpr_count:     14
    .vgpr_spill_count: 0
    .wavefront_size: 32
    .workgroup_processor_mode: 1
  - .args:
      - .actual_access:  read_only
        .address_space:  global
        .offset:         0
        .size:           8
        .value_kind:     global_buffer
      - .actual_access:  read_only
        .address_space:  global
        .offset:         8
        .size:           8
        .value_kind:     global_buffer
      - .actual_access:  write_only
        .address_space:  global
        .offset:         16
        .size:           8
        .value_kind:     global_buffer
      - .actual_access:  write_only
        .address_space:  global
        .offset:         24
        .size:           8
        .value_kind:     global_buffer
      - .offset:         32
        .size:           8
        .value_kind:     by_value
      - .offset:         40
        .size:           4
        .value_kind:     by_value
      - .offset:         44
        .size:           4
        .value_kind:     by_value
      - .offset:         48
        .size:           4
        .value_kind:     by_value
      - .offset:         52
        .size:           4
        .value_kind:     by_value
      - .offset:         56
        .size:           4
        .value_kind:     hidden_block_count_x
      - .offset:         60
        .size:           4
        .value_kind:     hidden_block_count_y
      - .offset:         64
        .size:           4
        .value_kind:     hidden_block_count_z
      - .offset:         68
        .size:           2
        .value_kind:     hidden_group_size_x
      - .offset:         70
        .size:           2
        .value_kind:     hidden_group_size_y
      - .offset:         72
        .size:           2
        .value_kind:     hidden_group_size_z
      - .offset:         74
        .size:           2
        .value_kind:     hidden_remainder_x
      - .offset:         76
        .size:           2
        .value_kind:     hidden_remainder_y
      - .offset:         78
        .size:           2
        .value_kind:     hidden_remainder_z
      - .offset:         96
        .size:           8
        .value_kind:     hidden_global_offset_x
      - .offset:         104
        .size:           8
        .value_kind:     hidden_global_offset_y
      - .offset:         112
        .size:           8
        .value_kind:     hidden_global_offset_z
      - .offset:         120
        .size:           2
        .value_kind:     hidden_grid_dims
      - .offset:         176
        .size:           4
        .value_kind:     hidden_dynamic_lds_size
    .group_segment_fixed_size: 0
    .kernarg_segment_align: 8
    .kernarg_segment_size: 312
    .language:       OpenCL C
    .language_version:
      - 2
      - 0
    .max_flat_workgroup_size: 1024
    .name:           _ZN5aiter20topk_softplus_kernelI12hip_bfloat16S1_Dv1_fLb1ELi1EEEvPKT_PKT0_PfPimiiif
    .private_segment_fixed_size: 0
    .sgpr_count:     24
    .sgpr_spill_count: 0
    .symbol:         _ZN5aiter20topk_softplus_kernelI12hip_bfloat16S1_Dv1_fLb1ELi1EEEvPKT_PKT0_PfPimiiif.kd
    .uniform_work_group_size: 1
    .uses_dynamic_stack: false
    .vgpr_count:     12
    .vgpr_spill_count: 0
    .wavefront_size: 32
    .workgroup_processor_mode: 1
  - .args:
      - .actual_access:  read_only
        .address_space:  global
        .offset:         0
        .size:           8
        .value_kind:     global_buffer
      - .actual_access:  read_only
        .address_space:  global
        .offset:         8
        .size:           8
        .value_kind:     global_buffer
      - .actual_access:  write_only
        .address_space:  global
        .offset:         16
        .size:           8
        .value_kind:     global_buffer
      - .actual_access:  write_only
        .address_space:  global
        .offset:         24
        .size:           8
        .value_kind:     global_buffer
      - .offset:         32
        .size:           8
        .value_kind:     by_value
      - .offset:         40
        .size:           4
        .value_kind:     by_value
      - .offset:         44
        .size:           4
        .value_kind:     by_value
      - .offset:         48
        .size:           4
        .value_kind:     by_value
      - .offset:         52
        .size:           4
        .value_kind:     by_value
      - .offset:         56
        .size:           4
        .value_kind:     hidden_block_count_x
      - .offset:         60
        .size:           4
        .value_kind:     hidden_block_count_y
      - .offset:         64
        .size:           4
        .value_kind:     hidden_block_count_z
      - .offset:         68
        .size:           2
        .value_kind:     hidden_group_size_x
      - .offset:         70
        .size:           2
        .value_kind:     hidden_group_size_y
      - .offset:         72
        .size:           2
        .value_kind:     hidden_group_size_z
      - .offset:         74
        .size:           2
        .value_kind:     hidden_remainder_x
      - .offset:         76
        .size:           2
        .value_kind:     hidden_remainder_y
      - .offset:         78
        .size:           2
        .value_kind:     hidden_remainder_z
      - .offset:         96
        .size:           8
        .value_kind:     hidden_global_offset_x
      - .offset:         104
        .size:           8
        .value_kind:     hidden_global_offset_y
      - .offset:         112
        .size:           8
        .value_kind:     hidden_global_offset_z
      - .offset:         120
        .size:           2
        .value_kind:     hidden_grid_dims
      - .offset:         176
        .size:           4
        .value_kind:     hidden_dynamic_lds_size
    .group_segment_fixed_size: 0
    .kernarg_segment_align: 8
    .kernarg_segment_size: 312
    .language:       OpenCL C
    .language_version:
      - 2
      - 0
    .max_flat_workgroup_size: 1024
    .name:           _ZN5aiter20topk_softplus_kernelI12hip_bfloat16S1_Dv1_fLb0ELi1EEEvPKT_PKT0_PfPimiiif
    .private_segment_fixed_size: 0
    .sgpr_count:     24
    .sgpr_spill_count: 0
    .symbol:         _ZN5aiter20topk_softplus_kernelI12hip_bfloat16S1_Dv1_fLb0ELi1EEEvPKT_PKT0_PfPimiiif.kd
    .uniform_work_group_size: 1
    .uses_dynamic_stack: false
    .vgpr_count:     11
    .vgpr_spill_count: 0
    .wavefront_size: 32
    .workgroup_processor_mode: 1
  - .args:
      - .actual_access:  read_only
        .address_space:  global
        .offset:         0
        .size:           8
        .value_kind:     global_buffer
      - .actual_access:  read_only
        .address_space:  global
        .offset:         8
        .size:           8
        .value_kind:     global_buffer
      - .actual_access:  write_only
        .address_space:  global
        .offset:         16
        .size:           8
        .value_kind:     global_buffer
      - .actual_access:  write_only
        .address_space:  global
        .offset:         24
        .size:           8
        .value_kind:     global_buffer
      - .offset:         32
        .size:           8
        .value_kind:     by_value
      - .offset:         40
        .size:           4
        .value_kind:     by_value
      - .offset:         44
        .size:           4
        .value_kind:     by_value
      - .offset:         48
        .size:           4
        .value_kind:     by_value
      - .offset:         52
        .size:           4
        .value_kind:     by_value
      - .offset:         56
        .size:           4
        .value_kind:     hidden_block_count_x
      - .offset:         60
        .size:           4
        .value_kind:     hidden_block_count_y
      - .offset:         64
        .size:           4
        .value_kind:     hidden_block_count_z
      - .offset:         68
        .size:           2
        .value_kind:     hidden_group_size_x
      - .offset:         70
        .size:           2
        .value_kind:     hidden_group_size_y
      - .offset:         72
        .size:           2
        .value_kind:     hidden_group_size_z
      - .offset:         74
        .size:           2
        .value_kind:     hidden_remainder_x
      - .offset:         76
        .size:           2
        .value_kind:     hidden_remainder_y
      - .offset:         78
        .size:           2
        .value_kind:     hidden_remainder_z
      - .offset:         96
        .size:           8
        .value_kind:     hidden_global_offset_x
      - .offset:         104
        .size:           8
        .value_kind:     hidden_global_offset_y
      - .offset:         112
        .size:           8
        .value_kind:     hidden_global_offset_z
      - .offset:         120
        .size:           2
        .value_kind:     hidden_grid_dims
      - .offset:         176
        .size:           4
        .value_kind:     hidden_dynamic_lds_size
    .group_segment_fixed_size: 0
    .kernarg_segment_align: 8
    .kernarg_segment_size: 312
    .language:       OpenCL C
    .language_version:
      - 2
      - 0
    .max_flat_workgroup_size: 1024
    .name:           _ZN5aiter20topk_softplus_kernelI12hip_bfloat16S1_Dv4_fLb1ELi2EEEvPKT_PKT0_PfPimiiif
    .private_segment_fixed_size: 0
    .sgpr_count:     25
    .sgpr_spill_count: 0
    .symbol:         _ZN5aiter20topk_softplus_kernelI12hip_bfloat16S1_Dv4_fLb1ELi2EEEvPKT_PKT0_PfPimiiif.kd
    .uniform_work_group_size: 1
    .uses_dynamic_stack: false
    .vgpr_count:     17
    .vgpr_spill_count: 0
    .wavefront_size: 32
    .workgroup_processor_mode: 1
  - .args:
      - .actual_access:  read_only
        .address_space:  global
        .offset:         0
        .size:           8
        .value_kind:     global_buffer
      - .actual_access:  read_only
        .address_space:  global
        .offset:         8
        .size:           8
        .value_kind:     global_buffer
      - .actual_access:  write_only
        .address_space:  global
        .offset:         16
        .size:           8
        .value_kind:     global_buffer
      - .actual_access:  write_only
        .address_space:  global
        .offset:         24
        .size:           8
        .value_kind:     global_buffer
      - .offset:         32
        .size:           8
        .value_kind:     by_value
      - .offset:         40
        .size:           4
        .value_kind:     by_value
      - .offset:         44
        .size:           4
        .value_kind:     by_value
      - .offset:         48
        .size:           4
        .value_kind:     by_value
      - .offset:         52
        .size:           4
        .value_kind:     by_value
      - .offset:         56
        .size:           4
        .value_kind:     hidden_block_count_x
      - .offset:         60
        .size:           4
        .value_kind:     hidden_block_count_y
      - .offset:         64
        .size:           4
        .value_kind:     hidden_block_count_z
      - .offset:         68
        .size:           2
        .value_kind:     hidden_group_size_x
      - .offset:         70
        .size:           2
        .value_kind:     hidden_group_size_y
      - .offset:         72
        .size:           2
        .value_kind:     hidden_group_size_z
      - .offset:         74
        .size:           2
        .value_kind:     hidden_remainder_x
      - .offset:         76
        .size:           2
        .value_kind:     hidden_remainder_y
      - .offset:         78
        .size:           2
        .value_kind:     hidden_remainder_z
      - .offset:         96
        .size:           8
        .value_kind:     hidden_global_offset_x
      - .offset:         104
        .size:           8
        .value_kind:     hidden_global_offset_y
      - .offset:         112
        .size:           8
        .value_kind:     hidden_global_offset_z
      - .offset:         120
        .size:           2
        .value_kind:     hidden_grid_dims
      - .offset:         176
        .size:           4
        .value_kind:     hidden_dynamic_lds_size
    .group_segment_fixed_size: 0
    .kernarg_segment_align: 8
    .kernarg_segment_size: 312
    .language:       OpenCL C
    .language_version:
      - 2
      - 0
    .max_flat_workgroup_size: 1024
    .name:           _ZN5aiter20topk_softplus_kernelI12hip_bfloat16S1_Dv4_fLb0ELi2EEEvPKT_PKT0_PfPimiiif
    .private_segment_fixed_size: 0
    .sgpr_count:     25
    .sgpr_spill_count: 0
    .symbol:         _ZN5aiter20topk_softplus_kernelI12hip_bfloat16S1_Dv4_fLb0ELi2EEEvPKT_PKT0_PfPimiiif.kd
    .uniform_work_group_size: 1
    .uses_dynamic_stack: false
    .vgpr_count:     16
    .vgpr_spill_count: 0
    .wavefront_size: 32
    .workgroup_processor_mode: 1
  - .args:
      - .actual_access:  read_only
        .address_space:  global
        .offset:         0
        .size:           8
        .value_kind:     global_buffer
      - .actual_access:  read_only
        .address_space:  global
        .offset:         8
        .size:           8
        .value_kind:     global_buffer
      - .actual_access:  write_only
        .address_space:  global
        .offset:         16
        .size:           8
        .value_kind:     global_buffer
      - .actual_access:  write_only
        .address_space:  global
        .offset:         24
        .size:           8
        .value_kind:     global_buffer
      - .offset:         32
        .size:           8
        .value_kind:     by_value
      - .offset:         40
        .size:           4
        .value_kind:     by_value
      - .offset:         44
        .size:           4
        .value_kind:     by_value
      - .offset:         48
        .size:           4
        .value_kind:     by_value
      - .offset:         52
        .size:           4
        .value_kind:     by_value
      - .offset:         56
        .size:           4
        .value_kind:     hidden_block_count_x
      - .offset:         60
        .size:           4
        .value_kind:     hidden_block_count_y
      - .offset:         64
        .size:           4
        .value_kind:     hidden_block_count_z
      - .offset:         68
        .size:           2
        .value_kind:     hidden_group_size_x
      - .offset:         70
        .size:           2
        .value_kind:     hidden_group_size_y
      - .offset:         72
        .size:           2
        .value_kind:     hidden_group_size_z
      - .offset:         74
        .size:           2
        .value_kind:     hidden_remainder_x
      - .offset:         76
        .size:           2
        .value_kind:     hidden_remainder_y
      - .offset:         78
        .size:           2
        .value_kind:     hidden_remainder_z
      - .offset:         96
        .size:           8
        .value_kind:     hidden_global_offset_x
      - .offset:         104
        .size:           8
        .value_kind:     hidden_global_offset_y
      - .offset:         112
        .size:           8
        .value_kind:     hidden_global_offset_z
      - .offset:         120
        .size:           2
        .value_kind:     hidden_grid_dims
      - .offset:         176
        .size:           4
        .value_kind:     hidden_dynamic_lds_size
    .group_segment_fixed_size: 0
    .kernarg_segment_align: 8
    .kernarg_segment_size: 312
    .language:       OpenCL C
    .language_version:
      - 2
      - 0
    .max_flat_workgroup_size: 1024
    .name:           _ZN5aiter20topk_softplus_kernelI12hip_bfloat16S1_Dv2_fLb1ELi2EEEvPKT_PKT0_PfPimiiif
    .private_segment_fixed_size: 0
    .sgpr_count:     25
    .sgpr_spill_count: 0
    .symbol:         _ZN5aiter20topk_softplus_kernelI12hip_bfloat16S1_Dv2_fLb1ELi2EEEvPKT_PKT0_PfPimiiif.kd
    .uniform_work_group_size: 1
    .uses_dynamic_stack: false
    .vgpr_count:     15
    .vgpr_spill_count: 0
    .wavefront_size: 32
    .workgroup_processor_mode: 1
  - .args:
      - .actual_access:  read_only
        .address_space:  global
        .offset:         0
        .size:           8
        .value_kind:     global_buffer
      - .actual_access:  read_only
        .address_space:  global
        .offset:         8
        .size:           8
        .value_kind:     global_buffer
      - .actual_access:  write_only
        .address_space:  global
        .offset:         16
        .size:           8
        .value_kind:     global_buffer
      - .actual_access:  write_only
        .address_space:  global
        .offset:         24
        .size:           8
        .value_kind:     global_buffer
      - .offset:         32
        .size:           8
        .value_kind:     by_value
      - .offset:         40
        .size:           4
        .value_kind:     by_value
      - .offset:         44
        .size:           4
        .value_kind:     by_value
      - .offset:         48
        .size:           4
        .value_kind:     by_value
      - .offset:         52
        .size:           4
        .value_kind:     by_value
      - .offset:         56
        .size:           4
        .value_kind:     hidden_block_count_x
      - .offset:         60
        .size:           4
        .value_kind:     hidden_block_count_y
      - .offset:         64
        .size:           4
        .value_kind:     hidden_block_count_z
      - .offset:         68
        .size:           2
        .value_kind:     hidden_group_size_x
      - .offset:         70
        .size:           2
        .value_kind:     hidden_group_size_y
      - .offset:         72
        .size:           2
        .value_kind:     hidden_group_size_z
      - .offset:         74
        .size:           2
        .value_kind:     hidden_remainder_x
      - .offset:         76
        .size:           2
        .value_kind:     hidden_remainder_y
      - .offset:         78
        .size:           2
        .value_kind:     hidden_remainder_z
      - .offset:         96
        .size:           8
        .value_kind:     hidden_global_offset_x
      - .offset:         104
        .size:           8
        .value_kind:     hidden_global_offset_y
      - .offset:         112
        .size:           8
        .value_kind:     hidden_global_offset_z
      - .offset:         120
        .size:           2
        .value_kind:     hidden_grid_dims
      - .offset:         176
        .size:           4
        .value_kind:     hidden_dynamic_lds_size
    .group_segment_fixed_size: 0
    .kernarg_segment_align: 8
    .kernarg_segment_size: 312
    .language:       OpenCL C
    .language_version:
      - 2
      - 0
    .max_flat_workgroup_size: 1024
    .name:           _ZN5aiter20topk_softplus_kernelI12hip_bfloat16S1_Dv2_fLb0ELi2EEEvPKT_PKT0_PfPimiiif
    .private_segment_fixed_size: 0
    .sgpr_count:     25
    .sgpr_spill_count: 0
    .symbol:         _ZN5aiter20topk_softplus_kernelI12hip_bfloat16S1_Dv2_fLb0ELi2EEEvPKT_PKT0_PfPimiiif.kd
    .uniform_work_group_size: 1
    .uses_dynamic_stack: false
    .vgpr_count:     14
    .vgpr_spill_count: 0
    .wavefront_size: 32
    .workgroup_processor_mode: 1
  - .args:
      - .actual_access:  read_only
        .address_space:  global
        .offset:         0
        .size:           8
        .value_kind:     global_buffer
      - .actual_access:  read_only
        .address_space:  global
        .offset:         8
        .size:           8
        .value_kind:     global_buffer
      - .actual_access:  write_only
        .address_space:  global
        .offset:         16
        .size:           8
        .value_kind:     global_buffer
      - .actual_access:  write_only
        .address_space:  global
        .offset:         24
        .size:           8
        .value_kind:     global_buffer
      - .offset:         32
        .size:           8
        .value_kind:     by_value
      - .offset:         40
        .size:           4
        .value_kind:     by_value
      - .offset:         44
        .size:           4
        .value_kind:     by_value
      - .offset:         48
        .size:           4
        .value_kind:     by_value
      - .offset:         52
        .size:           4
        .value_kind:     by_value
      - .offset:         56
        .size:           4
        .value_kind:     hidden_block_count_x
      - .offset:         60
        .size:           4
        .value_kind:     hidden_block_count_y
      - .offset:         64
        .size:           4
        .value_kind:     hidden_block_count_z
      - .offset:         68
        .size:           2
        .value_kind:     hidden_group_size_x
      - .offset:         70
        .size:           2
        .value_kind:     hidden_group_size_y
      - .offset:         72
        .size:           2
        .value_kind:     hidden_group_size_z
      - .offset:         74
        .size:           2
        .value_kind:     hidden_remainder_x
      - .offset:         76
        .size:           2
        .value_kind:     hidden_remainder_y
      - .offset:         78
        .size:           2
        .value_kind:     hidden_remainder_z
      - .offset:         96
        .size:           8
        .value_kind:     hidden_global_offset_x
      - .offset:         104
        .size:           8
        .value_kind:     hidden_global_offset_y
      - .offset:         112
        .size:           8
        .value_kind:     hidden_global_offset_z
      - .offset:         120
        .size:           2
        .value_kind:     hidden_grid_dims
      - .offset:         176
        .size:           4
        .value_kind:     hidden_dynamic_lds_size
    .group_segment_fixed_size: 0
    .kernarg_segment_align: 8
    .kernarg_segment_size: 312
    .language:       OpenCL C
    .language_version:
      - 2
      - 0
    .max_flat_workgroup_size: 1024
    .name:           _ZN5aiter20topk_softplus_kernelI12hip_bfloat16S1_Dv1_fLb1ELi2EEEvPKT_PKT0_PfPimiiif
    .private_segment_fixed_size: 0
    .sgpr_count:     24
    .sgpr_spill_count: 0
    .symbol:         _ZN5aiter20topk_softplus_kernelI12hip_bfloat16S1_Dv1_fLb1ELi2EEEvPKT_PKT0_PfPimiiif.kd
    .uniform_work_group_size: 1
    .uses_dynamic_stack: false
    .vgpr_count:     12
    .vgpr_spill_count: 0
    .wavefront_size: 32
    .workgroup_processor_mode: 1
  - .args:
      - .actual_access:  read_only
        .address_space:  global
        .offset:         0
        .size:           8
        .value_kind:     global_buffer
      - .actual_access:  read_only
        .address_space:  global
        .offset:         8
        .size:           8
        .value_kind:     global_buffer
      - .actual_access:  write_only
        .address_space:  global
        .offset:         16
        .size:           8
        .value_kind:     global_buffer
      - .actual_access:  write_only
        .address_space:  global
        .offset:         24
        .size:           8
        .value_kind:     global_buffer
      - .offset:         32
        .size:           8
        .value_kind:     by_value
      - .offset:         40
        .size:           4
        .value_kind:     by_value
      - .offset:         44
        .size:           4
        .value_kind:     by_value
      - .offset:         48
        .size:           4
        .value_kind:     by_value
      - .offset:         52
        .size:           4
        .value_kind:     by_value
      - .offset:         56
        .size:           4
        .value_kind:     hidden_block_count_x
      - .offset:         60
        .size:           4
        .value_kind:     hidden_block_count_y
      - .offset:         64
        .size:           4
        .value_kind:     hidden_block_count_z
      - .offset:         68
        .size:           2
        .value_kind:     hidden_group_size_x
      - .offset:         70
        .size:           2
        .value_kind:     hidden_group_size_y
      - .offset:         72
        .size:           2
        .value_kind:     hidden_group_size_z
      - .offset:         74
        .size:           2
        .value_kind:     hidden_remainder_x
      - .offset:         76
        .size:           2
        .value_kind:     hidden_remainder_y
      - .offset:         78
        .size:           2
        .value_kind:     hidden_remainder_z
      - .offset:         96
        .size:           8
        .value_kind:     hidden_global_offset_x
      - .offset:         104
        .size:           8
        .value_kind:     hidden_global_offset_y
      - .offset:         112
        .size:           8
        .value_kind:     hidden_global_offset_z
      - .offset:         120
        .size:           2
        .value_kind:     hidden_grid_dims
      - .offset:         176
        .size:           4
        .value_kind:     hidden_dynamic_lds_size
    .group_segment_fixed_size: 0
    .kernarg_segment_align: 8
    .kernarg_segment_size: 312
    .language:       OpenCL C
    .language_version:
      - 2
      - 0
    .max_flat_workgroup_size: 1024
    .name:           _ZN5aiter20topk_softplus_kernelI12hip_bfloat16S1_Dv1_fLb0ELi2EEEvPKT_PKT0_PfPimiiif
    .private_segment_fixed_size: 0
    .sgpr_count:     24
    .sgpr_spill_count: 0
    .symbol:         _ZN5aiter20topk_softplus_kernelI12hip_bfloat16S1_Dv1_fLb0ELi2EEEvPKT_PKT0_PfPimiiif.kd
    .uniform_work_group_size: 1
    .uses_dynamic_stack: false
    .vgpr_count:     11
    .vgpr_spill_count: 0
    .wavefront_size: 32
    .workgroup_processor_mode: 1
  - .args:
      - .actual_access:  read_only
        .address_space:  global
        .offset:         0
        .size:           8
        .value_kind:     global_buffer
      - .actual_access:  read_only
        .address_space:  global
        .offset:         8
        .size:           8
        .value_kind:     global_buffer
      - .actual_access:  write_only
        .address_space:  global
        .offset:         16
        .size:           8
        .value_kind:     global_buffer
      - .actual_access:  write_only
        .address_space:  global
        .offset:         24
        .size:           8
        .value_kind:     global_buffer
      - .offset:         32
        .size:           8
        .value_kind:     by_value
      - .offset:         40
        .size:           4
        .value_kind:     by_value
      - .offset:         44
        .size:           4
        .value_kind:     by_value
      - .offset:         48
        .size:           4
        .value_kind:     by_value
    .group_segment_fixed_size: 0
    .kernarg_segment_align: 8
    .kernarg_segment_size: 52
    .language:       OpenCL C
    .language_version:
      - 2
      - 0
    .max_flat_workgroup_size: 1024
    .name:           _ZN5aiter24topk_softplus_kernel_optI12hip_bfloat16S1_Li64ELb1ELi0EEEvPKT_PKT0_PfPimiif
    .private_segment_fixed_size: 0
    .sgpr_count:     18
    .sgpr_spill_count: 0
    .symbol:         _ZN5aiter24topk_softplus_kernel_optI12hip_bfloat16S1_Li64ELb1ELi0EEEvPKT_PKT0_PfPimiif.kd
    .uniform_work_group_size: 1
    .uses_dynamic_stack: false
    .vgpr_count:     17
    .vgpr_spill_count: 0
    .wavefront_size: 32
    .workgroup_processor_mode: 1
  - .args:
      - .actual_access:  read_only
        .address_space:  global
        .offset:         0
        .size:           8
        .value_kind:     global_buffer
      - .actual_access:  read_only
        .address_space:  global
        .offset:         8
        .size:           8
        .value_kind:     global_buffer
      - .actual_access:  write_only
        .address_space:  global
        .offset:         16
        .size:           8
        .value_kind:     global_buffer
      - .actual_access:  write_only
        .address_space:  global
        .offset:         24
        .size:           8
        .value_kind:     global_buffer
      - .offset:         32
        .size:           8
        .value_kind:     by_value
      - .offset:         40
        .size:           4
        .value_kind:     by_value
      - .offset:         44
        .size:           4
        .value_kind:     by_value
      - .offset:         48
        .size:           4
        .value_kind:     by_value
    .group_segment_fixed_size: 0
    .kernarg_segment_align: 8
    .kernarg_segment_size: 52
    .language:       OpenCL C
    .language_version:
      - 2
      - 0
    .max_flat_workgroup_size: 1024
    .name:           _ZN5aiter24topk_softplus_kernel_optI12hip_bfloat16S1_Li64ELb0ELi0EEEvPKT_PKT0_PfPimiif
    .private_segment_fixed_size: 0
    .sgpr_count:     18
    .sgpr_spill_count: 0
    .symbol:         _ZN5aiter24topk_softplus_kernel_optI12hip_bfloat16S1_Li64ELb0ELi0EEEvPKT_PKT0_PfPimiif.kd
    .uniform_work_group_size: 1
    .uses_dynamic_stack: false
    .vgpr_count:     14
    .vgpr_spill_count: 0
    .wavefront_size: 32
    .workgroup_processor_mode: 1
  - .args:
      - .actual_access:  read_only
        .address_space:  global
        .offset:         0
        .size:           8
        .value_kind:     global_buffer
      - .actual_access:  read_only
        .address_space:  global
        .offset:         8
        .size:           8
        .value_kind:     global_buffer
      - .actual_access:  write_only
        .address_space:  global
        .offset:         16
        .size:           8
        .value_kind:     global_buffer
      - .actual_access:  write_only
        .address_space:  global
        .offset:         24
        .size:           8
        .value_kind:     global_buffer
      - .offset:         32
        .size:           8
        .value_kind:     by_value
      - .offset:         40
        .size:           4
        .value_kind:     by_value
      - .offset:         44
        .size:           4
        .value_kind:     by_value
      - .offset:         48
        .size:           4
        .value_kind:     by_value
    .group_segment_fixed_size: 0
    .kernarg_segment_align: 8
    .kernarg_segment_size: 52
    .language:       OpenCL C
    .language_version:
      - 2
      - 0
    .max_flat_workgroup_size: 1024
    .name:           _ZN5aiter24topk_softplus_kernel_optI12hip_bfloat16S1_Li128ELb1ELi0EEEvPKT_PKT0_PfPimiif
    .private_segment_fixed_size: 0
    .sgpr_count:     18
    .sgpr_spill_count: 0
    .symbol:         _ZN5aiter24topk_softplus_kernel_optI12hip_bfloat16S1_Li128ELb1ELi0EEEvPKT_PKT0_PfPimiif.kd
    .uniform_work_group_size: 1
    .uses_dynamic_stack: false
    .vgpr_count:     24
    .vgpr_spill_count: 0
    .wavefront_size: 32
    .workgroup_processor_mode: 1
  - .args:
      - .actual_access:  read_only
        .address_space:  global
        .offset:         0
        .size:           8
        .value_kind:     global_buffer
      - .actual_access:  read_only
        .address_space:  global
        .offset:         8
        .size:           8
        .value_kind:     global_buffer
      - .actual_access:  write_only
        .address_space:  global
        .offset:         16
        .size:           8
        .value_kind:     global_buffer
      - .actual_access:  write_only
        .address_space:  global
        .offset:         24
        .size:           8
        .value_kind:     global_buffer
      - .offset:         32
        .size:           8
        .value_kind:     by_value
      - .offset:         40
        .size:           4
        .value_kind:     by_value
      - .offset:         44
        .size:           4
        .value_kind:     by_value
      - .offset:         48
        .size:           4
        .value_kind:     by_value
    .group_segment_fixed_size: 0
    .kernarg_segment_align: 8
    .kernarg_segment_size: 52
    .language:       OpenCL C
    .language_version:
      - 2
      - 0
    .max_flat_workgroup_size: 1024
    .name:           _ZN5aiter24topk_softplus_kernel_optI12hip_bfloat16S1_Li128ELb0ELi0EEEvPKT_PKT0_PfPimiif
    .private_segment_fixed_size: 0
    .sgpr_count:     18
    .sgpr_spill_count: 0
    .symbol:         _ZN5aiter24topk_softplus_kernel_optI12hip_bfloat16S1_Li128ELb0ELi0EEEvPKT_PKT0_PfPimiif.kd
    .uniform_work_group_size: 1
    .uses_dynamic_stack: false
    .vgpr_count:     22
    .vgpr_spill_count: 0
    .wavefront_size: 32
    .workgroup_processor_mode: 1
  - .args:
      - .actual_access:  read_only
        .address_space:  global
        .offset:         0
        .size:           8
        .value_kind:     global_buffer
      - .actual_access:  read_only
        .address_space:  global
        .offset:         8
        .size:           8
        .value_kind:     global_buffer
      - .actual_access:  write_only
        .address_space:  global
        .offset:         16
        .size:           8
        .value_kind:     global_buffer
      - .actual_access:  write_only
        .address_space:  global
        .offset:         24
        .size:           8
        .value_kind:     global_buffer
      - .offset:         32
        .size:           8
        .value_kind:     by_value
      - .offset:         40
        .size:           4
        .value_kind:     by_value
      - .offset:         44
        .size:           4
        .value_kind:     by_value
      - .offset:         48
        .size:           4
        .value_kind:     by_value
    .group_segment_fixed_size: 0
    .kernarg_segment_align: 8
    .kernarg_segment_size: 52
    .language:       OpenCL C
    .language_version:
      - 2
      - 0
    .max_flat_workgroup_size: 1024
    .name:           _ZN5aiter24topk_softplus_kernel_optI12hip_bfloat16S1_Li256ELb1ELi0EEEvPKT_PKT0_PfPimiif
    .private_segment_fixed_size: 0
    .sgpr_count:     18
    .sgpr_spill_count: 0
    .symbol:         _ZN5aiter24topk_softplus_kernel_optI12hip_bfloat16S1_Li256ELb1ELi0EEEvPKT_PKT0_PfPimiif.kd
    .uniform_work_group_size: 1
    .uses_dynamic_stack: false
    .vgpr_count:     96
    .vgpr_spill_count: 0
    .wavefront_size: 32
    .workgroup_processor_mode: 1
  - .args:
      - .actual_access:  read_only
        .address_space:  global
        .offset:         0
        .size:           8
        .value_kind:     global_buffer
      - .actual_access:  read_only
        .address_space:  global
        .offset:         8
        .size:           8
        .value_kind:     global_buffer
      - .actual_access:  write_only
        .address_space:  global
        .offset:         16
        .size:           8
        .value_kind:     global_buffer
      - .actual_access:  write_only
        .address_space:  global
        .offset:         24
        .size:           8
        .value_kind:     global_buffer
      - .offset:         32
        .size:           8
        .value_kind:     by_value
      - .offset:         40
        .size:           4
        .value_kind:     by_value
      - .offset:         44
        .size:           4
        .value_kind:     by_value
      - .offset:         48
        .size:           4
        .value_kind:     by_value
    .group_segment_fixed_size: 0
    .kernarg_segment_align: 8
    .kernarg_segment_size: 52
    .language:       OpenCL C
    .language_version:
      - 2
      - 0
    .max_flat_workgroup_size: 1024
    .name:           _ZN5aiter24topk_softplus_kernel_optI12hip_bfloat16S1_Li256ELb0ELi0EEEvPKT_PKT0_PfPimiif
    .private_segment_fixed_size: 0
    .sgpr_count:     18
    .sgpr_spill_count: 0
    .symbol:         _ZN5aiter24topk_softplus_kernel_optI12hip_bfloat16S1_Li256ELb0ELi0EEEvPKT_PKT0_PfPimiif.kd
    .uniform_work_group_size: 1
    .uses_dynamic_stack: false
    .vgpr_count:     96
    .vgpr_spill_count: 0
    .wavefront_size: 32
    .workgroup_processor_mode: 1
  - .args:
      - .actual_access:  read_only
        .address_space:  global
        .offset:         0
        .size:           8
        .value_kind:     global_buffer
      - .actual_access:  read_only
        .address_space:  global
        .offset:         8
        .size:           8
        .value_kind:     global_buffer
      - .actual_access:  write_only
        .address_space:  global
        .offset:         16
        .size:           8
        .value_kind:     global_buffer
      - .actual_access:  write_only
        .address_space:  global
        .offset:         24
        .size:           8
        .value_kind:     global_buffer
      - .offset:         32
        .size:           8
        .value_kind:     by_value
      - .offset:         40
        .size:           4
        .value_kind:     by_value
      - .offset:         44
        .size:           4
        .value_kind:     by_value
      - .offset:         48
        .size:           4
        .value_kind:     by_value
    .group_segment_fixed_size: 0
    .kernarg_segment_align: 8
    .kernarg_segment_size: 52
    .language:       OpenCL C
    .language_version:
      - 2
      - 0
    .max_flat_workgroup_size: 1024
    .name:           _ZN5aiter24topk_softplus_kernel_optI12hip_bfloat16S1_Li384ELb1ELi0EEEvPKT_PKT0_PfPimiif
    .private_segment_fixed_size: 196
    .sgpr_count:     18
    .sgpr_spill_count: 0
    .symbol:         _ZN5aiter24topk_softplus_kernel_optI12hip_bfloat16S1_Li384ELb1ELi0EEEvPKT_PKT0_PfPimiif.kd
    .uniform_work_group_size: 1
    .uses_dynamic_stack: false
    .vgpr_count:     183
    .vgpr_spill_count: 300
    .wavefront_size: 32
    .workgroup_processor_mode: 1
  - .args:
      - .actual_access:  read_only
        .address_space:  global
        .offset:         0
        .size:           8
        .value_kind:     global_buffer
      - .actual_access:  read_only
        .address_space:  global
        .offset:         8
        .size:           8
        .value_kind:     global_buffer
      - .actual_access:  write_only
        .address_space:  global
        .offset:         16
        .size:           8
        .value_kind:     global_buffer
      - .actual_access:  write_only
        .address_space:  global
        .offset:         24
        .size:           8
        .value_kind:     global_buffer
      - .offset:         32
        .size:           8
        .value_kind:     by_value
      - .offset:         40
        .size:           4
        .value_kind:     by_value
      - .offset:         44
        .size:           4
        .value_kind:     by_value
      - .offset:         48
        .size:           4
        .value_kind:     by_value
    .group_segment_fixed_size: 0
    .kernarg_segment_align: 8
    .kernarg_segment_size: 52
    .language:       OpenCL C
    .language_version:
      - 2
      - 0
    .max_flat_workgroup_size: 1024
    .name:           _ZN5aiter24topk_softplus_kernel_optI12hip_bfloat16S1_Li384ELb0ELi0EEEvPKT_PKT0_PfPimiif
    .private_segment_fixed_size: 196
    .sgpr_count:     18
    .sgpr_spill_count: 0
    .symbol:         _ZN5aiter24topk_softplus_kernel_optI12hip_bfloat16S1_Li384ELb0ELi0EEEvPKT_PKT0_PfPimiif.kd
    .uniform_work_group_size: 1
    .uses_dynamic_stack: false
    .vgpr_count:     183
    .vgpr_spill_count: 300
    .wavefront_size: 32
    .workgroup_processor_mode: 1
  - .args:
      - .actual_access:  read_only
        .address_space:  global
        .offset:         0
        .size:           8
        .value_kind:     global_buffer
      - .actual_access:  read_only
        .address_space:  global
        .offset:         8
        .size:           8
        .value_kind:     global_buffer
      - .actual_access:  write_only
        .address_space:  global
        .offset:         16
        .size:           8
        .value_kind:     global_buffer
      - .actual_access:  write_only
        .address_space:  global
        .offset:         24
        .size:           8
        .value_kind:     global_buffer
      - .offset:         32
        .size:           8
        .value_kind:     by_value
      - .offset:         40
        .size:           4
        .value_kind:     by_value
      - .offset:         44
        .size:           4
        .value_kind:     by_value
      - .offset:         48
        .size:           4
        .value_kind:     by_value
      - .offset:         52
        .size:           4
        .value_kind:     by_value
      - .offset:         56
        .size:           4
        .value_kind:     hidden_block_count_x
      - .offset:         60
        .size:           4
        .value_kind:     hidden_block_count_y
      - .offset:         64
        .size:           4
        .value_kind:     hidden_block_count_z
      - .offset:         68
        .size:           2
        .value_kind:     hidden_group_size_x
      - .offset:         70
        .size:           2
        .value_kind:     hidden_group_size_y
      - .offset:         72
        .size:           2
        .value_kind:     hidden_group_size_z
      - .offset:         74
        .size:           2
        .value_kind:     hidden_remainder_x
      - .offset:         76
        .size:           2
        .value_kind:     hidden_remainder_y
      - .offset:         78
        .size:           2
        .value_kind:     hidden_remainder_z
      - .offset:         96
        .size:           8
        .value_kind:     hidden_global_offset_x
      - .offset:         104
        .size:           8
        .value_kind:     hidden_global_offset_y
      - .offset:         112
        .size:           8
        .value_kind:     hidden_global_offset_z
      - .offset:         120
        .size:           2
        .value_kind:     hidden_grid_dims
      - .offset:         176
        .size:           4
        .value_kind:     hidden_dynamic_lds_size
    .group_segment_fixed_size: 0
    .kernarg_segment_align: 8
    .kernarg_segment_size: 312
    .language:       OpenCL C
    .language_version:
      - 2
      - 0
    .max_flat_workgroup_size: 1024
    .name:           _ZN5aiter20topk_softplus_kernelI12hip_bfloat16S1_Dv4_fLb1ELi0EEEvPKT_PKT0_PfPimiiif
    .private_segment_fixed_size: 0
    .sgpr_count:     33
    .sgpr_spill_count: 0
    .symbol:         _ZN5aiter20topk_softplus_kernelI12hip_bfloat16S1_Dv4_fLb1ELi0EEEvPKT_PKT0_PfPimiiif.kd
    .uniform_work_group_size: 1
    .uses_dynamic_stack: false
    .vgpr_count:     20
    .vgpr_spill_count: 0
    .wavefront_size: 32
    .workgroup_processor_mode: 1
  - .args:
      - .actual_access:  read_only
        .address_space:  global
        .offset:         0
        .size:           8
        .value_kind:     global_buffer
      - .actual_access:  read_only
        .address_space:  global
        .offset:         8
        .size:           8
        .value_kind:     global_buffer
      - .actual_access:  write_only
        .address_space:  global
        .offset:         16
        .size:           8
        .value_kind:     global_buffer
      - .actual_access:  write_only
        .address_space:  global
        .offset:         24
        .size:           8
        .value_kind:     global_buffer
      - .offset:         32
        .size:           8
        .value_kind:     by_value
      - .offset:         40
        .size:           4
        .value_kind:     by_value
      - .offset:         44
        .size:           4
        .value_kind:     by_value
      - .offset:         48
        .size:           4
        .value_kind:     by_value
      - .offset:         52
        .size:           4
        .value_kind:     by_value
      - .offset:         56
        .size:           4
        .value_kind:     hidden_block_count_x
      - .offset:         60
        .size:           4
        .value_kind:     hidden_block_count_y
      - .offset:         64
        .size:           4
        .value_kind:     hidden_block_count_z
      - .offset:         68
        .size:           2
        .value_kind:     hidden_group_size_x
      - .offset:         70
        .size:           2
        .value_kind:     hidden_group_size_y
      - .offset:         72
        .size:           2
        .value_kind:     hidden_group_size_z
      - .offset:         74
        .size:           2
        .value_kind:     hidden_remainder_x
      - .offset:         76
        .size:           2
        .value_kind:     hidden_remainder_y
      - .offset:         78
        .size:           2
        .value_kind:     hidden_remainder_z
      - .offset:         96
        .size:           8
        .value_kind:     hidden_global_offset_x
      - .offset:         104
        .size:           8
        .value_kind:     hidden_global_offset_y
      - .offset:         112
        .size:           8
        .value_kind:     hidden_global_offset_z
      - .offset:         120
        .size:           2
        .value_kind:     hidden_grid_dims
      - .offset:         176
        .size:           4
        .value_kind:     hidden_dynamic_lds_size
    .group_segment_fixed_size: 0
    .kernarg_segment_align: 8
    .kernarg_segment_size: 312
    .language:       OpenCL C
    .language_version:
      - 2
      - 0
    .max_flat_workgroup_size: 1024
    .name:           _ZN5aiter20topk_softplus_kernelI12hip_bfloat16S1_Dv4_fLb0ELi0EEEvPKT_PKT0_PfPimiiif
    .private_segment_fixed_size: 0
    .sgpr_count:     33
    .sgpr_spill_count: 0
    .symbol:         _ZN5aiter20topk_softplus_kernelI12hip_bfloat16S1_Dv4_fLb0ELi0EEEvPKT_PKT0_PfPimiiif.kd
    .uniform_work_group_size: 1
    .uses_dynamic_stack: false
    .vgpr_count:     20
    .vgpr_spill_count: 0
    .wavefront_size: 32
    .workgroup_processor_mode: 1
  - .args:
      - .actual_access:  read_only
        .address_space:  global
        .offset:         0
        .size:           8
        .value_kind:     global_buffer
      - .actual_access:  read_only
        .address_space:  global
        .offset:         8
        .size:           8
        .value_kind:     global_buffer
      - .actual_access:  write_only
        .address_space:  global
        .offset:         16
        .size:           8
        .value_kind:     global_buffer
      - .actual_access:  write_only
        .address_space:  global
        .offset:         24
        .size:           8
        .value_kind:     global_buffer
      - .offset:         32
        .size:           8
        .value_kind:     by_value
      - .offset:         40
        .size:           4
        .value_kind:     by_value
      - .offset:         44
        .size:           4
        .value_kind:     by_value
      - .offset:         48
        .size:           4
        .value_kind:     by_value
      - .offset:         52
        .size:           4
        .value_kind:     by_value
      - .offset:         56
        .size:           4
        .value_kind:     hidden_block_count_x
      - .offset:         60
        .size:           4
        .value_kind:     hidden_block_count_y
      - .offset:         64
        .size:           4
        .value_kind:     hidden_block_count_z
      - .offset:         68
        .size:           2
        .value_kind:     hidden_group_size_x
      - .offset:         70
        .size:           2
        .value_kind:     hidden_group_size_y
      - .offset:         72
        .size:           2
        .value_kind:     hidden_group_size_z
      - .offset:         74
        .size:           2
        .value_kind:     hidden_remainder_x
      - .offset:         76
        .size:           2
        .value_kind:     hidden_remainder_y
      - .offset:         78
        .size:           2
        .value_kind:     hidden_remainder_z
      - .offset:         96
        .size:           8
        .value_kind:     hidden_global_offset_x
      - .offset:         104
        .size:           8
        .value_kind:     hidden_global_offset_y
      - .offset:         112
        .size:           8
        .value_kind:     hidden_global_offset_z
      - .offset:         120
        .size:           2
        .value_kind:     hidden_grid_dims
      - .offset:         176
        .size:           4
        .value_kind:     hidden_dynamic_lds_size
    .group_segment_fixed_size: 0
    .kernarg_segment_align: 8
    .kernarg_segment_size: 312
    .language:       OpenCL C
    .language_version:
      - 2
      - 0
    .max_flat_workgroup_size: 1024
    .name:           _ZN5aiter20topk_softplus_kernelI12hip_bfloat16S1_Dv2_fLb1ELi0EEEvPKT_PKT0_PfPimiiif
    .private_segment_fixed_size: 0
    .sgpr_count:     25
    .sgpr_spill_count: 0
    .symbol:         _ZN5aiter20topk_softplus_kernelI12hip_bfloat16S1_Dv2_fLb1ELi0EEEvPKT_PKT0_PfPimiiif.kd
    .uniform_work_group_size: 1
    .uses_dynamic_stack: false
    .vgpr_count:     15
    .vgpr_spill_count: 0
    .wavefront_size: 32
    .workgroup_processor_mode: 1
  - .args:
      - .actual_access:  read_only
        .address_space:  global
        .offset:         0
        .size:           8
        .value_kind:     global_buffer
      - .actual_access:  read_only
        .address_space:  global
        .offset:         8
        .size:           8
        .value_kind:     global_buffer
      - .actual_access:  write_only
        .address_space:  global
        .offset:         16
        .size:           8
        .value_kind:     global_buffer
      - .actual_access:  write_only
        .address_space:  global
        .offset:         24
        .size:           8
        .value_kind:     global_buffer
      - .offset:         32
        .size:           8
        .value_kind:     by_value
      - .offset:         40
        .size:           4
        .value_kind:     by_value
      - .offset:         44
        .size:           4
        .value_kind:     by_value
      - .offset:         48
        .size:           4
        .value_kind:     by_value
      - .offset:         52
        .size:           4
        .value_kind:     by_value
      - .offset:         56
        .size:           4
        .value_kind:     hidden_block_count_x
      - .offset:         60
        .size:           4
        .value_kind:     hidden_block_count_y
      - .offset:         64
        .size:           4
        .value_kind:     hidden_block_count_z
      - .offset:         68
        .size:           2
        .value_kind:     hidden_group_size_x
      - .offset:         70
        .size:           2
        .value_kind:     hidden_group_size_y
      - .offset:         72
        .size:           2
        .value_kind:     hidden_group_size_z
      - .offset:         74
        .size:           2
        .value_kind:     hidden_remainder_x
      - .offset:         76
        .size:           2
        .value_kind:     hidden_remainder_y
      - .offset:         78
        .size:           2
        .value_kind:     hidden_remainder_z
      - .offset:         96
        .size:           8
        .value_kind:     hidden_global_offset_x
      - .offset:         104
        .size:           8
        .value_kind:     hidden_global_offset_y
      - .offset:         112
        .size:           8
        .value_kind:     hidden_global_offset_z
      - .offset:         120
        .size:           2
        .value_kind:     hidden_grid_dims
      - .offset:         176
        .size:           4
        .value_kind:     hidden_dynamic_lds_size
    .group_segment_fixed_size: 0
    .kernarg_segment_align: 8
    .kernarg_segment_size: 312
    .language:       OpenCL C
    .language_version:
      - 2
      - 0
    .max_flat_workgroup_size: 1024
    .name:           _ZN5aiter20topk_softplus_kernelI12hip_bfloat16S1_Dv2_fLb0ELi0EEEvPKT_PKT0_PfPimiiif
    .private_segment_fixed_size: 0
    .sgpr_count:     25
    .sgpr_spill_count: 0
    .symbol:         _ZN5aiter20topk_softplus_kernelI12hip_bfloat16S1_Dv2_fLb0ELi0EEEvPKT_PKT0_PfPimiiif.kd
    .uniform_work_group_size: 1
    .uses_dynamic_stack: false
    .vgpr_count:     14
    .vgpr_spill_count: 0
    .wavefront_size: 32
    .workgroup_processor_mode: 1
  - .args:
      - .actual_access:  read_only
        .address_space:  global
        .offset:         0
        .size:           8
        .value_kind:     global_buffer
      - .actual_access:  read_only
        .address_space:  global
        .offset:         8
        .size:           8
        .value_kind:     global_buffer
      - .actual_access:  write_only
        .address_space:  global
        .offset:         16
        .size:           8
        .value_kind:     global_buffer
      - .actual_access:  write_only
        .address_space:  global
        .offset:         24
        .size:           8
        .value_kind:     global_buffer
      - .offset:         32
        .size:           8
        .value_kind:     by_value
      - .offset:         40
        .size:           4
        .value_kind:     by_value
      - .offset:         44
        .size:           4
        .value_kind:     by_value
      - .offset:         48
        .size:           4
        .value_kind:     by_value
      - .offset:         52
        .size:           4
        .value_kind:     by_value
      - .offset:         56
        .size:           4
        .value_kind:     hidden_block_count_x
      - .offset:         60
        .size:           4
        .value_kind:     hidden_block_count_y
      - .offset:         64
        .size:           4
        .value_kind:     hidden_block_count_z
      - .offset:         68
        .size:           2
        .value_kind:     hidden_group_size_x
      - .offset:         70
        .size:           2
        .value_kind:     hidden_group_size_y
      - .offset:         72
        .size:           2
        .value_kind:     hidden_group_size_z
      - .offset:         74
        .size:           2
        .value_kind:     hidden_remainder_x
      - .offset:         76
        .size:           2
        .value_kind:     hidden_remainder_y
      - .offset:         78
        .size:           2
        .value_kind:     hidden_remainder_z
      - .offset:         96
        .size:           8
        .value_kind:     hidden_global_offset_x
      - .offset:         104
        .size:           8
        .value_kind:     hidden_global_offset_y
      - .offset:         112
        .size:           8
        .value_kind:     hidden_global_offset_z
      - .offset:         120
        .size:           2
        .value_kind:     hidden_grid_dims
      - .offset:         176
        .size:           4
        .value_kind:     hidden_dynamic_lds_size
    .group_segment_fixed_size: 0
    .kernarg_segment_align: 8
    .kernarg_segment_size: 312
    .language:       OpenCL C
    .language_version:
      - 2
      - 0
    .max_flat_workgroup_size: 1024
    .name:           _ZN5aiter20topk_softplus_kernelI12hip_bfloat16S1_Dv1_fLb1ELi0EEEvPKT_PKT0_PfPimiiif
    .private_segment_fixed_size: 0
    .sgpr_count:     24
    .sgpr_spill_count: 0
    .symbol:         _ZN5aiter20topk_softplus_kernelI12hip_bfloat16S1_Dv1_fLb1ELi0EEEvPKT_PKT0_PfPimiiif.kd
    .uniform_work_group_size: 1
    .uses_dynamic_stack: false
    .vgpr_count:     12
    .vgpr_spill_count: 0
    .wavefront_size: 32
    .workgroup_processor_mode: 1
  - .args:
      - .actual_access:  read_only
        .address_space:  global
        .offset:         0
        .size:           8
        .value_kind:     global_buffer
      - .actual_access:  read_only
        .address_space:  global
        .offset:         8
        .size:           8
        .value_kind:     global_buffer
      - .actual_access:  write_only
        .address_space:  global
        .offset:         16
        .size:           8
        .value_kind:     global_buffer
      - .actual_access:  write_only
        .address_space:  global
        .offset:         24
        .size:           8
        .value_kind:     global_buffer
      - .offset:         32
        .size:           8
        .value_kind:     by_value
      - .offset:         40
        .size:           4
        .value_kind:     by_value
      - .offset:         44
        .size:           4
        .value_kind:     by_value
      - .offset:         48
        .size:           4
        .value_kind:     by_value
      - .offset:         52
        .size:           4
        .value_kind:     by_value
      - .offset:         56
        .size:           4
        .value_kind:     hidden_block_count_x
      - .offset:         60
        .size:           4
        .value_kind:     hidden_block_count_y
      - .offset:         64
        .size:           4
        .value_kind:     hidden_block_count_z
      - .offset:         68
        .size:           2
        .value_kind:     hidden_group_size_x
      - .offset:         70
        .size:           2
        .value_kind:     hidden_group_size_y
      - .offset:         72
        .size:           2
        .value_kind:     hidden_group_size_z
      - .offset:         74
        .size:           2
        .value_kind:     hidden_remainder_x
      - .offset:         76
        .size:           2
        .value_kind:     hidden_remainder_y
      - .offset:         78
        .size:           2
        .value_kind:     hidden_remainder_z
      - .offset:         96
        .size:           8
        .value_kind:     hidden_global_offset_x
      - .offset:         104
        .size:           8
        .value_kind:     hidden_global_offset_y
      - .offset:         112
        .size:           8
        .value_kind:     hidden_global_offset_z
      - .offset:         120
        .size:           2
        .value_kind:     hidden_grid_dims
      - .offset:         176
        .size:           4
        .value_kind:     hidden_dynamic_lds_size
    .group_segment_fixed_size: 0
    .kernarg_segment_align: 8
    .kernarg_segment_size: 312
    .language:       OpenCL C
    .language_version:
      - 2
      - 0
    .max_flat_workgroup_size: 1024
    .name:           _ZN5aiter20topk_softplus_kernelI12hip_bfloat16S1_Dv1_fLb0ELi0EEEvPKT_PKT0_PfPimiiif
    .private_segment_fixed_size: 0
    .sgpr_count:     24
    .sgpr_spill_count: 0
    .symbol:         _ZN5aiter20topk_softplus_kernelI12hip_bfloat16S1_Dv1_fLb0ELi0EEEvPKT_PKT0_PfPimiiif.kd
    .uniform_work_group_size: 1
    .uses_dynamic_stack: false
    .vgpr_count:     12
    .vgpr_spill_count: 0
    .wavefront_size: 32
    .workgroup_processor_mode: 1
amdhsa.target:   amdgcn-amd-amdhsa--gfx1100
amdhsa.version:
  - 1
  - 2
...

	.end_amdgpu_metadata
